;; amdgpu-corpus repo=pytorch/pytorch kind=compiled arch=gfx1250 opt=O3
	.amdgcn_target "amdgcn-amd-amdhsa--gfx1250"
	.amdhsa_code_object_version 6
	.section	.text._ZN2at6native12_GLOBAL__N_16kernel17lstm_cell_forwardIddiLi1EEEvNS_4cuda6detail10TensorInfoIT_T1_EES9_S9_S9_S9_S9_S9_S9_S8_S8_,"axG",@progbits,_ZN2at6native12_GLOBAL__N_16kernel17lstm_cell_forwardIddiLi1EEEvNS_4cuda6detail10TensorInfoIT_T1_EES9_S9_S9_S9_S9_S9_S9_S8_S8_,comdat
	.globl	_ZN2at6native12_GLOBAL__N_16kernel17lstm_cell_forwardIddiLi1EEEvNS_4cuda6detail10TensorInfoIT_T1_EES9_S9_S9_S9_S9_S9_S9_S8_S8_ ; -- Begin function _ZN2at6native12_GLOBAL__N_16kernel17lstm_cell_forwardIddiLi1EEEvNS_4cuda6detail10TensorInfoIT_T1_EES9_S9_S9_S9_S9_S9_S9_S8_S8_
	.p2align	8
	.type	_ZN2at6native12_GLOBAL__N_16kernel17lstm_cell_forwardIddiLi1EEEvNS_4cuda6detail10TensorInfoIT_T1_EES9_S9_S9_S9_S9_S9_S9_S8_S8_,@function
_ZN2at6native12_GLOBAL__N_16kernel17lstm_cell_forwardIddiLi1EEEvNS_4cuda6detail10TensorInfoIT_T1_EES9_S9_S9_S9_S9_S9_S9_S8_S8_: ; @_ZN2at6native12_GLOBAL__N_16kernel17lstm_cell_forwardIddiLi1EEEvNS_4cuda6detail10TensorInfoIT_T1_EES9_S9_S9_S9_S9_S9_S9_S8_S8_
; %bb.0:
	s_clause 0x1
	s_load_b32 s2, s[0:1], 0x6d4
	s_load_b64 s[4:5], s[0:1], 0x6c0
	s_bfe_u32 s3, ttmp6, 0x4000c
	s_and_b32 s6, ttmp6, 15
	s_add_co_i32 s3, s3, 1
	s_getreg_b32 s7, hwreg(HW_REG_IB_STS2, 6, 4)
	s_mul_i32 s3, ttmp9, s3
	s_delay_alu instid0(SALU_CYCLE_1)
	s_add_co_i32 s6, s6, s3
	s_wait_kmcnt 0x0
	s_and_b32 s2, s2, 0xffff
	s_cmp_eq_u32 s7, 0
	s_mov_b32 s7, 0
	s_cselect_b32 s3, ttmp9, s6
	s_delay_alu instid0(SALU_CYCLE_1) | instskip(SKIP_1) | instid1(VALU_DEP_1)
	v_mad_u32 v38, s3, s2, v0
	s_mov_b32 s3, exec_lo
	v_cmpx_gt_i32_e64 s5, v38
	s_cbranch_execz .LBB0_6
; %bb.1:
	s_clause 0xc
	s_load_b64 s[8:9], s[0:1], 0x1b0
	s_load_b32 s43, s[0:1], 0x57c
	s_load_b64 s[10:11], s[0:1], 0x0
	s_load_b32 s3, s[0:1], 0x6c
	;; [unrolled: 2-line block ×3, first 2 shown]
	s_load_b32 s31, s[0:1], 0x21c
	s_load_b64 s[14:15], s[0:1], 0x288
	s_load_b32 s33, s[0:1], 0x2f4
	s_load_b64 s[16:17], s[0:1], 0x360
	;; [unrolled: 2-line block ×3, first 2 shown]
	s_load_b32 s42, s[0:1], 0x4a4
	s_add_nc_u64 s[20:21], s[0:1], 0x6c8
	v_mov_b64_e32 v[2:3], 0x3e928af3fca7ab0c
	s_load_b32 s38, s[20:21], 0x0
	s_wait_xcnt 0x0
	s_clause 0x2
	s_load_b64 s[20:21], s[0:1], 0x510
	s_load_b64 s[22:23], s[0:1], 0x5e8
	s_load_b32 s36, s[0:1], 0x654
	v_mov_b32_e32 v1, 0
	s_mul_i32 s37, s4, 3
	s_mov_b64 s[26:27], 0x3ff71547652b82fe
	s_mov_b64 s[28:29], 0xbfe62e42fefa3000
	s_mov_b32 s44, s7
                                        ; implicit-def: $vgpr4_vgpr5
                                        ; implicit-def: $vgpr4_vgpr5
	;; [unrolled: 1-line block ×8, first 2 shown]
	s_wait_kmcnt 0x0
	v_mul_lo_u32 v39, v38, s6
	s_cmp_lg_u64 s[8:9], 0
	v_mul_lo_u32 v40, v38, s42
	s_cselect_b32 s34, -1, 0
	s_abs_i32 s35, s4
	v_mul_lo_u32 v41, v38, s43
	s_cvt_f32_u32 s24, s35
	s_sub_co_i32 s1, 0, s35
	s_mul_i32 s38, s38, s2
	s_ashr_i32 s39, s4, 31
	v_rcp_iflag_f32_e32 v0, s24
	s_mov_b64 s[24:25], 0xbfe62e42fefa39ef
	s_sub_co_i32 s40, 0, s4
	s_mul_i32 s41, s38, s6
	s_mul_i32 s42, s38, s42
	;; [unrolled: 1-line block ×3, first 2 shown]
	v_nop
	v_readfirstlane_b32 s0, v0
	s_mul_f32 s0, s0, 0x4f7ffffe
	s_delay_alu instid0(SALU_CYCLE_3) | instskip(NEXT) | instid1(SALU_CYCLE_3)
	s_cvt_u32_f32 s0, s0
	s_mul_i32 s1, s1, s0
	s_delay_alu instid0(SALU_CYCLE_1) | instskip(NEXT) | instid1(SALU_CYCLE_1)
	s_mul_hi_u32 s1, s0, s1
	s_add_co_i32 s6, s0, s1
	s_branch .LBB0_4
.LBB0_2:                                ;   in Loop: Header=BB0_4 Depth=1
	v_sub_nc_u32_e32 v8, v8, v10
	v_mad_u32 v9, s40, v9, v38
	s_delay_alu instid0(VALU_DEP_2) | instskip(SKIP_2) | instid1(VALU_DEP_1)
	v_mul_lo_u32 v10, s4, v8
	s_wait_xcnt 0x8
	v_dual_add_nc_u32 v11, 2, v8 :: v_dual_add_nc_u32 v8, 3, v8
	v_mad_u32 v11, s4, v11, v38
	s_delay_alu instid0(VALU_DEP_2) | instskip(SKIP_3) | instid1(VALU_DEP_1)
	v_mad_u32 v8, s4, v8, v38
	v_mul_lo_u32 v45, v9, s31
	v_mul_lo_u32 v49, v9, s33
	v_add3_u32 v10, v10, s4, v38
	v_mul_lo_u32 v46, v10, s31
	v_mul_lo_u32 v47, v11, s31
	;; [unrolled: 1-line block ×6, first 2 shown]
	s_clause 0x3
	global_load_b64 v[28:29], v45, s[8:9] scale_offset
	global_load_b64 v[26:27], v46, s[8:9] scale_offset
	;; [unrolled: 1-line block ×4, first 2 shown]
	s_clause 0x3
	global_load_b64 v[24:25], v49, s[14:15] scale_offset
	global_load_b64 v[22:23], v50, s[14:15] scale_offset
	;; [unrolled: 1-line block ×4, first 2 shown]
.LBB0_3:                                ;   in Loop: Header=BB0_4 Depth=1
	s_wait_loadcnt 0x3
	v_add_f64_e32 v[14:15], v[14:15], v[16:17]
	s_wait_loadcnt 0x2
	v_add_f64_e32 v[30:31], v[30:31], v[32:33]
	v_add_f64_e32 v[18:19], v[18:19], v[20:21]
	s_wait_loadcnt 0x1
	v_add_f64_e32 v[4:5], v[4:5], v[6:7]
	v_mul_lo_u32 v0, v0, s36
	s_wait_xcnt 0x0
	v_dual_add_nc_u32 v38, s38, v38 :: v_dual_add_nc_u32 v39, s41, v39
	v_add_f64_e32 v[14:15], v[14:15], v[26:27]
	v_add_f64_e32 v[16:17], v[18:19], v[28:29]
	;; [unrolled: 1-line block ×3, first 2 shown]
	s_delay_alu instid0(VALU_DEP_3) | instskip(NEXT) | instid1(VALU_DEP_3)
	v_add_f64_e32 v[22:23], v[22:23], v[14:15]
	v_add_f64_e32 v[16:17], v[24:25], v[16:17]
	s_wait_loadcnt 0x0
	s_delay_alu instid0(VALU_DEP_3) | instskip(NEXT) | instid1(VALU_DEP_3)
	v_add_f64_e32 v[4:5], v[8:9], v[4:5]
	v_cmp_ngt_f64_e64 s2, 0xc0900000, v[22:23]
	v_add_f64_e32 v[30:31], v[30:31], v[36:37]
	s_delay_alu instid0(VALU_DEP_4) | instskip(SKIP_2) | instid1(VALU_DEP_4)
	v_mul_f64_e32 v[14:15], 0xbff71547652b82fe, v[16:17]
	v_cmp_nlt_f64_e64 s1, 0x4090cc00, v[16:17]
	v_mul_f64_e32 v[8:9], 0xbff71547652b82fe, v[4:5]
	v_add_f64_e32 v[30:31], v[34:35], v[30:31]
	s_delay_alu instid0(VALU_DEP_4) | instskip(NEXT) | instid1(VALU_DEP_3)
	v_rndne_f64_e32 v[14:15], v[14:15]
	v_rndne_f64_e32 v[8:9], v[8:9]
	s_delay_alu instid0(VALU_DEP_3) | instskip(NEXT) | instid1(VALU_DEP_1)
	v_mul_f64_e64 v[32:33], |v[30:31]|, s[26:27]
	v_rndne_f64_e32 v[32:33], v[32:33]
	s_delay_alu instid0(VALU_DEP_1) | instskip(SKIP_2) | instid1(VALU_DEP_3)
	v_fma_f64 v[34:35], v[32:33], s[28:29], |v[30:31]|
	v_mul_f64_e32 v[36:37], 0x3d53de6af278e000, v[32:33]
	v_cvt_i32_f64_e32 v45, v[32:33]
	v_add_f64_e32 v[46:47], 0, v[34:35]
	s_delay_alu instid0(VALU_DEP_1) | instskip(SKIP_1) | instid1(VALU_DEP_2)
	v_add_f64_e64 v[48:49], v[46:47], -v[36:37]
	v_add_f64_e64 v[34:35], v[34:35], -v[46:47]
	;; [unrolled: 1-line block ×3, first 2 shown]
	s_delay_alu instid0(VALU_DEP_2) | instskip(NEXT) | instid1(VALU_DEP_2)
	v_add_f64_e32 v[34:35], 0, v[34:35]
	v_add_f64_e64 v[36:37], v[46:47], -v[36:37]
	s_delay_alu instid0(VALU_DEP_1) | instskip(SKIP_1) | instid1(VALU_DEP_2)
	v_add_f64_e32 v[34:35], v[34:35], v[36:37]
	v_mul_f64_e32 v[36:37], 0x3ac9cc01f97b57a0, v[32:33]
	v_add_f64_e32 v[46:47], v[48:49], v[34:35]
	s_delay_alu instid0(VALU_DEP_1) | instskip(SKIP_1) | instid1(VALU_DEP_2)
	v_add_f64_e64 v[50:51], v[46:47], -v[36:37]
	v_add_f64_e64 v[48:49], v[48:49], -v[46:47]
	;; [unrolled: 1-line block ×3, first 2 shown]
	s_delay_alu instid0(VALU_DEP_2) | instskip(NEXT) | instid1(VALU_DEP_2)
	v_add_f64_e32 v[34:35], v[34:35], v[48:49]
	v_add_f64_e64 v[36:37], v[46:47], -v[36:37]
	s_delay_alu instid0(VALU_DEP_1) | instskip(NEXT) | instid1(VALU_DEP_1)
	v_add_f64_e32 v[34:35], v[34:35], v[36:37]
	v_add_f64_e32 v[36:37], v[50:51], v[34:35]
	s_delay_alu instid0(VALU_DEP_1) | instskip(SKIP_1) | instid1(VALU_DEP_2)
	v_add_f64_e64 v[46:47], v[50:51], -v[36:37]
	v_mul_f64_e32 v[48:49], v[36:37], v[36:37]
	v_add_f64_e32 v[34:35], v[34:35], v[46:47]
	s_delay_alu instid0(VALU_DEP_2) | instskip(NEXT) | instid1(VALU_DEP_2)
	v_fma_f64 v[46:47], v[36:37], v[36:37], -v[48:49]
	v_add_f64_e32 v[50:51], v[34:35], v[34:35]
	s_delay_alu instid0(VALU_DEP_1) | instskip(SKIP_1) | instid1(VALU_DEP_1)
	v_fmac_f64_e32 v[46:47], v[36:37], v[50:51]
	v_fmamk_f64 v[50:51], v[36:37], 0x3e5ade156a5dcb37, v[2:3]
	v_fmaak_f64 v[50:51], v[36:37], v[50:51], 0x3ec71dee623fde64
	s_delay_alu instid0(VALU_DEP_1) | instskip(NEXT) | instid1(VALU_DEP_1)
	v_fmaak_f64 v[50:51], v[36:37], v[50:51], 0x3efa01997c89e6b0
	v_fmaak_f64 v[50:51], v[36:37], v[50:51], 0x3f2a01a014761f6e
	s_delay_alu instid0(VALU_DEP_1) | instskip(SKIP_1) | instid1(VALU_DEP_2)
	v_fmaak_f64 v[50:51], v[36:37], v[50:51], 0x3f56c16c1852b7b0
	v_add_f64_e32 v[52:53], v[48:49], v[46:47]
	v_fmaak_f64 v[50:51], v[36:37], v[50:51], 0x3f81111111122322
	s_delay_alu instid0(VALU_DEP_1) | instskip(NEXT) | instid1(VALU_DEP_1)
	v_fmaak_f64 v[50:51], v[36:37], v[50:51], 0x3fa55555555502a1
	v_fmaak_f64 v[50:51], v[36:37], v[50:51], 0x3fc5555555555511
	s_delay_alu instid0(VALU_DEP_1) | instskip(SKIP_1) | instid1(VALU_DEP_2)
	v_fmaak_f64 v[50:51], v[36:37], v[50:51], 0x3fe000000000000b
	v_add_f64_e64 v[48:49], v[52:53], -v[48:49]
	v_mul_f64_e32 v[54:55], v[52:53], v[50:51]
	s_delay_alu instid0(VALU_DEP_2) | instskip(NEXT) | instid1(VALU_DEP_2)
	v_add_f64_e64 v[46:47], v[46:47], -v[48:49]
	v_fma_f64 v[48:49], v[52:53], v[50:51], -v[54:55]
	s_delay_alu instid0(VALU_DEP_1) | instskip(NEXT) | instid1(VALU_DEP_1)
	v_fmac_f64_e32 v[48:49], v[46:47], v[50:51]
	v_add_f64_e32 v[46:47], v[54:55], v[48:49]
	s_delay_alu instid0(VALU_DEP_1) | instskip(SKIP_1) | instid1(VALU_DEP_2)
	v_add_f64_e32 v[50:51], v[36:37], v[46:47]
	v_add_f64_e64 v[52:53], v[46:47], -v[54:55]
	v_add_f64_e64 v[36:37], v[50:51], -v[36:37]
	s_delay_alu instid0(VALU_DEP_2) | instskip(NEXT) | instid1(VALU_DEP_2)
	v_add_f64_e64 v[48:49], v[48:49], -v[52:53]
	v_add_f64_e64 v[36:37], v[46:47], -v[36:37]
	s_delay_alu instid0(VALU_DEP_2) | instskip(NEXT) | instid1(VALU_DEP_1)
	v_add_f64_e32 v[34:35], v[34:35], v[48:49]
	v_add_f64_e32 v[34:35], v[34:35], v[36:37]
	s_delay_alu instid0(VALU_DEP_1) | instskip(NEXT) | instid1(VALU_DEP_1)
	v_add_f64_e32 v[36:37], v[50:51], v[34:35]
	v_add_f64_e32 v[46:47], 1.0, v[36:37]
	v_add_f64_e64 v[48:49], v[36:37], -v[50:51]
	s_delay_alu instid0(VALU_DEP_2) | instskip(NEXT) | instid1(VALU_DEP_2)
	v_add_f64_e32 v[50:51], -1.0, v[46:47]
	v_add_f64_e64 v[34:35], v[34:35], -v[48:49]
	s_delay_alu instid0(VALU_DEP_2) | instskip(NEXT) | instid1(VALU_DEP_1)
	v_add_f64_e64 v[36:37], v[36:37], -v[50:51]
	v_add_f64_e32 v[34:35], v[34:35], v[36:37]
	s_delay_alu instid0(VALU_DEP_1) | instskip(NEXT) | instid1(VALU_DEP_1)
	v_add_f64_e32 v[32:33], v[46:47], v[34:35]
	v_ldexp_f64 v[36:37], v[32:33], v45
	v_add_f64_e64 v[32:33], v[32:33], -v[46:47]
	s_delay_alu instid0(VALU_DEP_2) | instskip(NEXT) | instid1(VALU_DEP_1)
	v_rcp_f64_e32 v[48:49], v[36:37]
	v_add_f64_e64 v[32:33], v[34:35], -v[32:33]
	s_delay_alu instid0(VALU_DEP_1) | instskip(SKIP_1) | instid1(TRANS32_DEP_1)
	v_ldexp_f64 v[32:33], v[32:33], v45
	v_cvt_i32_f64_e32 v45, v[14:15]
	v_fma_f64 v[50:51], -v[36:37], v[48:49], 1.0
	s_delay_alu instid0(VALU_DEP_1) | instskip(NEXT) | instid1(VALU_DEP_1)
	v_fmac_f64_e32 v[48:49], v[50:51], v[48:49]
	v_fma_f64 v[50:51], -v[36:37], v[48:49], 1.0
	s_delay_alu instid0(VALU_DEP_1) | instskip(NEXT) | instid1(VALU_DEP_1)
	v_fmac_f64_e32 v[48:49], v[50:51], v[48:49]
	v_mul_f64_e32 v[34:35], v[36:37], v[48:49]
	s_delay_alu instid0(VALU_DEP_1) | instskip(NEXT) | instid1(VALU_DEP_1)
	v_fma_f64 v[46:47], v[48:49], v[36:37], -v[34:35]
	v_fmac_f64_e32 v[46:47], v[48:49], v[32:33]
	s_delay_alu instid0(VALU_DEP_1) | instskip(NEXT) | instid1(VALU_DEP_1)
	v_add_f64_e32 v[50:51], v[34:35], v[46:47]
	v_add_f64_e64 v[52:53], -v[50:51], 1.0
	v_add_f64_e64 v[34:35], v[50:51], -v[34:35]
	s_delay_alu instid0(VALU_DEP_2) | instskip(NEXT) | instid1(VALU_DEP_2)
	v_add_f64_e64 v[54:55], -v[52:53], 1.0
	v_add_f64_e64 v[34:35], v[34:35], -v[46:47]
	s_delay_alu instid0(VALU_DEP_2) | instskip(NEXT) | instid1(VALU_DEP_1)
	v_add_f64_e64 v[46:47], v[54:55], -v[50:51]
	v_add_f64_e32 v[34:35], v[34:35], v[46:47]
	s_delay_alu instid0(VALU_DEP_1) | instskip(NEXT) | instid1(VALU_DEP_1)
	v_add_f64_e32 v[46:47], v[52:53], v[34:35]
	v_mul_f64_e32 v[50:51], v[48:49], v[46:47]
	v_add_f64_e64 v[52:53], v[52:53], -v[46:47]
	s_delay_alu instid0(VALU_DEP_2) | instskip(NEXT) | instid1(VALU_DEP_2)
	v_mul_f64_e32 v[54:55], v[36:37], v[50:51]
	v_add_f64_e32 v[34:35], v[34:35], v[52:53]
	s_delay_alu instid0(VALU_DEP_2) | instskip(NEXT) | instid1(VALU_DEP_1)
	v_fma_f64 v[56:57], v[50:51], v[36:37], -v[54:55]
	v_fmac_f64_e32 v[56:57], v[50:51], v[32:33]
	s_delay_alu instid0(VALU_DEP_1) | instskip(NEXT) | instid1(VALU_DEP_1)
	v_add_f64_e32 v[58:59], v[54:55], v[56:57]
	v_add_f64_e64 v[60:61], v[46:47], -v[58:59]
	v_add_f64_e64 v[52:53], v[58:59], -v[54:55]
	s_delay_alu instid0(VALU_DEP_2) | instskip(NEXT) | instid1(VALU_DEP_2)
	v_add_f64_e64 v[46:47], v[46:47], -v[60:61]
	v_add_f64_e64 v[52:53], v[52:53], -v[56:57]
	s_delay_alu instid0(VALU_DEP_2) | instskip(NEXT) | instid1(VALU_DEP_1)
	v_add_f64_e64 v[46:47], v[46:47], -v[58:59]
	v_add_f64_e32 v[34:35], v[34:35], v[46:47]
	v_add_f64_e32 v[46:47], v[48:49], v[50:51]
	s_delay_alu instid0(VALU_DEP_2) | instskip(NEXT) | instid1(VALU_DEP_2)
	v_add_f64_e32 v[34:35], v[52:53], v[34:35]
	v_add_f64_e64 v[52:53], v[46:47], -v[48:49]
	s_delay_alu instid0(VALU_DEP_2) | instskip(NEXT) | instid1(VALU_DEP_2)
	v_add_f64_e32 v[34:35], v[60:61], v[34:35]
	v_add_f64_e64 v[50:51], v[50:51], -v[52:53]
	s_delay_alu instid0(VALU_DEP_2) | instskip(NEXT) | instid1(VALU_DEP_1)
	v_mul_f64_e32 v[34:35], v[48:49], v[34:35]
	v_add_f64_e32 v[34:35], v[50:51], v[34:35]
	s_delay_alu instid0(VALU_DEP_1) | instskip(NEXT) | instid1(VALU_DEP_1)
	v_add_f64_e32 v[48:49], v[46:47], v[34:35]
	v_add_f64_e32 v[20:21], v[36:37], v[48:49]
	v_add_f64_e64 v[46:47], v[48:49], -v[46:47]
	s_delay_alu instid0(VALU_DEP_2) | instskip(NEXT) | instid1(VALU_DEP_2)
	v_add_f64_e64 v[18:19], v[20:21], -v[36:37]
	v_add_f64_e64 v[28:29], v[34:35], -v[46:47]
	v_add_f64_e64 v[34:35], v[36:37], -v[48:49]
	v_fma_f64 v[46:47], v[14:15], s[24:25], -v[16:17]
	s_delay_alu instid0(VALU_DEP_4) | instskip(NEXT) | instid1(VALU_DEP_4)
	v_add_f64_e64 v[18:19], v[48:49], -v[18:19]
	v_add_f64_e32 v[24:25], v[32:33], v[28:29]
	s_delay_alu instid0(VALU_DEP_4) | instskip(NEXT) | instid1(VALU_DEP_4)
	v_add_f64_e64 v[36:37], v[36:37], -v[34:35]
	v_fmac_f64_e32 v[46:47], 0xbc7abc9e3b39803f, v[14:15]
	s_delay_alu instid0(VALU_DEP_3) | instskip(SKIP_1) | instid1(VALU_DEP_4)
	v_add_f64_e32 v[18:19], v[24:25], v[18:19]
	v_mul_f64_e32 v[24:25], 0xbff71547652b82fe, v[22:23]
	v_add_f64_e64 v[36:37], v[36:37], -v[48:49]
	s_delay_alu instid0(VALU_DEP_4) | instskip(NEXT) | instid1(VALU_DEP_1)
	v_fmamk_f64 v[54:55], v[46:47], 0x3e5ade156a5dcb37, v[2:3]
	v_fmaak_f64 v[54:55], v[46:47], v[54:55], 0x3ec71dee623fde64
	v_add_f64_e32 v[26:27], v[20:21], v[18:19]
	v_rndne_f64_e32 v[24:25], v[24:25]
	v_add_f64_e32 v[32:33], v[32:33], v[36:37]
	s_delay_alu instid0(VALU_DEP_4) | instskip(NEXT) | instid1(VALU_DEP_1)
	v_fmaak_f64 v[36:37], v[46:47], v[54:55], 0x3efa01997c89e6b0
	v_fmaak_f64 v[36:37], v[46:47], v[36:37], 0x3f2a01a014761f6e
	s_delay_alu instid0(VALU_DEP_1) | instskip(NEXT) | instid1(VALU_DEP_1)
	v_fmaak_f64 v[36:37], v[46:47], v[36:37], 0x3f56c16c1852b7b0
	v_fmaak_f64 v[36:37], v[46:47], v[36:37], 0x3f81111111122322
	s_delay_alu instid0(VALU_DEP_1) | instskip(SKIP_4) | instid1(VALU_DEP_4)
	v_fmaak_f64 v[36:37], v[46:47], v[36:37], 0x3fa55555555502a1
	v_rcp_f64_e32 v[50:51], v[26:27]
	v_fma_f64 v[52:53], v[24:25], s[24:25], -v[22:23]
	v_add_f64_e64 v[28:29], v[32:33], -v[28:29]
	v_add_f64_e64 v[20:21], v[26:27], -v[20:21]
	v_fmaak_f64 v[36:37], v[46:47], v[36:37], 0x3fc5555555555511
	s_delay_alu instid0(VALU_DEP_1) | instskip(NEXT) | instid1(VALU_DEP_1)
	v_fmaak_f64 v[36:37], v[46:47], v[36:37], 0x3fe000000000000b
	v_fma_f64 v[36:37], v[46:47], v[36:37], 1.0
	v_fmac_f64_e32 v[52:53], 0xbc7abc9e3b39803f, v[24:25]
	v_add_f64_e32 v[54:55], v[34:35], v[28:29]
	v_add_f64_e64 v[18:19], v[18:19], -v[20:21]
	s_delay_alu instid0(TRANS32_DEP_1) | instskip(SKIP_3) | instid1(VALU_DEP_4)
	v_fma_f64 v[48:49], -v[26:27], v[50:51], 1.0
	v_fma_f64 v[14:15], v[46:47], v[36:37], 1.0
	v_cvt_i32_f64_e32 v46, v[24:25]
	v_add_f64_e64 v[34:35], v[54:55], -v[34:35]
	v_fmac_f64_e32 v[50:51], v[48:49], v[50:51]
	v_fmamk_f64 v[48:49], v[52:53], 0x3e5ade156a5dcb37, v[2:3]
	s_delay_alu instid0(VALU_DEP_1) | instskip(SKIP_1) | instid1(VALU_DEP_2)
	v_fmaak_f64 v[48:49], v[52:53], v[48:49], 0x3ec71dee623fde64
	v_ldexp_f64 v[14:15], v[14:15], v45
	v_fmaak_f64 v[48:49], v[52:53], v[48:49], 0x3efa01997c89e6b0
	s_delay_alu instid0(VALU_DEP_1) | instskip(SKIP_1) | instid1(VALU_DEP_2)
	v_fmaak_f64 v[48:49], v[52:53], v[48:49], 0x3f2a01a014761f6e
	v_add_f64_e64 v[28:29], v[28:29], -v[34:35]
	v_fmaak_f64 v[48:49], v[52:53], v[48:49], 0x3f56c16c1852b7b0
	v_fma_f64 v[32:33], -v[26:27], v[50:51], 1.0
	s_delay_alu instid0(VALU_DEP_2) | instskip(SKIP_1) | instid1(VALU_DEP_3)
	v_fmaak_f64 v[48:49], v[52:53], v[48:49], 0x3f81111111122322
	v_add_f64_e32 v[14:15], 1.0, v[14:15]
	v_fmac_f64_e32 v[50:51], v[32:33], v[50:51]
	s_delay_alu instid0(VALU_DEP_3) | instskip(NEXT) | instid1(VALU_DEP_1)
	v_fmaak_f64 v[32:33], v[52:53], v[48:49], 0x3fa55555555502a1
	v_fmaak_f64 v[32:33], v[52:53], v[32:33], 0x3fc5555555555511
	s_delay_alu instid0(VALU_DEP_1) | instskip(NEXT) | instid1(VALU_DEP_1)
	v_fmaak_f64 v[32:33], v[52:53], v[32:33], 0x3fe000000000000b
	v_fma_f64 v[32:33], v[52:53], v[32:33], 1.0
	v_mul_f64_e32 v[36:37], v[54:55], v[50:51]
	s_delay_alu instid0(VALU_DEP_2) | instskip(NEXT) | instid1(VALU_DEP_2)
	v_fma_f64 v[24:25], v[52:53], v[32:33], 1.0
	v_mul_f64_e32 v[32:33], v[26:27], v[36:37]
	s_delay_alu instid0(VALU_DEP_2) | instskip(NEXT) | instid1(VALU_DEP_2)
	v_ldexp_f64 v[24:25], v[24:25], v46
	v_fma_f64 v[20:21], v[36:37], v[26:27], -v[32:33]
	v_div_scale_f64 v[26:27], null, v[14:15], v[14:15], 1.0
	s_delay_alu instid0(VALU_DEP_3) | instskip(NEXT) | instid1(VALU_DEP_3)
	v_add_f64_e32 v[24:25], 1.0, v[24:25]
	v_fmac_f64_e32 v[20:21], v[36:37], v[18:19]
	s_delay_alu instid0(VALU_DEP_3) | instskip(NEXT) | instid1(VALU_DEP_2)
	v_rcp_f64_e32 v[46:47], v[26:27]
	v_div_scale_f64 v[18:19], null, v[24:25], v[24:25], 1.0
	v_div_scale_f64 v[34:35], s0, 1.0, v[24:25], 1.0
	s_delay_alu instid0(VALU_DEP_3) | instskip(NEXT) | instid1(TRANS32_DEP_1)
	v_add_f64_e32 v[48:49], v[32:33], v[20:21]
	v_fma_f64 v[56:57], -v[26:27], v[46:47], 1.0
	s_delay_alu instid0(VALU_DEP_4) | instskip(NEXT) | instid1(VALU_DEP_2)
	v_rcp_f64_e32 v[52:53], v[18:19]
	v_add_f64_e64 v[58:59], v[54:55], -v[48:49]
	v_add_f64_e64 v[32:33], v[48:49], -v[32:33]
	s_delay_alu instid0(VALU_DEP_3) | instskip(NEXT) | instid1(TRANS32_DEP_1)
	v_fmac_f64_e32 v[46:47], v[46:47], v[56:57]
	v_fma_f64 v[60:61], -v[18:19], v[52:53], 1.0
	s_delay_alu instid0(VALU_DEP_4) | instskip(NEXT) | instid1(VALU_DEP_4)
	v_add_f64_e64 v[56:57], v[54:55], -v[58:59]
	v_add_f64_e64 v[20:21], v[20:21], -v[32:33]
	s_delay_alu instid0(VALU_DEP_3) | instskip(NEXT) | instid1(VALU_DEP_3)
	v_fmac_f64_e32 v[52:53], v[52:53], v[60:61]
	v_add_f64_e64 v[32:33], v[56:57], -v[48:49]
	v_fma_f64 v[48:49], -v[26:27], v[46:47], 1.0
	s_delay_alu instid0(VALU_DEP_3) | instskip(NEXT) | instid1(VALU_DEP_3)
	v_fma_f64 v[54:55], -v[18:19], v[52:53], 1.0
	v_add_f64_e64 v[20:21], v[32:33], -v[20:21]
	v_div_scale_f64 v[32:33], vcc_lo, 1.0, v[14:15], 1.0
	s_delay_alu instid0(VALU_DEP_4) | instskip(NEXT) | instid1(VALU_DEP_4)
	v_fmac_f64_e32 v[46:47], v[46:47], v[48:49]
	v_fmac_f64_e32 v[52:53], v[52:53], v[54:55]
	s_delay_alu instid0(VALU_DEP_4) | instskip(NEXT) | instid1(VALU_DEP_3)
	v_add_f64_e32 v[20:21], v[28:29], v[20:21]
	v_mul_f64_e32 v[28:29], v[32:33], v[46:47]
	s_delay_alu instid0(VALU_DEP_3) | instskip(NEXT) | instid1(VALU_DEP_3)
	v_mul_f64_e32 v[48:49], v[34:35], v[52:53]
	v_add_f64_e32 v[20:21], v[58:59], v[20:21]
	s_delay_alu instid0(VALU_DEP_3) | instskip(NEXT) | instid1(VALU_DEP_3)
	v_fma_f64 v[26:27], -v[26:27], v[28:29], v[32:33]
	v_fma_f64 v[18:19], -v[18:19], v[48:49], v[34:35]
	s_delay_alu instid0(VALU_DEP_3) | instskip(NEXT) | instid1(VALU_DEP_3)
	v_mul_f64_e32 v[20:21], v[50:51], v[20:21]
	v_div_fmas_f64 v[26:27], v[26:27], v[46:47], v[28:29]
	s_mov_b32 vcc_lo, s0
	v_cmp_ngt_f64_e64 s0, 0xc0900000, v[16:17]
	s_delay_alu instid0(VALU_DEP_4) | instskip(SKIP_3) | instid1(VALU_DEP_4)
	v_div_fmas_f64 v[18:19], v[18:19], v[52:53], v[48:49]
	v_cmp_nlt_f64_e64 vcc_lo, 0x40331000, |v[30:31]|
	v_add_f64_e32 v[20:21], v[36:37], v[20:21]
	v_div_fixup_f64 v[26:27], v[26:27], v[14:15], 1.0
	v_div_fixup_f64 v[18:19], v[18:19], v[24:25], 1.0
	s_delay_alu instid0(VALU_DEP_3) | instskip(NEXT) | instid1(VALU_DEP_4)
	v_cndmask_b32_e32 v15, 0x3ff00000, v21, vcc_lo
	v_cndmask_b32_e32 v14, 0, v20, vcc_lo
	v_cmp_gt_f64_e64 vcc_lo, 0x3e400000, |v[30:31]|
	v_and_b32_e32 v16, 0x7fffffff, v31
	v_cndmask_b32_e64 v20, 0, v27, s0
	s_and_b32 s0, s1, s0
	s_delay_alu instid0(VALU_DEP_1)
	v_cndmask_b32_e64 v17, 0x3ff00000, v20, s1
	v_cmp_nlt_f64_e64 s1, 0x4090cc00, v[4:5]
	v_dual_cndmask_b32 v19, 0, v19, s2 :: v_dual_cndmask_b32 v15, v15, v16, vcc_lo
	v_cndmask_b32_e32 v14, v14, v30, vcc_lo
	v_cmp_nlt_f64_e32 vcc_lo, 0x4090cc00, v[22:23]
	v_cndmask_b32_e64 v16, 0, v26, s0
	v_cmp_ngt_f64_e64 s0, 0xc0900000, v[4:5]
	v_bfi_b32 v15, 0x7fffffff, v15, v31
	s_delay_alu instid0(VALU_DEP_1) | instskip(SKIP_3) | instid1(VALU_DEP_1)
	v_mul_f64_e32 v[20:21], v[16:17], v[14:15]
	v_cndmask_b32_e32 v19, 0x3ff00000, v19, vcc_lo
	s_and_b32 vcc_lo, vcc_lo, s2
	v_cndmask_b32_e32 v18, 0, v18, vcc_lo
	v_fmac_f64_e32 v[20:21], v[12:13], v[18:19]
	s_delay_alu instid0(VALU_DEP_1) | instskip(NEXT) | instid1(VALU_DEP_1)
	v_mul_f64_e64 v[12:13], |v[20:21]|, s[26:27]
	v_rndne_f64_e32 v[12:13], v[12:13]
	s_delay_alu instid0(VALU_DEP_1) | instskip(SKIP_1) | instid1(VALU_DEP_2)
	v_fma_f64 v[22:23], v[12:13], s[28:29], |v[20:21]|
	v_mul_f64_e32 v[24:25], 0x3d53de6af278e000, v[12:13]
	v_add_f64_e32 v[26:27], 0, v[22:23]
	s_delay_alu instid0(VALU_DEP_1) | instskip(SKIP_1) | instid1(VALU_DEP_2)
	v_add_f64_e64 v[28:29], v[26:27], -v[24:25]
	v_add_f64_e64 v[22:23], v[22:23], -v[26:27]
	;; [unrolled: 1-line block ×3, first 2 shown]
	s_delay_alu instid0(VALU_DEP_2) | instskip(NEXT) | instid1(VALU_DEP_2)
	v_add_f64_e32 v[22:23], 0, v[22:23]
	v_add_f64_e64 v[24:25], v[26:27], -v[24:25]
	s_delay_alu instid0(VALU_DEP_1) | instskip(SKIP_1) | instid1(VALU_DEP_2)
	v_add_f64_e32 v[22:23], v[22:23], v[24:25]
	v_mul_f64_e32 v[24:25], 0x3ac9cc01f97b57a0, v[12:13]
	v_add_f64_e32 v[26:27], v[28:29], v[22:23]
	s_delay_alu instid0(VALU_DEP_1) | instskip(SKIP_1) | instid1(VALU_DEP_2)
	v_add_f64_e64 v[30:31], v[26:27], -v[24:25]
	v_add_f64_e64 v[28:29], v[28:29], -v[26:27]
	;; [unrolled: 1-line block ×3, first 2 shown]
	s_delay_alu instid0(VALU_DEP_2) | instskip(NEXT) | instid1(VALU_DEP_2)
	v_add_f64_e32 v[22:23], v[22:23], v[28:29]
	v_add_f64_e64 v[24:25], v[26:27], -v[24:25]
	s_delay_alu instid0(VALU_DEP_1) | instskip(NEXT) | instid1(VALU_DEP_1)
	v_add_f64_e32 v[22:23], v[22:23], v[24:25]
	v_add_f64_e32 v[24:25], v[30:31], v[22:23]
	s_delay_alu instid0(VALU_DEP_1) | instskip(SKIP_1) | instid1(VALU_DEP_2)
	v_add_f64_e64 v[26:27], v[30:31], -v[24:25]
	v_mul_f64_e32 v[28:29], v[24:25], v[24:25]
	v_add_f64_e32 v[22:23], v[22:23], v[26:27]
	s_delay_alu instid0(VALU_DEP_2) | instskip(NEXT) | instid1(VALU_DEP_2)
	v_fma_f64 v[26:27], v[24:25], v[24:25], -v[28:29]
	v_add_f64_e32 v[30:31], v[22:23], v[22:23]
	s_delay_alu instid0(VALU_DEP_1) | instskip(SKIP_1) | instid1(VALU_DEP_1)
	v_fmac_f64_e32 v[26:27], v[24:25], v[30:31]
	v_fmamk_f64 v[30:31], v[24:25], 0x3e5ade156a5dcb37, v[2:3]
	v_fmaak_f64 v[30:31], v[24:25], v[30:31], 0x3ec71dee623fde64
	s_delay_alu instid0(VALU_DEP_1) | instskip(NEXT) | instid1(VALU_DEP_1)
	v_fmaak_f64 v[30:31], v[24:25], v[30:31], 0x3efa01997c89e6b0
	v_fmaak_f64 v[30:31], v[24:25], v[30:31], 0x3f2a01a014761f6e
	s_delay_alu instid0(VALU_DEP_1) | instskip(SKIP_1) | instid1(VALU_DEP_2)
	v_fmaak_f64 v[30:31], v[24:25], v[30:31], 0x3f56c16c1852b7b0
	v_add_f64_e32 v[32:33], v[28:29], v[26:27]
	v_fmaak_f64 v[30:31], v[24:25], v[30:31], 0x3f81111111122322
	s_delay_alu instid0(VALU_DEP_1) | instskip(NEXT) | instid1(VALU_DEP_1)
	v_fmaak_f64 v[30:31], v[24:25], v[30:31], 0x3fa55555555502a1
	v_fmaak_f64 v[30:31], v[24:25], v[30:31], 0x3fc5555555555511
	s_delay_alu instid0(VALU_DEP_1) | instskip(SKIP_1) | instid1(VALU_DEP_2)
	v_fmaak_f64 v[30:31], v[24:25], v[30:31], 0x3fe000000000000b
	v_add_f64_e64 v[28:29], v[32:33], -v[28:29]
	v_mul_f64_e32 v[34:35], v[32:33], v[30:31]
	s_delay_alu instid0(VALU_DEP_2) | instskip(NEXT) | instid1(VALU_DEP_2)
	v_add_f64_e64 v[26:27], v[26:27], -v[28:29]
	v_fma_f64 v[28:29], v[32:33], v[30:31], -v[34:35]
	s_delay_alu instid0(VALU_DEP_1) | instskip(NEXT) | instid1(VALU_DEP_1)
	v_fmac_f64_e32 v[28:29], v[26:27], v[30:31]
	v_add_f64_e32 v[26:27], v[34:35], v[28:29]
	s_delay_alu instid0(VALU_DEP_1) | instskip(SKIP_1) | instid1(VALU_DEP_2)
	v_add_f64_e32 v[30:31], v[24:25], v[26:27]
	v_add_f64_e64 v[32:33], v[26:27], -v[34:35]
	v_add_f64_e64 v[24:25], v[30:31], -v[24:25]
	s_delay_alu instid0(VALU_DEP_2) | instskip(SKIP_1) | instid1(VALU_DEP_3)
	v_add_f64_e64 v[28:29], v[28:29], -v[32:33]
	v_cvt_i32_f64_e32 v32, v[12:13]
	v_add_f64_e64 v[24:25], v[26:27], -v[24:25]
	s_delay_alu instid0(VALU_DEP_3) | instskip(NEXT) | instid1(VALU_DEP_1)
	v_add_f64_e32 v[22:23], v[22:23], v[28:29]
	v_add_f64_e32 v[22:23], v[22:23], v[24:25]
	s_delay_alu instid0(VALU_DEP_1) | instskip(NEXT) | instid1(VALU_DEP_1)
	v_add_f64_e32 v[24:25], v[30:31], v[22:23]
	v_add_f64_e32 v[26:27], 1.0, v[24:25]
	v_add_f64_e64 v[28:29], v[24:25], -v[30:31]
	s_delay_alu instid0(VALU_DEP_2) | instskip(NEXT) | instid1(VALU_DEP_2)
	v_add_f64_e32 v[30:31], -1.0, v[26:27]
	v_add_f64_e64 v[22:23], v[22:23], -v[28:29]
	s_delay_alu instid0(VALU_DEP_2) | instskip(NEXT) | instid1(VALU_DEP_1)
	v_add_f64_e64 v[24:25], v[24:25], -v[30:31]
	v_add_f64_e32 v[22:23], v[22:23], v[24:25]
	s_delay_alu instid0(VALU_DEP_1) | instskip(NEXT) | instid1(VALU_DEP_1)
	v_add_f64_e32 v[12:13], v[26:27], v[22:23]
	v_ldexp_f64 v[24:25], v[12:13], v32
	v_add_f64_e64 v[12:13], v[12:13], -v[26:27]
	s_delay_alu instid0(VALU_DEP_2) | instskip(NEXT) | instid1(VALU_DEP_1)
	v_rcp_f64_e32 v[28:29], v[24:25]
	v_add_f64_e64 v[12:13], v[22:23], -v[12:13]
	s_delay_alu instid0(VALU_DEP_1) | instskip(NEXT) | instid1(TRANS32_DEP_1)
	v_ldexp_f64 v[12:13], v[12:13], v32
	v_fma_f64 v[30:31], -v[24:25], v[28:29], 1.0
	s_delay_alu instid0(VALU_DEP_1) | instskip(NEXT) | instid1(VALU_DEP_1)
	v_fmac_f64_e32 v[28:29], v[30:31], v[28:29]
	v_fma_f64 v[30:31], -v[24:25], v[28:29], 1.0
	s_delay_alu instid0(VALU_DEP_1) | instskip(NEXT) | instid1(VALU_DEP_1)
	v_fmac_f64_e32 v[28:29], v[30:31], v[28:29]
	v_mul_f64_e32 v[22:23], v[24:25], v[28:29]
	s_delay_alu instid0(VALU_DEP_1) | instskip(NEXT) | instid1(VALU_DEP_1)
	v_fma_f64 v[26:27], v[28:29], v[24:25], -v[22:23]
	v_fmac_f64_e32 v[26:27], v[28:29], v[12:13]
	s_delay_alu instid0(VALU_DEP_1) | instskip(NEXT) | instid1(VALU_DEP_1)
	v_add_f64_e32 v[30:31], v[22:23], v[26:27]
	v_add_f64_e64 v[32:33], -v[30:31], 1.0
	v_add_f64_e64 v[22:23], v[30:31], -v[22:23]
	s_delay_alu instid0(VALU_DEP_2) | instskip(NEXT) | instid1(VALU_DEP_2)
	v_add_f64_e64 v[34:35], -v[32:33], 1.0
	v_add_f64_e64 v[22:23], v[22:23], -v[26:27]
	s_delay_alu instid0(VALU_DEP_2) | instskip(NEXT) | instid1(VALU_DEP_1)
	v_add_f64_e64 v[26:27], v[34:35], -v[30:31]
	v_add_f64_e32 v[22:23], v[22:23], v[26:27]
	s_delay_alu instid0(VALU_DEP_1) | instskip(NEXT) | instid1(VALU_DEP_1)
	v_add_f64_e32 v[26:27], v[32:33], v[22:23]
	v_mul_f64_e32 v[30:31], v[28:29], v[26:27]
	v_add_f64_e64 v[32:33], v[32:33], -v[26:27]
	s_delay_alu instid0(VALU_DEP_2) | instskip(NEXT) | instid1(VALU_DEP_2)
	v_mul_f64_e32 v[34:35], v[24:25], v[30:31]
	v_add_f64_e32 v[22:23], v[22:23], v[32:33]
	s_delay_alu instid0(VALU_DEP_2) | instskip(NEXT) | instid1(VALU_DEP_1)
	v_fma_f64 v[36:37], v[30:31], v[24:25], -v[34:35]
	v_fmac_f64_e32 v[36:37], v[30:31], v[12:13]
	s_delay_alu instid0(VALU_DEP_1) | instskip(NEXT) | instid1(VALU_DEP_1)
	v_add_f64_e32 v[46:47], v[34:35], v[36:37]
	v_add_f64_e64 v[48:49], v[26:27], -v[46:47]
	v_add_f64_e64 v[32:33], v[46:47], -v[34:35]
	v_fma_f64 v[34:35], v[8:9], s[24:25], -v[4:5]
	v_and_b32_e32 v5, 0x7fffffff, v21
	s_delay_alu instid0(VALU_DEP_4) | instskip(NEXT) | instid1(VALU_DEP_4)
	v_add_f64_e64 v[26:27], v[26:27], -v[48:49]
	v_add_f64_e64 v[32:33], v[32:33], -v[36:37]
	s_delay_alu instid0(VALU_DEP_4) | instskip(NEXT) | instid1(VALU_DEP_3)
	v_fmac_f64_e32 v[34:35], 0xbc7abc9e3b39803f, v[8:9]
	v_add_f64_e64 v[26:27], v[26:27], -v[46:47]
	s_delay_alu instid0(VALU_DEP_2) | instskip(NEXT) | instid1(VALU_DEP_2)
	v_fmamk_f64 v[36:37], v[34:35], 0x3e5ade156a5dcb37, v[2:3]
	v_add_f64_e32 v[22:23], v[22:23], v[26:27]
	v_add_f64_e32 v[26:27], v[28:29], v[30:31]
	s_delay_alu instid0(VALU_DEP_2) | instskip(NEXT) | instid1(VALU_DEP_2)
	v_add_f64_e32 v[22:23], v[32:33], v[22:23]
	v_add_f64_e64 v[32:33], v[26:27], -v[28:29]
	s_delay_alu instid0(VALU_DEP_2) | instskip(NEXT) | instid1(VALU_DEP_2)
	v_add_f64_e32 v[22:23], v[48:49], v[22:23]
	v_add_f64_e64 v[30:31], v[30:31], -v[32:33]
	s_delay_alu instid0(VALU_DEP_2) | instskip(NEXT) | instid1(VALU_DEP_1)
	v_mul_f64_e32 v[22:23], v[28:29], v[22:23]
	v_add_f64_e32 v[22:23], v[30:31], v[22:23]
	s_delay_alu instid0(VALU_DEP_1) | instskip(NEXT) | instid1(VALU_DEP_1)
	v_add_f64_e32 v[28:29], v[26:27], v[22:23]
	v_add_f64_e32 v[30:31], v[24:25], v[28:29]
	v_add_f64_e64 v[26:27], v[28:29], -v[26:27]
	s_delay_alu instid0(VALU_DEP_2) | instskip(NEXT) | instid1(VALU_DEP_2)
	v_add_f64_e64 v[6:7], v[30:31], -v[24:25]
	v_add_f64_e64 v[22:23], v[22:23], -v[26:27]
	;; [unrolled: 1-line block ×3, first 2 shown]
	s_delay_alu instid0(VALU_DEP_3) | instskip(NEXT) | instid1(VALU_DEP_3)
	v_add_f64_e64 v[6:7], v[28:29], -v[6:7]
	v_add_f64_e32 v[10:11], v[12:13], v[22:23]
	s_delay_alu instid0(VALU_DEP_3) | instskip(NEXT) | instid1(VALU_DEP_2)
	v_add_f64_e64 v[24:25], v[24:25], -v[26:27]
	v_add_f64_e32 v[6:7], v[10:11], v[6:7]
	s_delay_alu instid0(VALU_DEP_2) | instskip(NEXT) | instid1(VALU_DEP_2)
	v_add_f64_e64 v[24:25], v[24:25], -v[28:29]
	v_add_f64_e32 v[10:11], v[30:31], v[6:7]
	s_delay_alu instid0(VALU_DEP_2) | instskip(SKIP_2) | instid1(VALU_DEP_2)
	v_add_f64_e32 v[12:13], v[12:13], v[24:25]
	v_fmaak_f64 v[24:25], v[34:35], v[36:37], 0x3ec71dee623fde64
	v_cvt_i32_f64_e32 v36, v[8:9]
	v_fmaak_f64 v[24:25], v[34:35], v[24:25], 0x3efa01997c89e6b0
	s_delay_alu instid0(VALU_DEP_1) | instskip(NEXT) | instid1(VALU_DEP_1)
	v_fmaak_f64 v[24:25], v[34:35], v[24:25], 0x3f2a01a014761f6e
	v_fmaak_f64 v[24:25], v[34:35], v[24:25], 0x3f56c16c1852b7b0
	s_delay_alu instid0(VALU_DEP_1) | instskip(SKIP_2) | instid1(VALU_DEP_2)
	v_fmaak_f64 v[24:25], v[34:35], v[24:25], 0x3f81111111122322
	v_rcp_f64_e32 v[32:33], v[10:11]
	v_add_f64_e64 v[12:13], v[12:13], -v[22:23]
	v_fmaak_f64 v[24:25], v[34:35], v[24:25], 0x3fa55555555502a1
	s_delay_alu instid0(VALU_DEP_1) | instskip(NEXT) | instid1(VALU_DEP_1)
	v_fmaak_f64 v[24:25], v[34:35], v[24:25], 0x3fc5555555555511
	v_fmaak_f64 v[24:25], v[34:35], v[24:25], 0x3fe000000000000b
	s_delay_alu instid0(VALU_DEP_1) | instskip(NEXT) | instid1(TRANS32_DEP_1)
	v_fma_f64 v[24:25], v[34:35], v[24:25], 1.0
	v_fma_f64 v[28:29], -v[10:11], v[32:33], 1.0
	s_delay_alu instid0(VALU_DEP_2) | instskip(SKIP_1) | instid1(VALU_DEP_3)
	v_fma_f64 v[8:9], v[34:35], v[24:25], 1.0
	v_add_f64_e64 v[24:25], v[10:11], -v[30:31]
	v_fmac_f64_e32 v[32:33], v[28:29], v[32:33]
	v_add_f64_e32 v[28:29], v[26:27], v[12:13]
	s_delay_alu instid0(VALU_DEP_4) | instskip(NEXT) | instid1(VALU_DEP_4)
	v_ldexp_f64 v[8:9], v[8:9], v36
	v_add_f64_e64 v[6:7], v[6:7], -v[24:25]
	s_delay_alu instid0(VALU_DEP_4) | instskip(NEXT) | instid1(VALU_DEP_4)
	v_fma_f64 v[22:23], -v[10:11], v[32:33], 1.0
	v_add_f64_e64 v[26:27], v[28:29], -v[26:27]
	s_delay_alu instid0(VALU_DEP_4) | instskip(NEXT) | instid1(VALU_DEP_3)
	v_add_f64_e32 v[8:9], 1.0, v[8:9]
	v_fmac_f64_e32 v[32:33], v[22:23], v[32:33]
	s_delay_alu instid0(VALU_DEP_3) | instskip(NEXT) | instid1(VALU_DEP_3)
	v_add_f64_e64 v[12:13], v[12:13], -v[26:27]
	v_div_scale_f64 v[24:25], null, v[8:9], v[8:9], 1.0
	v_div_scale_f64 v[26:27], vcc_lo, 1.0, v[8:9], 1.0
	s_delay_alu instid0(VALU_DEP_4) | instskip(NEXT) | instid1(VALU_DEP_1)
	v_mul_f64_e32 v[22:23], v[28:29], v[32:33]
	v_mul_f64_e32 v[30:31], v[10:11], v[22:23]
	s_delay_alu instid0(VALU_DEP_1) | instskip(NEXT) | instid1(VALU_DEP_1)
	v_fma_f64 v[10:11], v[22:23], v[10:11], -v[30:31]
	v_fmac_f64_e32 v[10:11], v[22:23], v[6:7]
	v_rcp_f64_e32 v[6:7], v[24:25]
	s_delay_alu instid0(VALU_DEP_1) | instskip(NEXT) | instid1(TRANS32_DEP_1)
	v_add_f64_e32 v[34:35], v[30:31], v[10:11]
	v_fma_f64 v[46:47], -v[24:25], v[6:7], 1.0
	s_delay_alu instid0(VALU_DEP_2) | instskip(SKIP_1) | instid1(VALU_DEP_3)
	v_add_f64_e64 v[36:37], v[28:29], -v[34:35]
	v_add_f64_e64 v[30:31], v[34:35], -v[30:31]
	v_fmac_f64_e32 v[6:7], v[6:7], v[46:47]
	s_delay_alu instid0(VALU_DEP_3) | instskip(NEXT) | instid1(VALU_DEP_3)
	v_add_f64_e64 v[48:49], v[28:29], -v[36:37]
	v_add_f64_e64 v[10:11], v[10:11], -v[30:31]
	s_delay_alu instid0(VALU_DEP_3) | instskip(NEXT) | instid1(VALU_DEP_3)
	v_fma_f64 v[30:31], -v[24:25], v[6:7], 1.0
	v_add_f64_e64 v[28:29], v[48:49], -v[34:35]
	s_delay_alu instid0(VALU_DEP_2) | instskip(NEXT) | instid1(VALU_DEP_2)
	v_fmac_f64_e32 v[6:7], v[6:7], v[30:31]
	v_add_f64_e64 v[10:11], v[28:29], -v[10:11]
	s_delay_alu instid0(VALU_DEP_1) | instskip(NEXT) | instid1(VALU_DEP_3)
	v_add_f64_e32 v[10:11], v[12:13], v[10:11]
	v_mul_f64_e32 v[12:13], v[26:27], v[6:7]
	s_delay_alu instid0(VALU_DEP_2) | instskip(NEXT) | instid1(VALU_DEP_2)
	v_add_f64_e32 v[10:11], v[36:37], v[10:11]
	v_fma_f64 v[24:25], -v[24:25], v[12:13], v[26:27]
	s_delay_alu instid0(VALU_DEP_2) | instskip(NEXT) | instid1(VALU_DEP_2)
	v_mul_f64_e32 v[10:11], v[32:33], v[10:11]
	v_div_fmas_f64 v[6:7], v[24:25], v[6:7], v[12:13]
	v_cmp_nlt_f64_e64 vcc_lo, 0x40331000, |v[20:21]|
	s_delay_alu instid0(VALU_DEP_3) | instskip(NEXT) | instid1(VALU_DEP_3)
	v_add_f64_e32 v[10:11], v[22:23], v[10:11]
	v_div_fixup_f64 v[6:7], v[6:7], v[8:9], 1.0
	s_delay_alu instid0(VALU_DEP_2) | instskip(NEXT) | instid1(VALU_DEP_3)
	v_cndmask_b32_e32 v8, 0x3ff00000, v11, vcc_lo
	v_cndmask_b32_e32 v9, 0, v10, vcc_lo
	v_cmp_gt_f64_e64 vcc_lo, 0x3e400000, |v[20:21]|
	s_delay_alu instid0(VALU_DEP_4) | instskip(SKIP_1) | instid1(VALU_DEP_2)
	v_cndmask_b32_e64 v7, 0, v7, s0
	v_mul_lo_u32 v10, v42, s36
	v_cndmask_b32_e64 v7, 0x3ff00000, v7, s1
	v_dual_cndmask_b32 v5, v8, v5 :: v_dual_cndmask_b32 v4, v9, v20
	s_and_b32 vcc_lo, s1, s0
	v_mul_lo_u32 v8, v43, s36
	v_cndmask_b32_e32 v6, 0, v6, vcc_lo
	s_delay_alu instid0(VALU_DEP_3) | instskip(SKIP_2) | instid1(VALU_DEP_3)
	v_bfi_b32 v5, 0x7fffffff, v5, v21
	v_mul_lo_u32 v9, v44, s36
	v_cmp_le_i32_e32 vcc_lo, s5, v38
	v_mul_f64_e32 v[4:5], v[6:7], v[4:5]
	global_store_b64 v40, v[4:5], s[18:19] scale_offset
	global_store_b64 v41, v[20:21], s[20:21] scale_offset
	;; [unrolled: 1-line block ×3, first 2 shown]
	s_wait_xcnt 0x1
	v_dual_add_nc_u32 v40, s42, v40 :: v_dual_add_nc_u32 v41, s43, v41
	s_or_b32 s44, vcc_lo, s44
	s_clause 0x2
	global_store_b64 v9, v[18:19], s[22:23] scale_offset
	global_store_b64 v0, v[14:15], s[22:23] scale_offset
	;; [unrolled: 1-line block ×3, first 2 shown]
	s_wait_xcnt 0x0
	s_and_not1_b32 exec_lo, exec_lo, s44
	s_cbranch_execz .LBB0_6
.LBB0_4:                                ; =>This Inner Loop Header: Depth=1
	v_sub_nc_u32_e32 v0, 0, v38
	s_delay_alu instid0(VALU_DEP_1) | instskip(NEXT) | instid1(VALU_DEP_1)
	v_max_i32_e32 v0, v38, v0
	v_mul_u64_e32 v[4:5], s[6:7], v[0:1]
	s_delay_alu instid0(VALU_DEP_1) | instskip(NEXT) | instid1(VALU_DEP_1)
	v_mul_lo_u32 v4, v5, s35
	v_dual_sub_nc_u32 v0, v0, v4 :: v_dual_add_nc_u32 v4, 1, v5
	s_delay_alu instid0(VALU_DEP_1) | instskip(NEXT) | instid1(VALU_DEP_2)
	v_cmp_le_u32_e32 vcc_lo, s35, v0
	v_cndmask_b32_e32 v4, v5, v4, vcc_lo
	v_subrev_nc_u32_e32 v6, s35, v0
	v_ashrrev_i32_e32 v5, 31, v38
	s_delay_alu instid0(VALU_DEP_2) | instskip(NEXT) | instid1(VALU_DEP_1)
	v_dual_cndmask_b32 v0, v0, v6, vcc_lo :: v_dual_add_nc_u32 v6, 1, v4
	v_cmp_le_u32_e32 vcc_lo, s35, v0
	s_delay_alu instid0(VALU_DEP_2) | instskip(SKIP_1) | instid1(VALU_DEP_1)
	v_dual_cndmask_b32 v0, v4, v6, vcc_lo :: v_dual_bitop2_b32 v8, s39, v5 bitop3:0x14
	s_and_not1_b32 vcc_lo, exec_lo, s34
	v_xor_b32_e32 v10, v0, v8
	v_mul_i32_i24_e32 v0, 3, v8
	s_delay_alu instid0(VALU_DEP_2) | instskip(SKIP_1) | instid1(VALU_DEP_2)
	v_lshl_add_u32 v4, v10, 1, v10
	v_sub_nc_u32_e32 v9, v10, v8
	v_sub_nc_u32_e32 v0, v4, v0
	s_delay_alu instid0(VALU_DEP_2) | instskip(NEXT) | instid1(VALU_DEP_2)
	v_mad_u32 v43, s37, v9, v38
	v_mul_lo_u32 v4, s4, v0
	v_dual_add_nc_u32 v5, 2, v0 :: v_dual_add_nc_u32 v6, 3, v0
	s_delay_alu instid0(VALU_DEP_1) | instskip(NEXT) | instid1(VALU_DEP_2)
	v_mad_u32 v0, s4, v5, v38
	v_mad_u32 v42, s4, v6, v38
	v_mul_lo_u32 v11, v43, s3
	v_mul_lo_u32 v25, v43, s30
	v_add3_u32 v44, v4, s4, v38
	s_delay_alu instid0(VALU_DEP_1)
	v_mul_lo_u32 v22, v44, s3
	v_mul_lo_u32 v23, v0, s3
	;; [unrolled: 1-line block ×6, first 2 shown]
	s_clause 0x3
	global_load_b64 v[18:19], v11, s[10:11] scale_offset
	global_load_b64 v[14:15], v22, s[10:11] scale_offset
	;; [unrolled: 1-line block ×4, first 2 shown]
	s_clause 0x3
	global_load_b64 v[20:21], v25, s[12:13] scale_offset
	global_load_b64 v[16:17], v26, s[12:13] scale_offset
	;; [unrolled: 1-line block ×5, first 2 shown]
	s_cbranch_vccz .LBB0_2
; %bb.5:                                ;   in Loop: Header=BB0_4 Depth=1
	s_wait_xcnt 0x6
	v_mov_b64_e32 v[22:23], 0
	v_mov_b64_e32 v[34:35], 0
	;; [unrolled: 1-line block ×3, first 2 shown]
	s_wait_xcnt 0x4
	v_mov_b64_e32 v[24:25], 0
	v_mov_b64_e32 v[10:11], 0
	;; [unrolled: 1-line block ×3, first 2 shown]
	s_wait_xcnt 0x2
	v_mov_b64_e32 v[26:27], 0
	s_wait_xcnt 0x1
	v_mov_b64_e32 v[28:29], 0
	s_branch .LBB0_3
.LBB0_6:
	s_endpgm
	.section	.rodata,"a",@progbits
	.p2align	6, 0x0
	.amdhsa_kernel _ZN2at6native12_GLOBAL__N_16kernel17lstm_cell_forwardIddiLi1EEEvNS_4cuda6detail10TensorInfoIT_T1_EES9_S9_S9_S9_S9_S9_S9_S8_S8_
		.amdhsa_group_segment_fixed_size 0
		.amdhsa_private_segment_fixed_size 0
		.amdhsa_kernarg_size 1992
		.amdhsa_user_sgpr_count 2
		.amdhsa_user_sgpr_dispatch_ptr 0
		.amdhsa_user_sgpr_queue_ptr 0
		.amdhsa_user_sgpr_kernarg_segment_ptr 1
		.amdhsa_user_sgpr_dispatch_id 0
		.amdhsa_user_sgpr_kernarg_preload_length 0
		.amdhsa_user_sgpr_kernarg_preload_offset 0
		.amdhsa_user_sgpr_private_segment_size 0
		.amdhsa_wavefront_size32 1
		.amdhsa_uses_dynamic_stack 0
		.amdhsa_enable_private_segment 0
		.amdhsa_system_sgpr_workgroup_id_x 1
		.amdhsa_system_sgpr_workgroup_id_y 0
		.amdhsa_system_sgpr_workgroup_id_z 0
		.amdhsa_system_sgpr_workgroup_info 0
		.amdhsa_system_vgpr_workitem_id 0
		.amdhsa_next_free_vgpr 62
		.amdhsa_next_free_sgpr 45
		.amdhsa_named_barrier_count 0
		.amdhsa_reserve_vcc 1
		.amdhsa_float_round_mode_32 0
		.amdhsa_float_round_mode_16_64 0
		.amdhsa_float_denorm_mode_32 3
		.amdhsa_float_denorm_mode_16_64 3
		.amdhsa_fp16_overflow 0
		.amdhsa_memory_ordered 1
		.amdhsa_forward_progress 1
		.amdhsa_inst_pref_size 38
		.amdhsa_round_robin_scheduling 0
		.amdhsa_exception_fp_ieee_invalid_op 0
		.amdhsa_exception_fp_denorm_src 0
		.amdhsa_exception_fp_ieee_div_zero 0
		.amdhsa_exception_fp_ieee_overflow 0
		.amdhsa_exception_fp_ieee_underflow 0
		.amdhsa_exception_fp_ieee_inexact 0
		.amdhsa_exception_int_div_zero 0
	.end_amdhsa_kernel
	.section	.text._ZN2at6native12_GLOBAL__N_16kernel17lstm_cell_forwardIddiLi1EEEvNS_4cuda6detail10TensorInfoIT_T1_EES9_S9_S9_S9_S9_S9_S9_S8_S8_,"axG",@progbits,_ZN2at6native12_GLOBAL__N_16kernel17lstm_cell_forwardIddiLi1EEEvNS_4cuda6detail10TensorInfoIT_T1_EES9_S9_S9_S9_S9_S9_S9_S8_S8_,comdat
.Lfunc_end0:
	.size	_ZN2at6native12_GLOBAL__N_16kernel17lstm_cell_forwardIddiLi1EEEvNS_4cuda6detail10TensorInfoIT_T1_EES9_S9_S9_S9_S9_S9_S9_S8_S8_, .Lfunc_end0-_ZN2at6native12_GLOBAL__N_16kernel17lstm_cell_forwardIddiLi1EEEvNS_4cuda6detail10TensorInfoIT_T1_EES9_S9_S9_S9_S9_S9_S9_S8_S8_
                                        ; -- End function
	.set _ZN2at6native12_GLOBAL__N_16kernel17lstm_cell_forwardIddiLi1EEEvNS_4cuda6detail10TensorInfoIT_T1_EES9_S9_S9_S9_S9_S9_S9_S8_S8_.num_vgpr, 62
	.set _ZN2at6native12_GLOBAL__N_16kernel17lstm_cell_forwardIddiLi1EEEvNS_4cuda6detail10TensorInfoIT_T1_EES9_S9_S9_S9_S9_S9_S9_S8_S8_.num_agpr, 0
	.set _ZN2at6native12_GLOBAL__N_16kernel17lstm_cell_forwardIddiLi1EEEvNS_4cuda6detail10TensorInfoIT_T1_EES9_S9_S9_S9_S9_S9_S9_S8_S8_.numbered_sgpr, 45
	.set _ZN2at6native12_GLOBAL__N_16kernel17lstm_cell_forwardIddiLi1EEEvNS_4cuda6detail10TensorInfoIT_T1_EES9_S9_S9_S9_S9_S9_S9_S8_S8_.num_named_barrier, 0
	.set _ZN2at6native12_GLOBAL__N_16kernel17lstm_cell_forwardIddiLi1EEEvNS_4cuda6detail10TensorInfoIT_T1_EES9_S9_S9_S9_S9_S9_S9_S8_S8_.private_seg_size, 0
	.set _ZN2at6native12_GLOBAL__N_16kernel17lstm_cell_forwardIddiLi1EEEvNS_4cuda6detail10TensorInfoIT_T1_EES9_S9_S9_S9_S9_S9_S9_S8_S8_.uses_vcc, 1
	.set _ZN2at6native12_GLOBAL__N_16kernel17lstm_cell_forwardIddiLi1EEEvNS_4cuda6detail10TensorInfoIT_T1_EES9_S9_S9_S9_S9_S9_S9_S8_S8_.uses_flat_scratch, 0
	.set _ZN2at6native12_GLOBAL__N_16kernel17lstm_cell_forwardIddiLi1EEEvNS_4cuda6detail10TensorInfoIT_T1_EES9_S9_S9_S9_S9_S9_S9_S8_S8_.has_dyn_sized_stack, 0
	.set _ZN2at6native12_GLOBAL__N_16kernel17lstm_cell_forwardIddiLi1EEEvNS_4cuda6detail10TensorInfoIT_T1_EES9_S9_S9_S9_S9_S9_S9_S8_S8_.has_recursion, 0
	.set _ZN2at6native12_GLOBAL__N_16kernel17lstm_cell_forwardIddiLi1EEEvNS_4cuda6detail10TensorInfoIT_T1_EES9_S9_S9_S9_S9_S9_S9_S8_S8_.has_indirect_call, 0
	.section	.AMDGPU.csdata,"",@progbits
; Kernel info:
; codeLenInByte = 4760
; TotalNumSgprs: 47
; NumVgprs: 62
; ScratchSize: 0
; MemoryBound: 0
; FloatMode: 240
; IeeeMode: 1
; LDSByteSize: 0 bytes/workgroup (compile time only)
; SGPRBlocks: 0
; VGPRBlocks: 3
; NumSGPRsForWavesPerEU: 47
; NumVGPRsForWavesPerEU: 62
; NamedBarCnt: 0
; Occupancy: 16
; WaveLimiterHint : 1
; COMPUTE_PGM_RSRC2:SCRATCH_EN: 0
; COMPUTE_PGM_RSRC2:USER_SGPR: 2
; COMPUTE_PGM_RSRC2:TRAP_HANDLER: 0
; COMPUTE_PGM_RSRC2:TGID_X_EN: 1
; COMPUTE_PGM_RSRC2:TGID_Y_EN: 0
; COMPUTE_PGM_RSRC2:TGID_Z_EN: 0
; COMPUTE_PGM_RSRC2:TIDIG_COMP_CNT: 0
	.section	.text._ZN2at6native12_GLOBAL__N_16kernel17lstm_cell_forwardIddiLi2EEEvNS_4cuda6detail10TensorInfoIT_T1_EES9_S9_S9_S9_S9_S9_S9_S8_S8_,"axG",@progbits,_ZN2at6native12_GLOBAL__N_16kernel17lstm_cell_forwardIddiLi2EEEvNS_4cuda6detail10TensorInfoIT_T1_EES9_S9_S9_S9_S9_S9_S9_S8_S8_,comdat
	.globl	_ZN2at6native12_GLOBAL__N_16kernel17lstm_cell_forwardIddiLi2EEEvNS_4cuda6detail10TensorInfoIT_T1_EES9_S9_S9_S9_S9_S9_S9_S8_S8_ ; -- Begin function _ZN2at6native12_GLOBAL__N_16kernel17lstm_cell_forwardIddiLi2EEEvNS_4cuda6detail10TensorInfoIT_T1_EES9_S9_S9_S9_S9_S9_S9_S8_S8_
	.p2align	8
	.type	_ZN2at6native12_GLOBAL__N_16kernel17lstm_cell_forwardIddiLi2EEEvNS_4cuda6detail10TensorInfoIT_T1_EES9_S9_S9_S9_S9_S9_S9_S8_S8_,@function
_ZN2at6native12_GLOBAL__N_16kernel17lstm_cell_forwardIddiLi2EEEvNS_4cuda6detail10TensorInfoIT_T1_EES9_S9_S9_S9_S9_S9_S9_S8_S8_: ; @_ZN2at6native12_GLOBAL__N_16kernel17lstm_cell_forwardIddiLi2EEEvNS_4cuda6detail10TensorInfoIT_T1_EES9_S9_S9_S9_S9_S9_S9_S8_S8_
; %bb.0:
	s_clause 0x1
	s_load_b32 s2, s[0:1], 0x6d4
	s_load_b64 s[6:7], s[0:1], 0x6c0
	s_bfe_u32 s3, ttmp6, 0x4000c
	s_and_b32 s4, ttmp6, 15
	s_add_co_i32 s3, s3, 1
	s_getreg_b32 s5, hwreg(HW_REG_IB_STS2, 6, 4)
	s_mul_i32 s3, ttmp9, s3
	s_mov_b32 s9, 0
	s_add_co_i32 s4, s4, s3
	s_wait_kmcnt 0x0
	s_and_b32 s2, s2, 0xffff
	s_cmp_eq_u32 s5, 0
	s_cselect_b32 s3, ttmp9, s4
	s_delay_alu instid0(SALU_CYCLE_1) | instskip(SKIP_1) | instid1(VALU_DEP_1)
	v_mad_u32 v46, s3, s2, v0
	s_mov_b32 s3, exec_lo
	v_cmpx_gt_i32_e64 s7, v46
	s_cbranch_execz .LBB1_6
; %bb.1:
	s_clause 0x1
	s_load_b64 s[10:11], s[0:1], 0x1b0
	s_load_b32 s5, s[0:1], 0xc
	s_add_nc_u64 s[24:25], s[0:1], 0x6c8
	s_clause 0x5
	s_load_b64 s[12:13], s[0:1], 0x0
	s_load_b64 s[14:15], s[0:1], 0x6c
	;; [unrolled: 1-line block ×3, first 2 shown]
	s_load_b32 s33, s[0:1], 0xe4
	s_load_b64 s[18:19], s[0:1], 0x144
	s_load_b32 s58, s[0:1], 0x21c
	s_load_b32 s64, s[24:25], 0x0
	s_clause 0x4
	s_load_b64 s[20:21], s[0:1], 0x288
	s_load_b32 s59, s[0:1], 0x2f4
	s_load_b64 s[22:23], s[0:1], 0x360
	s_load_b32 s3, s[0:1], 0x36c
	s_load_b32 s60, s[0:1], 0x5f4
	s_wait_xcnt 0x0
	s_clause 0x3
	s_load_b64 s[24:25], s[0:1], 0x3cc
	s_load_b64 s[26:27], s[0:1], 0x438
	s_load_b32 s80, s[0:1], 0x444
	s_load_b64 s[28:29], s[0:1], 0x4a4
	v_mov_b32_e32 v3, 0
	s_mov_b32 s43, s9
	s_mov_b32 s47, s9
	s_mov_b32 s51, s9
	s_mul_i32 s77, s6, 3
	s_mov_b64 s[52:53], 0xbfe62e42fefa39ef
	s_mov_b64 s[54:55], 0x3ff71547652b82fe
	;; [unrolled: 1-line block ×3, first 2 shown]
	s_mov_b32 s82, s9
                                        ; implicit-def: $vgpr4_vgpr5
                                        ; implicit-def: $vgpr4_vgpr5
	;; [unrolled: 1-line block ×8, first 2 shown]
	s_wait_kmcnt 0x0
	s_mul_i32 s64, s64, s2
	s_cmp_lg_u64 s[10:11], 0
	s_cselect_b32 s61, -1, 0
	s_abs_i32 s62, s6
	s_abs_i32 s63, s5
	s_cvt_f32_u32 s4, s62
	s_cvt_f32_u32 s8, s63
	s_abs_i32 s66, s33
	s_abs_i32 s68, s60
	v_rcp_iflag_f32_e32 v0, s4
	v_rcp_iflag_f32_e32 v1, s8
	s_clause 0x4
	s_load_b64 s[30:31], s[0:1], 0x510
	s_load_b32 s4, s[0:1], 0x51c
	s_load_b64 s[34:35], s[0:1], 0x57c
	s_load_b64 s[36:37], s[0:1], 0x5e8
	;; [unrolled: 1-line block ×3, first 2 shown]
	s_wait_xcnt 0x0
	s_cvt_f32_u32 s1, s66
	s_sub_co_i32 s8, 0, s62
	s_cvt_f32_u32 s41, s68
	s_abs_i32 s69, s3
	v_readfirstlane_b32 s0, v0
	v_readfirstlane_b32 s2, v1
	v_rcp_iflag_f32_e32 v0, s1
	s_abs_i32 s71, s80
	s_sub_co_i32 s44, 0, s68
	s_mul_f32 s0, s0, 0x4f7ffffe
	s_mul_f32 s1, s2, 0x4f7ffffe
	s_sub_co_i32 s2, 0, s63
	s_sub_co_i32 s45, 0, s69
	s_cvt_u32_f32 s0, s0
	s_cvt_u32_f32 s1, s1
	v_nop
	v_readfirstlane_b32 s40, v0
	v_rcp_iflag_f32_e32 v0, s41
	s_mul_i32 s8, s8, s0
	s_mul_i32 s2, s2, s1
	s_mul_hi_u32 s8, s0, s8
	s_wait_kmcnt 0x0
	s_abs_i32 s73, s4
	s_add_co_i32 s8, s0, s8
	s_mul_hi_u32 s0, s1, s2
	s_mul_f32 s2, s40, 0x4f7ffffe
	s_add_co_i32 s40, s1, s0
	s_cvt_f32_u32 s1, s69
	s_sub_co_i32 s49, 0, s73
	s_cvt_u32_f32 s0, s2
	s_sub_co_i32 s2, 0, s66
	v_rcp_iflag_f32_e32 v1, s1
	v_nop
	v_readfirstlane_b32 s1, v0
	s_mul_i32 s2, s2, s0
	s_ashr_i32 s65, s6, 31
	s_mul_hi_u32 s2, s0, s2
	s_ashr_i32 s67, s5, 31
	s_add_co_i32 s42, s0, s2
	s_cvt_f32_u32 s2, s71
	s_mul_f32 s0, s1, 0x4f7ffffe
	v_readfirstlane_b32 s1, v1
	s_mov_b32 s41, s9
	v_rcp_iflag_f32_e32 v0, s2
	s_cvt_f32_u32 s2, s73
	s_cvt_u32_f32 s0, s0
	s_mul_f32 s1, s1, 0x4f7ffffe
	s_ashr_i32 s70, s33, 31
	v_rcp_iflag_f32_e32 v1, s2
	s_mul_i32 s44, s44, s0
	v_nop
	v_readfirstlane_b32 s2, v0
	s_cvt_u32_f32 s1, s1
	s_mul_hi_u32 s44, s0, s44
	s_ashr_i32 s72, s60, 31
	s_add_co_i32 s44, s0, s44
	v_readfirstlane_b32 s48, v1
	s_mul_i32 s0, s45, s1
	s_mul_f32 s2, s2, 0x4f7ffffe
	s_mul_hi_u32 s0, s1, s0
	v_mov_b64_e32 v[0:1], 0x3e928af3fca7ab0c
	s_add_co_i32 s46, s1, s0
	s_cvt_u32_f32 s0, s2
	s_mul_f32 s1, s48, 0x4f7ffffe
	s_sub_co_i32 s2, 0, s71
	s_mov_b32 s45, s9
	s_mul_i32 s2, s2, s0
	s_cvt_u32_f32 s1, s1
	s_mul_hi_u32 s2, s0, s2
	s_ashr_i32 s74, s3, 31
	s_add_co_i32 s48, s0, s2
	s_mul_i32 s0, s49, s1
	s_ashr_i32 s75, s80, 31
	s_mul_hi_u32 s0, s1, s0
	s_mov_b32 s49, s9
	s_ashr_i32 s76, s4, 31
	s_add_co_i32 s50, s1, s0
	s_sub_co_i32 s78, 0, s6
	s_sub_co_i32 s79, 0, s3
	;; [unrolled: 1-line block ×4, first 2 shown]
	s_branch .LBB1_4
.LBB1_2:                                ;   in Loop: Header=BB1_4 Depth=1
	v_sub_nc_u32_e32 v17, v17, v18
	v_mad_u32 v16, s78, v16, v46
	s_delay_alu instid0(VALU_DEP_2) | instskip(SKIP_2) | instid1(VALU_DEP_1)
	v_mul_lo_u32 v18, s6, v17
	s_wait_xcnt 0x3
	v_dual_add_nc_u32 v19, 2, v17 :: v_dual_add_nc_u32 v17, 3, v17
	v_mad_u32 v19, s6, v19, v46
	s_delay_alu instid0(VALU_DEP_2)
	v_mad_u32 v17, s6, v17, v46
	s_wait_xcnt 0x2
	v_mul_lo_u32 v30, v16, s58
	v_mul_lo_u32 v16, v16, s59
	v_add3_u32 v18, v18, s6, v46
	s_wait_xcnt 0x1
	s_delay_alu instid0(VALU_DEP_1)
	v_mul_lo_u32 v31, v18, s58
	s_wait_xcnt 0x0
	v_mul_lo_u32 v32, v19, s58
	v_mul_lo_u32 v33, v17, s58
	;; [unrolled: 1-line block ×5, first 2 shown]
	s_clause 0x3
	global_load_b64 v[36:37], v30, s[10:11] scale_offset
	global_load_b64 v[34:35], v31, s[10:11] scale_offset
	global_load_b64 v[44:45], v32, s[10:11] scale_offset
	global_load_b64 v[18:19], v33, s[10:11] scale_offset
	s_clause 0x3
	global_load_b64 v[32:33], v16, s[20:21] scale_offset
	global_load_b64 v[30:31], v42, s[20:21] scale_offset
	;; [unrolled: 1-line block ×4, first 2 shown]
.LBB1_3:                                ;   in Loop: Header=BB1_4 Depth=1
	s_wait_loadcnt 0x3
	v_add_f64_e32 v[22:23], v[22:23], v[24:25]
	s_wait_loadcnt 0x2
	v_add_f64_e32 v[38:39], v[38:39], v[40:41]
	v_add_f64_e32 v[26:27], v[26:27], v[28:29]
	s_wait_loadcnt 0x1
	v_add_f64_e32 v[12:13], v[12:13], v[14:15]
	s_delay_alu instid0(VALU_DEP_4) | instskip(NEXT) | instid1(VALU_DEP_4)
	v_add_f64_e32 v[22:23], v[22:23], v[34:35]
	v_add_f64_e32 v[38:39], v[38:39], v[44:45]
	s_delay_alu instid0(VALU_DEP_4) | instskip(NEXT) | instid1(VALU_DEP_4)
	v_add_f64_e32 v[24:25], v[26:27], v[36:37]
	v_add_f64_e32 v[12:13], v[12:13], v[18:19]
	s_delay_alu instid0(VALU_DEP_4) | instskip(NEXT) | instid1(VALU_DEP_3)
	v_add_f64_e32 v[22:23], v[30:31], v[22:23]
	v_add_f64_e32 v[24:25], v[32:33], v[24:25]
	s_wait_loadcnt 0x0
	s_delay_alu instid0(VALU_DEP_3) | instskip(NEXT) | instid1(VALU_DEP_3)
	v_add_f64_e32 v[12:13], v[16:17], v[12:13]
	v_cmp_ngt_f64_e64 s3, 0xc0900000, v[22:23]
	v_add_f64_e32 v[38:39], v[42:43], v[38:39]
	s_delay_alu instid0(VALU_DEP_4) | instskip(SKIP_2) | instid1(VALU_DEP_4)
	v_mul_f64_e32 v[30:31], 0xbff71547652b82fe, v[24:25]
	v_cmp_nlt_f64_e64 s1, 0x4090cc00, v[24:25]
	v_cmp_nlt_f64_e64 s4, 0x4090cc00, v[22:23]
	v_mul_f64_e64 v[40:41], |v[38:39]|, s[54:55]
	s_delay_alu instid0(VALU_DEP_4) | instskip(NEXT) | instid1(VALU_DEP_2)
	v_rndne_f64_e32 v[30:31], v[30:31]
	v_rndne_f64_e32 v[40:41], v[40:41]
	s_wait_xcnt 0x1
	s_delay_alu instid0(VALU_DEP_1) | instskip(SKIP_1) | instid1(VALU_DEP_2)
	v_fma_f64 v[42:43], v[40:41], s[56:57], |v[38:39]|
	v_mul_f64_e32 v[44:45], 0x3d53de6af278e000, v[40:41]
	v_add_f64_e32 v[56:57], 0, v[42:43]
	s_delay_alu instid0(VALU_DEP_1) | instskip(SKIP_1) | instid1(VALU_DEP_2)
	v_add_f64_e64 v[58:59], v[56:57], -v[44:45]
	v_add_f64_e64 v[42:43], v[42:43], -v[56:57]
	;; [unrolled: 1-line block ×3, first 2 shown]
	s_delay_alu instid0(VALU_DEP_2) | instskip(NEXT) | instid1(VALU_DEP_2)
	v_add_f64_e32 v[42:43], 0, v[42:43]
	v_add_f64_e64 v[44:45], v[56:57], -v[44:45]
	s_delay_alu instid0(VALU_DEP_1) | instskip(SKIP_1) | instid1(VALU_DEP_2)
	v_add_f64_e32 v[42:43], v[42:43], v[44:45]
	v_mul_f64_e32 v[44:45], 0x3ac9cc01f97b57a0, v[40:41]
	v_add_f64_e32 v[56:57], v[58:59], v[42:43]
	s_delay_alu instid0(VALU_DEP_1) | instskip(SKIP_1) | instid1(VALU_DEP_2)
	v_add_f64_e64 v[60:61], v[56:57], -v[44:45]
	v_add_f64_e64 v[58:59], v[58:59], -v[56:57]
	v_add_f64_e64 v[56:57], v[56:57], -v[60:61]
	s_delay_alu instid0(VALU_DEP_2) | instskip(NEXT) | instid1(VALU_DEP_2)
	v_add_f64_e32 v[42:43], v[42:43], v[58:59]
	v_add_f64_e64 v[44:45], v[56:57], -v[44:45]
	s_delay_alu instid0(VALU_DEP_1) | instskip(NEXT) | instid1(VALU_DEP_1)
	v_add_f64_e32 v[42:43], v[42:43], v[44:45]
	v_add_f64_e32 v[44:45], v[60:61], v[42:43]
	s_delay_alu instid0(VALU_DEP_1) | instskip(SKIP_1) | instid1(VALU_DEP_2)
	v_add_f64_e64 v[56:57], v[60:61], -v[44:45]
	v_mul_f64_e32 v[58:59], v[44:45], v[44:45]
	v_add_f64_e32 v[42:43], v[42:43], v[56:57]
	s_delay_alu instid0(VALU_DEP_2) | instskip(NEXT) | instid1(VALU_DEP_2)
	v_fma_f64 v[56:57], v[44:45], v[44:45], -v[58:59]
	v_add_f64_e32 v[60:61], v[42:43], v[42:43]
	s_delay_alu instid0(VALU_DEP_1) | instskip(SKIP_1) | instid1(VALU_DEP_1)
	v_fmac_f64_e32 v[56:57], v[44:45], v[60:61]
	v_fmamk_f64 v[60:61], v[44:45], 0x3e5ade156a5dcb37, v[0:1]
	v_fmaak_f64 v[60:61], v[44:45], v[60:61], 0x3ec71dee623fde64
	s_delay_alu instid0(VALU_DEP_1) | instskip(NEXT) | instid1(VALU_DEP_1)
	v_fmaak_f64 v[60:61], v[44:45], v[60:61], 0x3efa01997c89e6b0
	v_fmaak_f64 v[60:61], v[44:45], v[60:61], 0x3f2a01a014761f6e
	s_delay_alu instid0(VALU_DEP_1) | instskip(SKIP_1) | instid1(VALU_DEP_2)
	v_fmaak_f64 v[60:61], v[44:45], v[60:61], 0x3f56c16c1852b7b0
	v_add_f64_e32 v[62:63], v[58:59], v[56:57]
	v_fmaak_f64 v[60:61], v[44:45], v[60:61], 0x3f81111111122322
	s_delay_alu instid0(VALU_DEP_1) | instskip(NEXT) | instid1(VALU_DEP_1)
	v_fmaak_f64 v[60:61], v[44:45], v[60:61], 0x3fa55555555502a1
	v_fmaak_f64 v[60:61], v[44:45], v[60:61], 0x3fc5555555555511
	s_delay_alu instid0(VALU_DEP_1) | instskip(SKIP_1) | instid1(VALU_DEP_2)
	v_fmaak_f64 v[60:61], v[44:45], v[60:61], 0x3fe000000000000b
	v_add_f64_e64 v[58:59], v[62:63], -v[58:59]
	v_mul_f64_e32 v[64:65], v[62:63], v[60:61]
	s_delay_alu instid0(VALU_DEP_2) | instskip(NEXT) | instid1(VALU_DEP_2)
	v_add_f64_e64 v[56:57], v[56:57], -v[58:59]
	v_fma_f64 v[58:59], v[62:63], v[60:61], -v[64:65]
	s_delay_alu instid0(VALU_DEP_1) | instskip(NEXT) | instid1(VALU_DEP_1)
	v_fmac_f64_e32 v[58:59], v[56:57], v[60:61]
	v_add_f64_e32 v[56:57], v[64:65], v[58:59]
	s_delay_alu instid0(VALU_DEP_1) | instskip(SKIP_1) | instid1(VALU_DEP_2)
	v_add_f64_e32 v[60:61], v[44:45], v[56:57]
	v_add_f64_e64 v[62:63], v[56:57], -v[64:65]
	v_add_f64_e64 v[44:45], v[60:61], -v[44:45]
	s_delay_alu instid0(VALU_DEP_2) | instskip(SKIP_1) | instid1(VALU_DEP_3)
	v_add_f64_e64 v[58:59], v[58:59], -v[62:63]
	v_cvt_i32_f64_e32 v62, v[40:41]
	v_add_f64_e64 v[44:45], v[56:57], -v[44:45]
	s_delay_alu instid0(VALU_DEP_3) | instskip(NEXT) | instid1(VALU_DEP_1)
	v_add_f64_e32 v[42:43], v[42:43], v[58:59]
	v_add_f64_e32 v[42:43], v[42:43], v[44:45]
	s_delay_alu instid0(VALU_DEP_1) | instskip(NEXT) | instid1(VALU_DEP_1)
	v_add_f64_e32 v[44:45], v[60:61], v[42:43]
	v_add_f64_e32 v[56:57], 1.0, v[44:45]
	v_add_f64_e64 v[58:59], v[44:45], -v[60:61]
	s_delay_alu instid0(VALU_DEP_2) | instskip(NEXT) | instid1(VALU_DEP_2)
	v_add_f64_e32 v[60:61], -1.0, v[56:57]
	v_add_f64_e64 v[42:43], v[42:43], -v[58:59]
	s_delay_alu instid0(VALU_DEP_2) | instskip(NEXT) | instid1(VALU_DEP_1)
	v_add_f64_e64 v[44:45], v[44:45], -v[60:61]
	v_add_f64_e32 v[42:43], v[42:43], v[44:45]
	s_delay_alu instid0(VALU_DEP_1) | instskip(NEXT) | instid1(VALU_DEP_1)
	v_add_f64_e32 v[40:41], v[56:57], v[42:43]
	v_ldexp_f64 v[44:45], v[40:41], v62
	v_add_f64_e64 v[40:41], v[40:41], -v[56:57]
	s_delay_alu instid0(VALU_DEP_2) | instskip(NEXT) | instid1(VALU_DEP_1)
	v_rcp_f64_e32 v[58:59], v[44:45]
	v_add_f64_e64 v[40:41], v[42:43], -v[40:41]
	s_delay_alu instid0(VALU_DEP_1) | instskip(NEXT) | instid1(TRANS32_DEP_1)
	v_ldexp_f64 v[40:41], v[40:41], v62
	v_fma_f64 v[60:61], -v[44:45], v[58:59], 1.0
	s_delay_alu instid0(VALU_DEP_1) | instskip(NEXT) | instid1(VALU_DEP_1)
	v_fmac_f64_e32 v[58:59], v[60:61], v[58:59]
	v_fma_f64 v[60:61], -v[44:45], v[58:59], 1.0
	s_delay_alu instid0(VALU_DEP_1) | instskip(NEXT) | instid1(VALU_DEP_1)
	v_fmac_f64_e32 v[58:59], v[60:61], v[58:59]
	v_mul_f64_e32 v[42:43], v[44:45], v[58:59]
	s_delay_alu instid0(VALU_DEP_1) | instskip(NEXT) | instid1(VALU_DEP_1)
	v_fma_f64 v[56:57], v[58:59], v[44:45], -v[42:43]
	v_fmac_f64_e32 v[56:57], v[58:59], v[40:41]
	s_delay_alu instid0(VALU_DEP_1) | instskip(NEXT) | instid1(VALU_DEP_1)
	v_add_f64_e32 v[60:61], v[42:43], v[56:57]
	v_add_f64_e64 v[62:63], -v[60:61], 1.0
	v_add_f64_e64 v[42:43], v[60:61], -v[42:43]
	s_delay_alu instid0(VALU_DEP_2) | instskip(NEXT) | instid1(VALU_DEP_2)
	v_add_f64_e64 v[64:65], -v[62:63], 1.0
	v_add_f64_e64 v[42:43], v[42:43], -v[56:57]
	s_delay_alu instid0(VALU_DEP_2) | instskip(NEXT) | instid1(VALU_DEP_1)
	v_add_f64_e64 v[56:57], v[64:65], -v[60:61]
	v_add_f64_e32 v[42:43], v[42:43], v[56:57]
	s_delay_alu instid0(VALU_DEP_1) | instskip(NEXT) | instid1(VALU_DEP_1)
	v_add_f64_e32 v[56:57], v[62:63], v[42:43]
	v_mul_f64_e32 v[60:61], v[58:59], v[56:57]
	v_add_f64_e64 v[62:63], v[62:63], -v[56:57]
	s_delay_alu instid0(VALU_DEP_2) | instskip(NEXT) | instid1(VALU_DEP_2)
	v_mul_f64_e32 v[64:65], v[44:45], v[60:61]
	v_add_f64_e32 v[42:43], v[42:43], v[62:63]
	s_delay_alu instid0(VALU_DEP_2) | instskip(NEXT) | instid1(VALU_DEP_1)
	v_fma_f64 v[66:67], v[60:61], v[44:45], -v[64:65]
	v_fmac_f64_e32 v[66:67], v[60:61], v[40:41]
	s_delay_alu instid0(VALU_DEP_1) | instskip(NEXT) | instid1(VALU_DEP_1)
	v_add_f64_e32 v[68:69], v[64:65], v[66:67]
	v_add_f64_e64 v[70:71], v[56:57], -v[68:69]
	v_add_f64_e64 v[62:63], v[68:69], -v[64:65]
	s_delay_alu instid0(VALU_DEP_2) | instskip(NEXT) | instid1(VALU_DEP_2)
	v_add_f64_e64 v[56:57], v[56:57], -v[70:71]
	v_add_f64_e64 v[62:63], v[62:63], -v[66:67]
	s_delay_alu instid0(VALU_DEP_2) | instskip(NEXT) | instid1(VALU_DEP_1)
	v_add_f64_e64 v[56:57], v[56:57], -v[68:69]
	v_add_f64_e32 v[42:43], v[42:43], v[56:57]
	v_add_f64_e32 v[56:57], v[58:59], v[60:61]
	s_delay_alu instid0(VALU_DEP_2) | instskip(NEXT) | instid1(VALU_DEP_2)
	v_add_f64_e32 v[42:43], v[62:63], v[42:43]
	v_add_f64_e64 v[62:63], v[56:57], -v[58:59]
	s_delay_alu instid0(VALU_DEP_2) | instskip(NEXT) | instid1(VALU_DEP_2)
	v_add_f64_e32 v[42:43], v[70:71], v[42:43]
	v_add_f64_e64 v[60:61], v[60:61], -v[62:63]
	s_delay_alu instid0(VALU_DEP_2) | instskip(NEXT) | instid1(VALU_DEP_1)
	v_mul_f64_e32 v[42:43], v[58:59], v[42:43]
	v_add_f64_e32 v[42:43], v[60:61], v[42:43]
	s_delay_alu instid0(VALU_DEP_1) | instskip(NEXT) | instid1(VALU_DEP_1)
	v_add_f64_e32 v[58:59], v[56:57], v[42:43]
	v_add_f64_e32 v[28:29], v[44:45], v[58:59]
	v_add_f64_e64 v[56:57], v[58:59], -v[56:57]
	s_delay_alu instid0(VALU_DEP_2) | instskip(NEXT) | instid1(VALU_DEP_2)
	v_add_f64_e64 v[26:27], v[28:29], -v[44:45]
	v_add_f64_e64 v[36:37], v[42:43], -v[56:57]
	;; [unrolled: 1-line block ×3, first 2 shown]
	v_fma_f64 v[56:57], v[30:31], s[52:53], -v[24:25]
	s_delay_alu instid0(VALU_DEP_4) | instskip(NEXT) | instid1(VALU_DEP_4)
	v_add_f64_e64 v[26:27], v[58:59], -v[26:27]
	v_add_f64_e32 v[32:33], v[40:41], v[36:37]
	s_delay_alu instid0(VALU_DEP_4) | instskip(NEXT) | instid1(VALU_DEP_4)
	v_add_f64_e64 v[44:45], v[44:45], -v[42:43]
	v_fmac_f64_e32 v[56:57], 0xbc7abc9e3b39803f, v[30:31]
	s_delay_alu instid0(VALU_DEP_3) | instskip(SKIP_1) | instid1(VALU_DEP_4)
	v_add_f64_e32 v[26:27], v[32:33], v[26:27]
	v_mul_f64_e32 v[32:33], 0xbff71547652b82fe, v[22:23]
	v_add_f64_e64 v[44:45], v[44:45], -v[58:59]
	s_delay_alu instid0(VALU_DEP_4) | instskip(NEXT) | instid1(VALU_DEP_1)
	v_fmamk_f64 v[64:65], v[56:57], 0x3e5ade156a5dcb37, v[0:1]
	v_fmaak_f64 v[64:65], v[56:57], v[64:65], 0x3ec71dee623fde64
	v_add_f64_e32 v[34:35], v[28:29], v[26:27]
	v_rndne_f64_e32 v[32:33], v[32:33]
	v_add_f64_e32 v[40:41], v[40:41], v[44:45]
	s_delay_alu instid0(VALU_DEP_4) | instskip(NEXT) | instid1(VALU_DEP_1)
	v_fmaak_f64 v[44:45], v[56:57], v[64:65], 0x3efa01997c89e6b0
	v_fmaak_f64 v[44:45], v[56:57], v[44:45], 0x3f2a01a014761f6e
	s_delay_alu instid0(VALU_DEP_1) | instskip(NEXT) | instid1(VALU_DEP_1)
	v_fmaak_f64 v[44:45], v[56:57], v[44:45], 0x3f56c16c1852b7b0
	v_fmaak_f64 v[44:45], v[56:57], v[44:45], 0x3f81111111122322
	s_delay_alu instid0(VALU_DEP_1) | instskip(SKIP_4) | instid1(VALU_DEP_4)
	v_fmaak_f64 v[44:45], v[56:57], v[44:45], 0x3fa55555555502a1
	v_rcp_f64_e32 v[60:61], v[34:35]
	v_fma_f64 v[62:63], v[32:33], s[52:53], -v[22:23]
	v_add_f64_e64 v[36:37], v[40:41], -v[36:37]
	v_add_f64_e64 v[28:29], v[34:35], -v[28:29]
	v_fmaak_f64 v[44:45], v[56:57], v[44:45], 0x3fc5555555555511
	s_delay_alu instid0(VALU_DEP_1) | instskip(NEXT) | instid1(VALU_DEP_1)
	v_fmaak_f64 v[44:45], v[56:57], v[44:45], 0x3fe000000000000b
	v_fma_f64 v[44:45], v[56:57], v[44:45], 1.0
	v_fmac_f64_e32 v[62:63], 0xbc7abc9e3b39803f, v[32:33]
	v_add_f64_e32 v[64:65], v[42:43], v[36:37]
	v_add_f64_e64 v[26:27], v[26:27], -v[28:29]
	s_delay_alu instid0(TRANS32_DEP_1) | instskip(NEXT) | instid1(VALU_DEP_3)
	v_fma_f64 v[58:59], -v[34:35], v[60:61], 1.0
	v_add_f64_e64 v[42:43], v[64:65], -v[42:43]
	s_delay_alu instid0(VALU_DEP_2) | instskip(SKIP_1) | instid1(VALU_DEP_1)
	v_fmac_f64_e32 v[60:61], v[58:59], v[60:61]
	v_fmamk_f64 v[58:59], v[62:63], 0x3e5ade156a5dcb37, v[0:1]
	v_fmaak_f64 v[58:59], v[62:63], v[58:59], 0x3ec71dee623fde64
	s_delay_alu instid0(VALU_DEP_1) | instskip(NEXT) | instid1(VALU_DEP_1)
	v_fmaak_f64 v[58:59], v[62:63], v[58:59], 0x3efa01997c89e6b0
	v_fmaak_f64 v[58:59], v[62:63], v[58:59], 0x3f2a01a014761f6e
	v_add_f64_e64 v[36:37], v[36:37], -v[42:43]
	s_delay_alu instid0(VALU_DEP_2) | instskip(SKIP_1) | instid1(VALU_DEP_2)
	v_fmaak_f64 v[58:59], v[62:63], v[58:59], 0x3f56c16c1852b7b0
	v_fma_f64 v[40:41], -v[34:35], v[60:61], 1.0
	v_fmaak_f64 v[58:59], v[62:63], v[58:59], 0x3f81111111122322
	s_delay_alu instid0(VALU_DEP_1) | instskip(NEXT) | instid1(VALU_DEP_3)
	v_fmaak_f64 v[58:59], v[62:63], v[58:59], 0x3fa55555555502a1
	v_fmac_f64_e32 v[60:61], v[40:41], v[60:61]
	s_delay_alu instid0(VALU_DEP_2) | instskip(SKIP_3) | instid1(VALU_DEP_4)
	v_fmaak_f64 v[40:41], v[62:63], v[58:59], 0x3fc5555555555511
	v_cvt_i32_f64_e32 v58, v[30:31]
	v_fma_f64 v[30:31], v[56:57], v[44:45], 1.0
	v_cvt_i32_f64_e32 v56, v[32:33]
	v_fmaak_f64 v[40:41], v[62:63], v[40:41], 0x3fe000000000000b
	s_delay_alu instid0(VALU_DEP_1) | instskip(SKIP_2) | instid1(VALU_DEP_3)
	v_fma_f64 v[40:41], v[62:63], v[40:41], 1.0
	v_mul_f64_e32 v[44:45], v[64:65], v[60:61]
	v_ldexp_f64 v[30:31], v[30:31], v58
	v_fma_f64 v[32:33], v[62:63], v[40:41], 1.0
	s_delay_alu instid0(VALU_DEP_3) | instskip(NEXT) | instid1(VALU_DEP_3)
	v_mul_f64_e32 v[40:41], v[34:35], v[44:45]
	v_add_f64_e32 v[30:31], 1.0, v[30:31]
	s_delay_alu instid0(VALU_DEP_3) | instskip(NEXT) | instid1(VALU_DEP_3)
	v_ldexp_f64 v[32:33], v[32:33], v56
	v_fma_f64 v[28:29], v[44:45], v[34:35], -v[40:41]
	s_delay_alu instid0(VALU_DEP_3) | instskip(NEXT) | instid1(VALU_DEP_3)
	v_div_scale_f64 v[34:35], null, v[30:31], v[30:31], 1.0
	v_add_f64_e32 v[32:33], 1.0, v[32:33]
	s_delay_alu instid0(VALU_DEP_3) | instskip(NEXT) | instid1(VALU_DEP_3)
	v_fmac_f64_e32 v[28:29], v[44:45], v[26:27]
	v_rcp_f64_e32 v[56:57], v[34:35]
	s_delay_alu instid0(VALU_DEP_2) | instskip(NEXT) | instid1(VALU_DEP_2)
	v_div_scale_f64 v[26:27], null, v[32:33], v[32:33], 1.0
	v_add_f64_e32 v[58:59], v[40:41], v[28:29]
	s_delay_alu instid0(TRANS32_DEP_1) | instskip(NEXT) | instid1(VALU_DEP_3)
	v_fma_f64 v[66:67], -v[34:35], v[56:57], 1.0
	v_rcp_f64_e32 v[62:63], v[26:27]
	s_delay_alu instid0(VALU_DEP_2) | instskip(SKIP_1) | instid1(VALU_DEP_3)
	v_add_f64_e64 v[68:69], v[64:65], -v[58:59]
	v_add_f64_e64 v[40:41], v[58:59], -v[40:41]
	v_fmac_f64_e32 v[56:57], v[56:57], v[66:67]
	s_delay_alu instid0(TRANS32_DEP_1) | instskip(NEXT) | instid1(VALU_DEP_4)
	v_fma_f64 v[70:71], -v[26:27], v[62:63], 1.0
	v_add_f64_e64 v[66:67], v[64:65], -v[68:69]
	s_delay_alu instid0(VALU_DEP_4) | instskip(SKIP_1) | instid1(VALU_DEP_4)
	v_add_f64_e64 v[28:29], v[28:29], -v[40:41]
	v_div_scale_f64 v[64:65], vcc_lo, 1.0, v[30:31], 1.0
	v_fmac_f64_e32 v[62:63], v[62:63], v[70:71]
	v_fma_f64 v[70:71], -v[34:35], v[56:57], 1.0
	v_add_f64_e64 v[40:41], v[66:67], -v[58:59]
	s_delay_alu instid0(VALU_DEP_3) | instskip(NEXT) | instid1(VALU_DEP_3)
	v_fma_f64 v[58:59], -v[26:27], v[62:63], 1.0
	v_fmac_f64_e32 v[56:57], v[56:57], v[70:71]
	s_delay_alu instid0(VALU_DEP_3) | instskip(SKIP_1) | instid1(VALU_DEP_4)
	v_add_f64_e64 v[28:29], v[40:41], -v[28:29]
	v_div_scale_f64 v[40:41], s0, 1.0, v[32:33], 1.0
	v_fmac_f64_e32 v[62:63], v[62:63], v[58:59]
	s_delay_alu instid0(VALU_DEP_4) | instskip(NEXT) | instid1(VALU_DEP_4)
	v_mul_f64_e32 v[42:43], v[64:65], v[56:57]
	v_add_f64_e32 v[28:29], v[36:37], v[28:29]
	s_delay_alu instid0(VALU_DEP_3) | instskip(NEXT) | instid1(VALU_DEP_3)
	v_mul_f64_e32 v[36:37], v[40:41], v[62:63]
	v_fma_f64 v[34:35], -v[34:35], v[42:43], v[64:65]
	s_delay_alu instid0(VALU_DEP_3) | instskip(NEXT) | instid1(VALU_DEP_3)
	v_add_f64_e32 v[28:29], v[68:69], v[28:29]
	v_fma_f64 v[26:27], -v[26:27], v[36:37], v[40:41]
	s_delay_alu instid0(VALU_DEP_3) | instskip(SKIP_2) | instid1(VALU_DEP_4)
	v_div_fmas_f64 v[34:35], v[34:35], v[56:57], v[42:43]
	s_mov_b32 vcc_lo, s0
	v_cmp_ngt_f64_e64 s0, 0xc0900000, v[24:25]
	v_mul_f64_e32 v[28:29], v[60:61], v[28:29]
	s_delay_alu instid0(VALU_DEP_4) | instskip(SKIP_2) | instid1(VALU_DEP_4)
	v_div_fmas_f64 v[26:27], v[26:27], v[62:63], v[36:37]
	v_cmp_nlt_f64_e64 vcc_lo, 0x40331000, |v[38:39]|
	v_div_fixup_f64 v[30:31], v[34:35], v[30:31], 1.0
	v_add_f64_e32 v[28:29], v[44:45], v[28:29]
	s_delay_alu instid0(VALU_DEP_4) | instskip(NEXT) | instid1(VALU_DEP_3)
	v_div_fixup_f64 v[32:33], v[26:27], v[32:33], 1.0
	v_cndmask_b32_e64 v26, 0, v31, s0
	s_delay_alu instid0(VALU_DEP_1) | instskip(NEXT) | instid1(VALU_DEP_4)
	v_cndmask_b32_e64 v23, 0x3ff00000, v26, s1
	v_cndmask_b32_e32 v25, 0x3ff00000, v29, vcc_lo
	v_cndmask_b32_e32 v27, 0, v28, vcc_lo
	s_and_b32 vcc_lo, s1, s0
	v_cndmask_b32_e32 v22, 0, v30, vcc_lo
	s_and_b32 vcc_lo, s4, s3
	v_cndmask_b32_e64 v29, 0, v33, s3
	v_cmp_gt_f64_e64 s2, 0x3e400000, |v[38:39]|
	v_and_b32_e32 v24, 0x7fffffff, v39
	v_cndmask_b32_e32 v28, 0, v32, vcc_lo
	s_delay_alu instid0(VALU_DEP_4) | instskip(NEXT) | instid1(VALU_DEP_3)
	v_cndmask_b32_e64 v29, 0x3ff00000, v29, s4
	v_cndmask_b32_e64 v24, v25, v24, s2
	s_delay_alu instid0(VALU_DEP_1) | instskip(SKIP_1) | instid1(VALU_DEP_1)
	v_bfi_b32 v25, 0x7fffffff, v24, v39
	v_cndmask_b32_e64 v24, v27, v38, s2
	v_mul_f64_e32 v[26:27], v[22:23], v[24:25]
	s_delay_alu instid0(VALU_DEP_1) | instskip(NEXT) | instid1(VALU_DEP_1)
	v_fmac_f64_e32 v[26:27], v[20:21], v[28:29]
	v_mul_f64_e64 v[20:21], |v[26:27]|, s[54:55]
	s_delay_alu instid0(VALU_DEP_1) | instskip(NEXT) | instid1(VALU_DEP_1)
	v_rndne_f64_e32 v[20:21], v[20:21]
	v_fma_f64 v[30:31], v[20:21], s[56:57], |v[26:27]|
	v_mul_f64_e32 v[32:33], 0x3d53de6af278e000, v[20:21]
	s_delay_alu instid0(VALU_DEP_2) | instskip(NEXT) | instid1(VALU_DEP_1)
	v_add_f64_e32 v[34:35], 0, v[30:31]
	v_add_f64_e64 v[36:37], v[34:35], -v[32:33]
	v_add_f64_e64 v[30:31], v[30:31], -v[34:35]
	s_delay_alu instid0(VALU_DEP_2) | instskip(NEXT) | instid1(VALU_DEP_2)
	v_add_f64_e64 v[34:35], v[34:35], -v[36:37]
	v_add_f64_e32 v[30:31], 0, v[30:31]
	s_delay_alu instid0(VALU_DEP_2) | instskip(NEXT) | instid1(VALU_DEP_1)
	v_add_f64_e64 v[32:33], v[34:35], -v[32:33]
	v_add_f64_e32 v[30:31], v[30:31], v[32:33]
	v_mul_f64_e32 v[32:33], 0x3ac9cc01f97b57a0, v[20:21]
	s_delay_alu instid0(VALU_DEP_2) | instskip(NEXT) | instid1(VALU_DEP_1)
	v_add_f64_e32 v[34:35], v[36:37], v[30:31]
	v_add_f64_e64 v[38:39], v[34:35], -v[32:33]
	v_add_f64_e64 v[36:37], v[36:37], -v[34:35]
	s_delay_alu instid0(VALU_DEP_2) | instskip(NEXT) | instid1(VALU_DEP_2)
	v_add_f64_e64 v[34:35], v[34:35], -v[38:39]
	v_add_f64_e32 v[30:31], v[30:31], v[36:37]
	s_delay_alu instid0(VALU_DEP_2) | instskip(NEXT) | instid1(VALU_DEP_1)
	v_add_f64_e64 v[32:33], v[34:35], -v[32:33]
	v_add_f64_e32 v[30:31], v[30:31], v[32:33]
	s_delay_alu instid0(VALU_DEP_1) | instskip(NEXT) | instid1(VALU_DEP_1)
	v_add_f64_e32 v[32:33], v[38:39], v[30:31]
	v_add_f64_e64 v[34:35], v[38:39], -v[32:33]
	v_mul_f64_e32 v[36:37], v[32:33], v[32:33]
	s_delay_alu instid0(VALU_DEP_2) | instskip(NEXT) | instid1(VALU_DEP_2)
	v_add_f64_e32 v[30:31], v[30:31], v[34:35]
	v_fma_f64 v[34:35], v[32:33], v[32:33], -v[36:37]
	s_delay_alu instid0(VALU_DEP_2) | instskip(NEXT) | instid1(VALU_DEP_1)
	v_add_f64_e32 v[38:39], v[30:31], v[30:31]
	v_fmac_f64_e32 v[34:35], v[32:33], v[38:39]
	v_fmamk_f64 v[38:39], v[32:33], 0x3e5ade156a5dcb37, v[0:1]
	s_delay_alu instid0(VALU_DEP_1) | instskip(NEXT) | instid1(VALU_DEP_1)
	v_fmaak_f64 v[38:39], v[32:33], v[38:39], 0x3ec71dee623fde64
	v_fmaak_f64 v[38:39], v[32:33], v[38:39], 0x3efa01997c89e6b0
	s_delay_alu instid0(VALU_DEP_1) | instskip(NEXT) | instid1(VALU_DEP_1)
	v_fmaak_f64 v[38:39], v[32:33], v[38:39], 0x3f2a01a014761f6e
	v_fmaak_f64 v[38:39], v[32:33], v[38:39], 0x3f56c16c1852b7b0
	v_add_f64_e32 v[40:41], v[36:37], v[34:35]
	s_delay_alu instid0(VALU_DEP_2) | instskip(NEXT) | instid1(VALU_DEP_1)
	v_fmaak_f64 v[38:39], v[32:33], v[38:39], 0x3f81111111122322
	v_fmaak_f64 v[38:39], v[32:33], v[38:39], 0x3fa55555555502a1
	s_delay_alu instid0(VALU_DEP_1) | instskip(NEXT) | instid1(VALU_DEP_1)
	v_fmaak_f64 v[38:39], v[32:33], v[38:39], 0x3fc5555555555511
	v_fmaak_f64 v[38:39], v[32:33], v[38:39], 0x3fe000000000000b
	v_add_f64_e64 v[36:37], v[40:41], -v[36:37]
	s_delay_alu instid0(VALU_DEP_2) | instskip(NEXT) | instid1(VALU_DEP_2)
	v_mul_f64_e32 v[42:43], v[40:41], v[38:39]
	v_add_f64_e64 v[34:35], v[34:35], -v[36:37]
	s_delay_alu instid0(VALU_DEP_2) | instskip(NEXT) | instid1(VALU_DEP_1)
	v_fma_f64 v[36:37], v[40:41], v[38:39], -v[42:43]
	v_fmac_f64_e32 v[36:37], v[34:35], v[38:39]
	s_delay_alu instid0(VALU_DEP_1) | instskip(NEXT) | instid1(VALU_DEP_1)
	v_add_f64_e32 v[34:35], v[42:43], v[36:37]
	v_add_f64_e32 v[38:39], v[32:33], v[34:35]
	v_add_f64_e64 v[40:41], v[34:35], -v[42:43]
	s_delay_alu instid0(VALU_DEP_2) | instskip(NEXT) | instid1(VALU_DEP_2)
	v_add_f64_e64 v[32:33], v[38:39], -v[32:33]
	v_add_f64_e64 v[36:37], v[36:37], -v[40:41]
	v_cvt_i32_f64_e32 v40, v[20:21]
	s_delay_alu instid0(VALU_DEP_3) | instskip(NEXT) | instid1(VALU_DEP_3)
	v_add_f64_e64 v[32:33], v[34:35], -v[32:33]
	v_add_f64_e32 v[30:31], v[30:31], v[36:37]
	s_delay_alu instid0(VALU_DEP_1) | instskip(NEXT) | instid1(VALU_DEP_1)
	v_add_f64_e32 v[30:31], v[30:31], v[32:33]
	v_add_f64_e32 v[32:33], v[38:39], v[30:31]
	s_delay_alu instid0(VALU_DEP_1) | instskip(SKIP_1) | instid1(VALU_DEP_2)
	v_add_f64_e32 v[34:35], 1.0, v[32:33]
	v_add_f64_e64 v[36:37], v[32:33], -v[38:39]
	v_add_f64_e32 v[38:39], -1.0, v[34:35]
	s_delay_alu instid0(VALU_DEP_2) | instskip(NEXT) | instid1(VALU_DEP_2)
	v_add_f64_e64 v[30:31], v[30:31], -v[36:37]
	v_add_f64_e64 v[32:33], v[32:33], -v[38:39]
	s_delay_alu instid0(VALU_DEP_1) | instskip(NEXT) | instid1(VALU_DEP_1)
	v_add_f64_e32 v[30:31], v[30:31], v[32:33]
	v_add_f64_e32 v[20:21], v[34:35], v[30:31]
	s_delay_alu instid0(VALU_DEP_1) | instskip(SKIP_1) | instid1(VALU_DEP_2)
	v_ldexp_f64 v[32:33], v[20:21], v40
	v_add_f64_e64 v[20:21], v[20:21], -v[34:35]
	v_rcp_f64_e32 v[36:37], v[32:33]
	s_delay_alu instid0(VALU_DEP_1) | instskip(NEXT) | instid1(VALU_DEP_1)
	v_add_f64_e64 v[20:21], v[30:31], -v[20:21]
	v_ldexp_f64 v[20:21], v[20:21], v40
	s_delay_alu instid0(TRANS32_DEP_1) | instskip(NEXT) | instid1(VALU_DEP_1)
	v_fma_f64 v[38:39], -v[32:33], v[36:37], 1.0
	v_fmac_f64_e32 v[36:37], v[38:39], v[36:37]
	s_delay_alu instid0(VALU_DEP_1) | instskip(NEXT) | instid1(VALU_DEP_1)
	v_fma_f64 v[38:39], -v[32:33], v[36:37], 1.0
	v_fmac_f64_e32 v[36:37], v[38:39], v[36:37]
	s_delay_alu instid0(VALU_DEP_1) | instskip(NEXT) | instid1(VALU_DEP_1)
	v_mul_f64_e32 v[30:31], v[32:33], v[36:37]
	v_fma_f64 v[34:35], v[36:37], v[32:33], -v[30:31]
	s_delay_alu instid0(VALU_DEP_1) | instskip(NEXT) | instid1(VALU_DEP_1)
	v_fmac_f64_e32 v[34:35], v[36:37], v[20:21]
	v_add_f64_e32 v[38:39], v[30:31], v[34:35]
	s_delay_alu instid0(VALU_DEP_1) | instskip(SKIP_1) | instid1(VALU_DEP_2)
	v_add_f64_e64 v[40:41], -v[38:39], 1.0
	v_add_f64_e64 v[30:31], v[38:39], -v[30:31]
	v_add_f64_e64 v[42:43], -v[40:41], 1.0
	s_delay_alu instid0(VALU_DEP_2) | instskip(NEXT) | instid1(VALU_DEP_2)
	v_add_f64_e64 v[30:31], v[30:31], -v[34:35]
	v_add_f64_e64 v[34:35], v[42:43], -v[38:39]
	s_delay_alu instid0(VALU_DEP_1) | instskip(NEXT) | instid1(VALU_DEP_1)
	v_add_f64_e32 v[30:31], v[30:31], v[34:35]
	v_add_f64_e32 v[34:35], v[40:41], v[30:31]
	s_delay_alu instid0(VALU_DEP_1) | instskip(SKIP_1) | instid1(VALU_DEP_2)
	v_mul_f64_e32 v[38:39], v[36:37], v[34:35]
	v_add_f64_e64 v[40:41], v[40:41], -v[34:35]
	v_mul_f64_e32 v[42:43], v[32:33], v[38:39]
	s_delay_alu instid0(VALU_DEP_2) | instskip(NEXT) | instid1(VALU_DEP_2)
	v_add_f64_e32 v[30:31], v[30:31], v[40:41]
	v_fma_f64 v[44:45], v[38:39], v[32:33], -v[42:43]
	s_delay_alu instid0(VALU_DEP_1) | instskip(NEXT) | instid1(VALU_DEP_1)
	v_fmac_f64_e32 v[44:45], v[38:39], v[20:21]
	v_add_f64_e32 v[56:57], v[42:43], v[44:45]
	s_delay_alu instid0(VALU_DEP_1) | instskip(SKIP_1) | instid1(VALU_DEP_2)
	v_add_f64_e64 v[58:59], v[34:35], -v[56:57]
	v_add_f64_e64 v[40:41], v[56:57], -v[42:43]
	;; [unrolled: 1-line block ×3, first 2 shown]
	s_delay_alu instid0(VALU_DEP_2) | instskip(NEXT) | instid1(VALU_DEP_2)
	v_add_f64_e64 v[40:41], v[40:41], -v[44:45]
	v_add_f64_e64 v[34:35], v[34:35], -v[56:57]
	s_delay_alu instid0(VALU_DEP_1) | instskip(SKIP_1) | instid1(VALU_DEP_2)
	v_add_f64_e32 v[30:31], v[30:31], v[34:35]
	v_add_f64_e32 v[34:35], v[36:37], v[38:39]
	;; [unrolled: 1-line block ×3, first 2 shown]
	s_delay_alu instid0(VALU_DEP_2) | instskip(NEXT) | instid1(VALU_DEP_2)
	v_add_f64_e64 v[40:41], v[34:35], -v[36:37]
	v_add_f64_e32 v[30:31], v[58:59], v[30:31]
	s_delay_alu instid0(VALU_DEP_2) | instskip(NEXT) | instid1(VALU_DEP_2)
	v_add_f64_e64 v[38:39], v[38:39], -v[40:41]
	v_mul_f64_e32 v[30:31], v[36:37], v[30:31]
	s_delay_alu instid0(VALU_DEP_1) | instskip(NEXT) | instid1(VALU_DEP_1)
	v_add_f64_e32 v[30:31], v[38:39], v[30:31]
	v_add_f64_e32 v[36:37], v[34:35], v[30:31]
	s_delay_alu instid0(VALU_DEP_1) | instskip(SKIP_2) | instid1(VALU_DEP_3)
	v_add_f64_e32 v[14:15], v[32:33], v[36:37]
	v_add_f64_e64 v[34:35], v[36:37], -v[34:35]
	v_add_f64_e64 v[38:39], v[32:33], -v[36:37]
	;; [unrolled: 1-line block ×3, first 2 shown]
	s_delay_alu instid0(VALU_DEP_3) | instskip(SKIP_1) | instid1(VALU_DEP_4)
	v_add_f64_e64 v[30:31], v[30:31], -v[34:35]
	v_mul_f64_e32 v[34:35], 0xbff71547652b82fe, v[12:13]
	v_add_f64_e64 v[32:33], v[32:33], -v[38:39]
	s_wait_xcnt 0x0
	s_delay_alu instid0(VALU_DEP_4) | instskip(NEXT) | instid1(VALU_DEP_4)
	v_add_f64_e64 v[16:17], v[36:37], -v[18:19]
	v_add_f64_e32 v[18:19], v[20:21], v[30:31]
	s_delay_alu instid0(VALU_DEP_3) | instskip(NEXT) | instid1(VALU_DEP_2)
	v_add_f64_e64 v[32:33], v[32:33], -v[36:37]
	v_add_f64_e32 v[16:17], v[18:19], v[16:17]
	v_rndne_f64_e32 v[18:19], v[34:35]
	s_delay_alu instid0(VALU_DEP_3) | instskip(NEXT) | instid1(VALU_DEP_3)
	v_add_f64_e32 v[20:21], v[20:21], v[32:33]
	v_add_f64_e32 v[34:35], v[14:15], v[16:17]
	s_delay_alu instid0(VALU_DEP_3) | instskip(NEXT) | instid1(VALU_DEP_3)
	v_fma_f64 v[40:41], v[18:19], s[52:53], -v[12:13]
	v_add_f64_e64 v[20:21], v[20:21], -v[30:31]
	s_delay_alu instid0(VALU_DEP_3) | instskip(NEXT) | instid1(VALU_DEP_2)
	v_rcp_f64_e32 v[42:43], v[34:35]
	v_fmac_f64_e32 v[40:41], 0xbc7abc9e3b39803f, v[18:19]
	v_add_f64_e64 v[14:15], v[34:35], -v[14:15]
	s_delay_alu instid0(VALU_DEP_2) | instskip(NEXT) | instid1(VALU_DEP_2)
	v_fmamk_f64 v[44:45], v[40:41], 0x3e5ade156a5dcb37, v[0:1]
	v_add_f64_e64 v[14:15], v[16:17], -v[14:15]
	s_delay_alu instid0(TRANS32_DEP_1) | instskip(NEXT) | instid1(VALU_DEP_3)
	v_fma_f64 v[36:37], -v[34:35], v[42:43], 1.0
	v_fmaak_f64 v[44:45], v[40:41], v[44:45], 0x3ec71dee623fde64
	s_delay_alu instid0(VALU_DEP_1) | instskip(SKIP_1) | instid1(VALU_DEP_2)
	v_fmaak_f64 v[32:33], v[40:41], v[44:45], 0x3efa01997c89e6b0
	v_cvt_i32_f64_e32 v44, v[18:19]
	v_fmaak_f64 v[32:33], v[40:41], v[32:33], 0x3f2a01a014761f6e
	s_delay_alu instid0(VALU_DEP_1) | instskip(NEXT) | instid1(VALU_DEP_1)
	v_fmaak_f64 v[32:33], v[40:41], v[32:33], 0x3f56c16c1852b7b0
	v_fmaak_f64 v[32:33], v[40:41], v[32:33], 0x3f81111111122322
	v_fmac_f64_e32 v[42:43], v[36:37], v[42:43]
	v_add_f64_e32 v[36:37], v[38:39], v[20:21]
	s_delay_alu instid0(VALU_DEP_3) | instskip(NEXT) | instid1(VALU_DEP_1)
	v_fmaak_f64 v[32:33], v[40:41], v[32:33], 0x3fa55555555502a1
	v_fmaak_f64 v[32:33], v[40:41], v[32:33], 0x3fc5555555555511
	s_delay_alu instid0(VALU_DEP_1) | instskip(NEXT) | instid1(VALU_DEP_1)
	v_fmaak_f64 v[32:33], v[40:41], v[32:33], 0x3fe000000000000b
	v_fma_f64 v[32:33], v[40:41], v[32:33], 1.0
	v_fma_f64 v[30:31], -v[34:35], v[42:43], 1.0
	s_delay_alu instid0(VALU_DEP_2) | instskip(NEXT) | instid1(VALU_DEP_2)
	v_fma_f64 v[18:19], v[40:41], v[32:33], 1.0
	v_fmac_f64_e32 v[42:43], v[30:31], v[42:43]
	s_delay_alu instid0(VALU_DEP_2) | instskip(NEXT) | instid1(VALU_DEP_2)
	v_ldexp_f64 v[18:19], v[18:19], v44
	v_mul_f64_e32 v[30:31], v[36:37], v[42:43]
	s_delay_alu instid0(VALU_DEP_2) | instskip(NEXT) | instid1(VALU_DEP_2)
	v_add_f64_e32 v[18:19], 1.0, v[18:19]
	v_mul_f64_e32 v[32:33], v[34:35], v[30:31]
	s_delay_alu instid0(VALU_DEP_1) | instskip(NEXT) | instid1(VALU_DEP_3)
	v_fma_f64 v[16:17], v[30:31], v[34:35], -v[32:33]
	v_div_scale_f64 v[34:35], null, v[18:19], v[18:19], 1.0
	s_delay_alu instid0(VALU_DEP_2) | instskip(NEXT) | instid1(VALU_DEP_2)
	v_fmac_f64_e32 v[16:17], v[30:31], v[14:15]
	v_rcp_f64_e32 v[14:15], v[34:35]
	s_delay_alu instid0(VALU_DEP_1) | instskip(NEXT) | instid1(TRANS32_DEP_1)
	v_add_f64_e32 v[40:41], v[32:33], v[16:17]
	v_fma_f64 v[44:45], -v[34:35], v[14:15], 1.0
	s_delay_alu instid0(VALU_DEP_2) | instskip(SKIP_1) | instid1(VALU_DEP_3)
	v_add_f64_e64 v[56:57], v[36:37], -v[40:41]
	v_add_f64_e64 v[32:33], v[40:41], -v[32:33]
	v_fmac_f64_e32 v[14:15], v[14:15], v[44:45]
	s_delay_alu instid0(VALU_DEP_3) | instskip(SKIP_1) | instid1(VALU_DEP_4)
	v_add_f64_e64 v[44:45], v[36:37], -v[56:57]
	v_add_f64_e64 v[36:37], v[36:37], -v[38:39]
	v_add_f64_e64 v[16:17], v[16:17], -v[32:33]
	v_div_scale_f64 v[38:39], vcc_lo, 1.0, v[18:19], 1.0
	v_fma_f64 v[58:59], -v[34:35], v[14:15], 1.0
	v_add_f64_e64 v[32:33], v[44:45], -v[40:41]
	v_add_f64_e64 v[20:21], v[20:21], -v[36:37]
	v_mul_u64_e32 v[36:37], s[44:45], v[8:9]
	v_mul_u64_e32 v[40:41], s[44:45], v[10:11]
	;; [unrolled: 1-line block ×3, first 2 shown]
	v_xor_b32_e32 v9, s72, v54
	v_xor_b32_e32 v11, s72, v55
	v_fmac_f64_e32 v[14:15], v[14:15], v[58:59]
	v_add_f64_e64 v[16:17], v[32:33], -v[16:17]
	v_mul_lo_u32 v36, v41, s68
	v_mul_lo_u32 v40, v45, s71
	s_delay_alu instid0(VALU_DEP_4) | instskip(NEXT) | instid1(VALU_DEP_3)
	v_mul_f64_e32 v[32:33], v[38:39], v[14:15]
	v_sub_nc_u32_e32 v10, v10, v36
	s_delay_alu instid0(VALU_DEP_3) | instskip(NEXT) | instid1(VALU_DEP_2)
	v_sub_nc_u32_e32 v36, v2, v40
	v_cmp_le_u32_e64 s2, s68, v10
	s_delay_alu instid0(VALU_DEP_2)
	v_cmp_le_u32_e64 s3, s71, v36
	v_add_f64_e32 v[16:17], v[20:21], v[16:17]
	v_fma_f64 v[20:21], -v[34:35], v[32:33], v[38:39]
	v_mul_u64_e32 v[34:35], s[44:45], v[4:5]
	v_mul_u64_e32 v[38:39], s[44:45], v[6:7]
	v_mul_lo_u32 v7, v37, s68
	s_delay_alu instid0(VALU_DEP_1) | instskip(NEXT) | instid1(VALU_DEP_1)
	v_sub_nc_u32_e32 v8, v8, v7
	v_cmp_le_u32_e64 s0, s68, v8
	v_add_f64_e32 v[16:17], v[56:57], v[16:17]
	v_mul_u64_e32 v[56:57], s[50:51], v[2:3]
	v_div_fmas_f64 v[14:15], v[20:21], v[14:15], v[32:33]
	v_mul_lo_u32 v5, v35, s68
	v_mul_lo_u32 v34, v39, s68
	v_add_nc_u32_e32 v38, 1, v35
	v_xor_b32_e32 v32, s75, v51
	v_dual_add_nc_u32 v51, 1, v41 :: v_dual_bitop2_b32 v33, s76, v51 bitop3:0x14
	v_dual_add_nc_u32 v44, 1, v39 :: v_dual_bitop2_b32 v20, s72, v52 bitop3:0x14
	v_add_nc_u32_e32 v52, 1, v45
	v_xor_b32_e32 v21, s72, v53
	v_dual_sub_nc_u32 v54, v4, v5 :: v_dual_sub_nc_u32 v34, v6, v34
	s_delay_alu instid0(VALU_DEP_1) | instskip(NEXT) | instid1(VALU_DEP_2)
	v_cmp_le_u32_e32 vcc_lo, s68, v54
	v_cmp_le_u32_e64 s1, s68, v34
	v_cndmask_b32_e32 v35, v35, v38, vcc_lo
	s_delay_alu instid0(VALU_DEP_2) | instskip(SKIP_3) | instid1(VALU_DEP_2)
	v_cndmask_b32_e64 v38, v39, v44, s1
	v_mul_f64_e32 v[16:17], v[42:43], v[16:17]
	v_add_nc_u32_e32 v43, 1, v37
	v_mul_lo_u32 v42, v57, s73
	v_dual_add_nc_u32 v53, 1, v57 :: v_dual_cndmask_b32 v37, v37, v43, s0
	v_div_fixup_f64 v[4:5], v[14:15], v[18:19], 1.0
	v_subrev_nc_u32_e32 v14, s68, v54
	v_subrev_nc_u32_e32 v15, s68, v8
	v_subrev_nc_u32_e32 v18, s68, v10
	s_delay_alu instid0(VALU_DEP_3) | instskip(NEXT) | instid1(VALU_DEP_2)
	v_dual_cndmask_b32 v19, v45, v52, s3 :: v_dual_cndmask_b32 v14, v54, v14, vcc_lo
	v_dual_cndmask_b32 v8, v8, v15, s0 :: v_dual_cndmask_b32 v10, v10, v18, s2
	v_dual_add_nc_u32 v18, 1, v35 :: v_dual_sub_nc_u32 v2, v2, v42
	s_delay_alu instid0(VALU_DEP_3) | instskip(SKIP_1) | instid1(VALU_DEP_3)
	v_cmp_le_u32_e32 vcc_lo, s68, v14
	v_cmp_ngt_f64_e64 s0, 0xc0900000, v[12:13]
	v_cmp_le_u32_e64 s4, s73, v2
	s_delay_alu instid0(VALU_DEP_4) | instskip(SKIP_1) | instid1(VALU_DEP_3)
	v_cndmask_b32_e32 v14, v35, v18, vcc_lo
	v_cmp_le_u32_e32 vcc_lo, s68, v8
	v_cndmask_b32_e64 v39, v57, v53, s4
	s_delay_alu instid0(VALU_DEP_3)
	v_xor_b32_e32 v14, v14, v9
	v_add_f64_e32 v[6:7], v[30:31], v[16:17]
	v_subrev_nc_u32_e32 v17, s68, v34
	v_subrev_nc_u32_e32 v30, s71, v36
	v_cndmask_b32_e64 v16, v41, v51, s2
	v_cmp_gt_f64_e64 s2, 0x3e400000, |v[26:27]|
	v_subrev_nc_u32_e32 v31, s73, v2
	s_delay_alu instid0(VALU_DEP_4) | instskip(SKIP_2) | instid1(VALU_DEP_4)
	v_dual_cndmask_b32 v15, v34, v17, s1 :: v_dual_cndmask_b32 v17, v36, v30, s3
	v_add_nc_u32_e32 v30, 1, v37
	v_cmp_nlt_f64_e64 s1, 0x4090cc00, v[12:13]
	v_dual_cndmask_b32 v2, v2, v31, s4 :: v_dual_add_nc_u32 v31, 1, v38
	s_delay_alu instid0(VALU_DEP_4) | instskip(NEXT) | instid1(VALU_DEP_4)
	v_cmp_le_u32_e64 s3, s68, v15
	v_cndmask_b32_e32 v8, v37, v30, vcc_lo
	v_cmp_nlt_f64_e64 vcc_lo, 0x40331000, |v[26:27]|
	v_dual_add_nc_u32 v34, 1, v16 :: v_dual_add_nc_u32 v36, 1, v19
	s_delay_alu instid0(VALU_DEP_4) | instskip(SKIP_4) | instid1(VALU_DEP_4)
	v_cndmask_b32_e64 v13, v38, v31, s3
	v_cmp_le_u32_e64 s3, s68, v10
	v_add_nc_u32_e32 v40, 1, v39
	v_xor_b32_e32 v8, v8, v11
	v_and_b32_e32 v12, 0x7fffffff, v27
	v_dual_cndmask_b32 v10, v16, v34, s3 :: v_dual_bitop2_b32 v13, v13, v20 bitop3:0x14
	v_cmp_le_u32_e64 s3, s71, v17
	s_delay_alu instid0(VALU_DEP_4) | instskip(NEXT) | instid1(VALU_DEP_3)
	v_dual_sub_nc_u32 v9, v14, v9 :: v_dual_sub_nc_u32 v8, v8, v11
	v_dual_sub_nc_u32 v11, v13, v20 :: v_dual_bitop2_b32 v10, v10, v21 bitop3:0x14
	s_delay_alu instid0(VALU_DEP_3) | instskip(SKIP_3) | instid1(VALU_DEP_4)
	v_cndmask_b32_e64 v15, v19, v36, s3
	v_cmp_le_u32_e64 s3, s73, v2
	v_cndmask_b32_e64 v5, 0, v5, s0
	v_mul_lo_u32 v14, v9, s60
	v_dual_sub_nc_u32 v10, v10, v21 :: v_dual_bitop2_b32 v15, v15, v32 bitop3:0x14
	s_delay_alu instid0(VALU_DEP_4) | instskip(SKIP_1) | instid1(VALU_DEP_3)
	v_cndmask_b32_e64 v2, v39, v40, s3
	v_mul_lo_u32 v16, v11, s60
	v_mul_lo_u32 v17, v10, s60
	s_delay_alu instid0(VALU_DEP_3) | instskip(SKIP_3) | instid1(VALU_DEP_4)
	v_dual_sub_nc_u32 v13, v15, v32 :: v_dual_bitop2_b32 v2, v2, v33 bitop3:0x14
	v_mul_lo_u32 v15, v8, s60
	v_cndmask_b32_e64 v5, 0x3ff00000, v5, s1
	v_sub_nc_u32_e32 v14, v47, v14
	v_mad_u32 v18, s80, v13, v46
	v_dual_cndmask_b32 v7, 0x3ff00000, v7 :: v_dual_sub_nc_u32 v2, v2, v33
	v_cndmask_b32_e32 v6, 0, v6, vcc_lo
	s_and_b32 vcc_lo, s1, s0
	v_sub_nc_u32_e32 v16, v49, v16
	v_cndmask_b32_e32 v4, 0, v4, vcc_lo
	s_delay_alu instid0(VALU_DEP_3) | instskip(SKIP_2) | instid1(VALU_DEP_3)
	v_dual_cndmask_b32 v7, v7, v12, s2 :: v_dual_cndmask_b32 v6, v6, v26, s2
	v_mad_u32 v12, s81, v2, v46
	v_dual_sub_nc_u32 v15, v48, v15 :: v_dual_sub_nc_u32 v17, v50, v17
	v_bfi_b32 v7, 0x7fffffff, v7, v27
	v_dual_add_nc_u32 v14, v46, v14 :: v_dual_add_nc_u32 v16, v46, v16
	s_delay_alu instid0(VALU_DEP_3) | instskip(SKIP_1) | instid1(VALU_DEP_4)
	v_add_nc_u32_e32 v15, v46, v15
	v_mul_lo_u32 v18, v18, s29
	v_dual_mul_f64 v[6:7], v[4:5], v[6:7] :: v_dual_add_nc_u32 v17, v46, v17
	s_delay_alu instid0(VALU_DEP_4)
	v_mul_lo_u32 v14, v14, s39
	v_mul_lo_u32 v12, v12, s35
	;; [unrolled: 1-line block ×5, first 2 shown]
	v_add_nc_u32_e32 v46, s64, v46
	v_mad_u32 v13, v13, s28, v18
	s_delay_alu instid0(VALU_DEP_2)
	v_cmp_le_i32_e32 vcc_lo, s7, v46
	v_mad_u32 v9, v9, s38, v14
	v_mad_u32 v2, v2, s34, v12
	;; [unrolled: 1-line block ×5, first 2 shown]
	s_or_b32 s82, vcc_lo, s82
	global_store_b64 v13, v[6:7], s[26:27] scale_offset
	global_store_b64 v2, v[26:27], s[30:31] scale_offset
	s_clause 0x3
	global_store_b64 v9, v[22:23], s[36:37] scale_offset
	global_store_b64 v8, v[28:29], s[36:37] scale_offset
	;; [unrolled: 1-line block ×4, first 2 shown]
	s_wait_xcnt 0x0
	s_and_not1_b32 exec_lo, exec_lo, s82
	s_cbranch_execz .LBB1_6
.LBB1_4:                                ; =>This Inner Loop Header: Depth=1
	v_dual_mov_b32 v9, v3 :: v_dual_sub_nc_u32 v2, 0, v46
	s_delay_alu instid0(VALU_DEP_1) | instskip(NEXT) | instid1(VALU_DEP_1)
	v_dual_mov_b32 v11, v3 :: v_dual_max_i32 v2, v46, v2
	v_mul_u64_e32 v[4:5], s[8:9], v[2:3]
	s_delay_alu instid0(VALU_DEP_1) | instskip(NEXT) | instid1(VALU_DEP_1)
	v_mul_lo_u32 v4, v5, s62
	v_dual_add_nc_u32 v6, 1, v5 :: v_dual_sub_nc_u32 v4, v2, v4
	s_delay_alu instid0(VALU_DEP_1) | instskip(NEXT) | instid1(VALU_DEP_2)
	v_cmp_le_u32_e32 vcc_lo, s62, v4
	v_cndmask_b32_e32 v5, v5, v6, vcc_lo
	v_subrev_nc_u32_e32 v7, s62, v4
	s_delay_alu instid0(VALU_DEP_2) | instskip(NEXT) | instid1(VALU_DEP_2)
	v_dual_ashrrev_i32 v51, 31, v46 :: v_dual_add_nc_u32 v6, 1, v5
	v_cndmask_b32_e32 v4, v4, v7, vcc_lo
	v_mul_u64_e32 v[12:13], s[46:47], v[2:3]
	s_delay_alu instid0(VALU_DEP_2) | instskip(NEXT) | instid1(VALU_DEP_4)
	v_cmp_le_u32_e32 vcc_lo, s62, v4
	v_dual_cndmask_b32 v4, v5, v6, vcc_lo :: v_dual_bitop2_b32 v17, s65, v51 bitop3:0x14
	s_delay_alu instid0(VALU_DEP_1) | instskip(SKIP_1) | instid1(VALU_DEP_2)
	v_xor_b32_e32 v18, v4, v17
	v_mul_i32_i24_e32 v4, 3, v17
	v_lshl_add_u32 v5, v18, 1, v18
	s_delay_alu instid0(VALU_DEP_1) | instskip(NEXT) | instid1(VALU_DEP_1)
	v_dual_sub_nc_u32 v4, v5, v4 :: v_dual_sub_nc_u32 v16, v18, v17
	v_dual_mov_b32 v5, v3 :: v_dual_add_nc_u32 v6, 2, v4
	s_delay_alu instid0(VALU_DEP_2)
	v_mul_lo_u32 v47, s77, v16
	v_mad_u32 v48, s6, v4, s6
	v_add_nc_u32_e32 v4, 3, v4
	v_mul_lo_u32 v8, v13, s69
	v_mul_lo_u32 v49, s6, v6
	v_add_nc_u32_e32 v6, 1, v13
	s_delay_alu instid0(VALU_DEP_4) | instskip(SKIP_1) | instid1(VALU_DEP_4)
	v_mul_lo_u32 v50, s6, v4
	v_dual_mov_b32 v7, v3 :: v_dual_add_nc_u32 v10, v46, v47
	v_dual_add_nc_u32 v4, v46, v48 :: v_dual_add_nc_u32 v12, v46, v49
	s_delay_alu instid0(VALU_DEP_2) | instskip(NEXT) | instid1(VALU_DEP_2)
	v_dual_ashrrev_i32 v54, 31, v10 :: v_dual_sub_nc_u32 v10, v2, v8
	v_dual_ashrrev_i32 v55, 31, v4 :: v_dual_add_nc_u32 v14, v46, v50
	s_delay_alu instid0(VALU_DEP_3) | instskip(NEXT) | instid1(VALU_DEP_3)
	v_ashrrev_i32_e32 v52, 31, v12
	v_add3_u32 v8, v54, v47, v46
	s_delay_alu instid0(VALU_DEP_4) | instskip(SKIP_2) | instid1(VALU_DEP_4)
	v_cmp_le_u32_e32 vcc_lo, s69, v10
	v_subrev_nc_u32_e32 v20, s69, v10
	v_ashrrev_i32_e32 v53, 31, v14
	v_xor_b32_e32 v4, v8, v54
	v_cndmask_b32_e32 v19, v13, v6, vcc_lo
	v_add3_u32 v6, v55, v48, v46
	s_delay_alu instid0(VALU_DEP_3) | instskip(SKIP_4) | instid1(VALU_DEP_4)
	v_mul_u64_e32 v[14:15], s[42:43], v[4:5]
	v_cndmask_b32_e32 v14, v10, v20, vcc_lo
	v_mul_u64_e32 v[12:13], s[40:41], v[4:5]
	v_add3_u32 v12, v52, v49, v46
	v_xor_b32_e32 v8, v6, v55
	v_cmp_le_u32_e32 vcc_lo, s69, v14
	v_xor_b32_e32 v14, s67, v54
	s_delay_alu instid0(VALU_DEP_4)
	v_xor_b32_e32 v6, v12, v52
	v_add3_u32 v22, v53, v50, v46
	v_mul_u64_e32 v[20:21], s[40:41], v[8:9]
	v_add_nc_u32_e32 v12, 1, v19
	v_xor_b32_e32 v20, s74, v51
	v_mul_u64_e32 v[24:25], s[40:41], v[6:7]
	v_xor_b32_e32 v10, v22, v53
	v_mul_u64_e32 v[22:23], s[42:43], v[8:9]
	v_mul_u64_e32 v[28:29], s[42:43], v[6:7]
	v_dual_cndmask_b32 v12, v19, v12, vcc_lo :: v_dual_bitop2_b32 v19, s70, v54 bitop3:0x14
	s_delay_alu instid0(VALU_DEP_4) | instskip(SKIP_2) | instid1(VALU_DEP_4)
	v_mul_u64_e32 v[30:31], s[42:43], v[10:11]
	v_mul_u64_e32 v[26:27], s[40:41], v[10:11]
	v_xor_b32_e32 v24, s67, v52
	v_xor_b32_e32 v12, v12, v20
	;; [unrolled: 1-line block ×5, first 2 shown]
	v_mul_lo_u32 v33, v15, s66
	v_add_nc_u32_e32 v35, 1, v15
	v_mul_lo_u32 v32, v13, s63
	v_xor_b32_e32 v30, s70, v53
	v_dual_add_nc_u32 v34, 1, v13 :: v_dual_sub_nc_u32 v12, v12, v20
	v_dual_add_nc_u32 v37, 1, v21 :: v_dual_bitop2_b32 v20, s67, v55 bitop3:0x14
	v_mul_lo_u32 v36, v21, s63
	v_dual_sub_nc_u32 v33, v4, v33 :: v_dual_sub_nc_u32 v32, v4, v32
	v_mul_lo_u32 v40, v25, s63
	v_mul_lo_u32 v38, v23, s66
	;; [unrolled: 1-line block ×3, first 2 shown]
	v_add_nc_u32_e32 v39, 1, v23
	v_cmp_le_u32_e32 vcc_lo, s63, v32
	v_add_nc_u32_e32 v57, 1, v31
	v_cmp_le_u32_e64 s0, s66, v33
	v_mul_lo_u32 v42, v27, s63
	v_mul_lo_u32 v56, v31, s66
	v_dual_cndmask_b32 v13, v13, v34 :: v_dual_sub_nc_u32 v34, v8, v36
	s_delay_alu instid0(VALU_DEP_4) | instskip(SKIP_2) | instid1(VALU_DEP_4)
	v_dual_cndmask_b32 v15, v15, v35, s0 :: v_dual_sub_nc_u32 v36, v8, v38
	v_subrev_nc_u32_e32 v35, s63, v32
	v_subrev_nc_u32_e32 v38, s66, v33
	v_cmp_le_u32_e64 s1, s63, v34
	v_dual_add_nc_u32 v41, 1, v25 :: v_dual_add_nc_u32 v43, 1, v27
	s_delay_alu instid0(VALU_DEP_4) | instskip(SKIP_1) | instid1(VALU_DEP_4)
	v_cndmask_b32_e32 v32, v32, v35, vcc_lo
	v_cmp_le_u32_e32 vcc_lo, s66, v36
	v_cndmask_b32_e64 v21, v21, v37, s1
	v_add_nc_u32_e32 v35, 1, v13
	v_subrev_nc_u32_e32 v37, s63, v34
	v_dual_cndmask_b32 v33, v33, v38, s0 :: v_dual_cndmask_b32 v23, v23, v39, vcc_lo
	v_sub_nc_u32_e32 v39, v6, v40
	v_dual_sub_nc_u32 v40, v10, v42 :: v_dual_add_nc_u32 v38, 1, v15
	v_subrev_nc_u32_e32 v42, s66, v36
	v_cmp_le_u32_e64 s0, s63, v32
	v_dual_sub_nc_u32 v44, v6, v44 :: v_dual_add_nc_u32 v45, 1, v29
	v_sub_nc_u32_e32 v56, v10, v56
	s_delay_alu instid0(VALU_DEP_3)
	v_dual_cndmask_b32 v32, v34, v37, s1 :: v_dual_cndmask_b32 v13, v13, v35, s0
	v_cmp_le_u32_e64 s0, s63, v39
	v_subrev_nc_u32_e32 v35, s63, v39
	v_cmp_le_u32_e64 s1, s63, v40
	v_cmp_le_u32_e64 s2, s66, v33
	v_dual_cndmask_b32 v33, v36, v42 :: v_dual_add_nc_u32 v36, 1, v23
	v_cmp_le_u32_e32 vcc_lo, s66, v44
	v_add_nc_u32_e32 v34, 1, v21
	s_delay_alu instid0(VALU_DEP_4)
	v_dual_cndmask_b32 v25, v25, v41, s0 :: v_dual_cndmask_b32 v15, v15, v38, s2
	v_cndmask_b32_e64 v27, v27, v43, s1
	v_subrev_nc_u32_e32 v37, s63, v40
	v_cndmask_b32_e32 v29, v29, v45, vcc_lo
	v_subrev_nc_u32_e32 v38, s66, v44
	v_cmp_le_u32_e64 s2, s66, v56
	v_cmp_le_u32_e64 s3, s63, v32
	v_cndmask_b32_e64 v32, v39, v35, s0
	v_subrev_nc_u32_e32 v41, s66, v56
	s_delay_alu instid0(VALU_DEP_4) | instskip(NEXT) | instid1(VALU_DEP_4)
	v_dual_cndmask_b32 v31, v31, v57, s2 :: v_dual_bitop2_b32 v13, v13, v14 bitop3:0x14
	v_dual_cndmask_b32 v21, v21, v34, s3 :: v_dual_add_nc_u32 v34, 1, v25
	v_dual_cndmask_b32 v35, v40, v37, s1 :: v_dual_add_nc_u32 v37, 1, v27
	v_xor_b32_e32 v15, v15, v19
	v_cmp_le_u32_e64 s0, s66, v33
	v_cndmask_b32_e32 v33, v44, v38, vcc_lo
	v_cmp_le_u32_e32 vcc_lo, s63, v32
	v_dual_cndmask_b32 v38, v56, v41, s2 :: v_dual_add_nc_u32 v39, 1, v31
	v_sub_nc_u32_e32 v13, v13, v14
	v_dual_sub_nc_u32 v15, v15, v19 :: v_dual_bitop2_b32 v14, v21, v20 bitop3:0x14
	v_cndmask_b32_e32 v21, v25, v34, vcc_lo
	v_cmp_le_u32_e32 vcc_lo, s63, v35
	v_dual_cndmask_b32 v23, v23, v36, s0 :: v_dual_add_nc_u32 v36, 1, v29
	v_mad_u32 v32, s79, v12, v46
	v_cndmask_b32_e32 v25, v27, v37, vcc_lo
	v_cmp_le_u32_e32 vcc_lo, s66, v33
	s_delay_alu instid0(VALU_DEP_4) | instskip(SKIP_3) | instid1(VALU_DEP_4)
	v_dual_sub_nc_u32 v14, v14, v20 :: v_dual_bitop2_b32 v19, v23, v22 bitop3:0x14
	v_cndmask_b32_e32 v23, v29, v36, vcc_lo
	v_cmp_le_u32_e32 vcc_lo, s66, v38
	v_mul_lo_u32 v29, v13, s5
	v_sub_nc_u32_e32 v19, v19, v22
	v_mul_lo_u32 v32, v32, s25
	v_dual_cndmask_b32 v27, v31, v39, vcc_lo :: v_dual_bitop2_b32 v20, v21, v24 bitop3:0x14
	v_xor_b32_e32 v21, v25, v26
	v_xor_b32_e32 v22, v23, v28
	v_mul_lo_u32 v25, v15, s33
	s_delay_alu instid0(VALU_DEP_4) | instskip(SKIP_1) | instid1(VALU_DEP_4)
	v_dual_sub_nc_u32 v20, v20, v24 :: v_dual_bitop2_b32 v23, v27, v30 bitop3:0x14
	v_mul_lo_u32 v27, v14, s5
	v_dual_sub_nc_u32 v21, v21, v26 :: v_dual_sub_nc_u32 v22, v22, v28
	s_delay_alu instid0(VALU_DEP_3)
	v_sub_nc_u32_e32 v23, v23, v30
	v_mul_lo_u32 v24, v19, s33
	v_mul_lo_u32 v26, v20, s5
	v_sub_nc_u32_e32 v28, v47, v29
	v_mul_lo_u32 v29, v21, s5
	v_mul_lo_u32 v30, v22, s33
	;; [unrolled: 1-line block ×3, first 2 shown]
	v_mad_u32 v32, v12, s24, v32
	v_dual_sub_nc_u32 v27, v48, v27 :: v_dual_sub_nc_u32 v25, v47, v25
	v_add_nc_u32_e32 v28, v46, v28
	s_and_not1_b32 vcc_lo, exec_lo, s61
	s_delay_alu instid0(VALU_DEP_2) | instskip(NEXT) | instid1(VALU_DEP_3)
	v_dual_sub_nc_u32 v24, v48, v24 :: v_dual_add_nc_u32 v27, v46, v27
	v_dual_sub_nc_u32 v26, v49, v26 :: v_dual_add_nc_u32 v25, v46, v25
	v_dual_sub_nc_u32 v29, v50, v29 :: v_dual_sub_nc_u32 v30, v49, v30
	s_delay_alu instid0(VALU_DEP_2) | instskip(SKIP_1) | instid1(VALU_DEP_3)
	v_dual_add_nc_u32 v24, v46, v24 :: v_dual_add_nc_u32 v26, v46, v26
	v_sub_nc_u32_e32 v31, v50, v31
	v_dual_add_nc_u32 v29, v46, v29 :: v_dual_add_nc_u32 v30, v46, v30
	v_mul_lo_u32 v28, v28, s15
	v_mul_lo_u32 v27, v27, s15
	s_delay_alu instid0(VALU_DEP_4)
	v_add_nc_u32_e32 v31, v46, v31
	v_mul_lo_u32 v26, v26, s15
	v_mul_lo_u32 v29, v29, s15
	;; [unrolled: 1-line block ×6, first 2 shown]
	v_mad_u32 v13, v13, s14, v28
	v_mad_u32 v14, v14, s14, v27
	;; [unrolled: 1-line block ×8, first 2 shown]
	s_clause 0x3
	global_load_b64 v[26:27], v13, s[12:13] scale_offset
	global_load_b64 v[22:23], v14, s[12:13] scale_offset
	;; [unrolled: 1-line block ×4, first 2 shown]
	s_clause 0x3
	global_load_b64 v[28:29], v15, s[16:17] scale_offset
	global_load_b64 v[24:25], v19, s[16:17] scale_offset
	;; [unrolled: 1-line block ×5, first 2 shown]
	s_cbranch_vccz .LBB1_2
; %bb.5:                                ;   in Loop: Header=BB1_4 Depth=1
	s_wait_xcnt 0x1
	v_mov_b64_e32 v[30:31], 0
	v_mov_b64_e32 v[42:43], 0
	v_mov_b64_e32 v[16:17], 0
	s_wait_xcnt 0x0
	v_mov_b64_e32 v[32:33], 0
	v_mov_b64_e32 v[18:19], 0
	;; [unrolled: 1-line block ×5, first 2 shown]
	s_branch .LBB1_3
.LBB1_6:
	s_sendmsg sendmsg(MSG_DEALLOC_VGPRS)
	s_endpgm
	.section	.rodata,"a",@progbits
	.p2align	6, 0x0
	.amdhsa_kernel _ZN2at6native12_GLOBAL__N_16kernel17lstm_cell_forwardIddiLi2EEEvNS_4cuda6detail10TensorInfoIT_T1_EES9_S9_S9_S9_S9_S9_S9_S8_S8_
		.amdhsa_group_segment_fixed_size 0
		.amdhsa_private_segment_fixed_size 0
		.amdhsa_kernarg_size 1992
		.amdhsa_user_sgpr_count 2
		.amdhsa_user_sgpr_dispatch_ptr 0
		.amdhsa_user_sgpr_queue_ptr 0
		.amdhsa_user_sgpr_kernarg_segment_ptr 1
		.amdhsa_user_sgpr_dispatch_id 0
		.amdhsa_user_sgpr_kernarg_preload_length 0
		.amdhsa_user_sgpr_kernarg_preload_offset 0
		.amdhsa_user_sgpr_private_segment_size 0
		.amdhsa_wavefront_size32 1
		.amdhsa_uses_dynamic_stack 0
		.amdhsa_enable_private_segment 0
		.amdhsa_system_sgpr_workgroup_id_x 1
		.amdhsa_system_sgpr_workgroup_id_y 0
		.amdhsa_system_sgpr_workgroup_id_z 0
		.amdhsa_system_sgpr_workgroup_info 0
		.amdhsa_system_vgpr_workitem_id 0
		.amdhsa_next_free_vgpr 72
		.amdhsa_next_free_sgpr 83
		.amdhsa_named_barrier_count 0
		.amdhsa_reserve_vcc 1
		.amdhsa_float_round_mode_32 0
		.amdhsa_float_round_mode_16_64 0
		.amdhsa_float_denorm_mode_32 3
		.amdhsa_float_denorm_mode_16_64 3
		.amdhsa_fp16_overflow 0
		.amdhsa_memory_ordered 1
		.amdhsa_forward_progress 1
		.amdhsa_inst_pref_size 54
		.amdhsa_round_robin_scheduling 0
		.amdhsa_exception_fp_ieee_invalid_op 0
		.amdhsa_exception_fp_denorm_src 0
		.amdhsa_exception_fp_ieee_div_zero 0
		.amdhsa_exception_fp_ieee_overflow 0
		.amdhsa_exception_fp_ieee_underflow 0
		.amdhsa_exception_fp_ieee_inexact 0
		.amdhsa_exception_int_div_zero 0
	.end_amdhsa_kernel
	.section	.text._ZN2at6native12_GLOBAL__N_16kernel17lstm_cell_forwardIddiLi2EEEvNS_4cuda6detail10TensorInfoIT_T1_EES9_S9_S9_S9_S9_S9_S9_S8_S8_,"axG",@progbits,_ZN2at6native12_GLOBAL__N_16kernel17lstm_cell_forwardIddiLi2EEEvNS_4cuda6detail10TensorInfoIT_T1_EES9_S9_S9_S9_S9_S9_S9_S8_S8_,comdat
.Lfunc_end1:
	.size	_ZN2at6native12_GLOBAL__N_16kernel17lstm_cell_forwardIddiLi2EEEvNS_4cuda6detail10TensorInfoIT_T1_EES9_S9_S9_S9_S9_S9_S9_S8_S8_, .Lfunc_end1-_ZN2at6native12_GLOBAL__N_16kernel17lstm_cell_forwardIddiLi2EEEvNS_4cuda6detail10TensorInfoIT_T1_EES9_S9_S9_S9_S9_S9_S9_S8_S8_
                                        ; -- End function
	.set _ZN2at6native12_GLOBAL__N_16kernel17lstm_cell_forwardIddiLi2EEEvNS_4cuda6detail10TensorInfoIT_T1_EES9_S9_S9_S9_S9_S9_S9_S8_S8_.num_vgpr, 72
	.set _ZN2at6native12_GLOBAL__N_16kernel17lstm_cell_forwardIddiLi2EEEvNS_4cuda6detail10TensorInfoIT_T1_EES9_S9_S9_S9_S9_S9_S9_S8_S8_.num_agpr, 0
	.set _ZN2at6native12_GLOBAL__N_16kernel17lstm_cell_forwardIddiLi2EEEvNS_4cuda6detail10TensorInfoIT_T1_EES9_S9_S9_S9_S9_S9_S9_S8_S8_.numbered_sgpr, 83
	.set _ZN2at6native12_GLOBAL__N_16kernel17lstm_cell_forwardIddiLi2EEEvNS_4cuda6detail10TensorInfoIT_T1_EES9_S9_S9_S9_S9_S9_S9_S8_S8_.num_named_barrier, 0
	.set _ZN2at6native12_GLOBAL__N_16kernel17lstm_cell_forwardIddiLi2EEEvNS_4cuda6detail10TensorInfoIT_T1_EES9_S9_S9_S9_S9_S9_S9_S8_S8_.private_seg_size, 0
	.set _ZN2at6native12_GLOBAL__N_16kernel17lstm_cell_forwardIddiLi2EEEvNS_4cuda6detail10TensorInfoIT_T1_EES9_S9_S9_S9_S9_S9_S9_S8_S8_.uses_vcc, 1
	.set _ZN2at6native12_GLOBAL__N_16kernel17lstm_cell_forwardIddiLi2EEEvNS_4cuda6detail10TensorInfoIT_T1_EES9_S9_S9_S9_S9_S9_S9_S8_S8_.uses_flat_scratch, 0
	.set _ZN2at6native12_GLOBAL__N_16kernel17lstm_cell_forwardIddiLi2EEEvNS_4cuda6detail10TensorInfoIT_T1_EES9_S9_S9_S9_S9_S9_S9_S8_S8_.has_dyn_sized_stack, 0
	.set _ZN2at6native12_GLOBAL__N_16kernel17lstm_cell_forwardIddiLi2EEEvNS_4cuda6detail10TensorInfoIT_T1_EES9_S9_S9_S9_S9_S9_S9_S8_S8_.has_recursion, 0
	.set _ZN2at6native12_GLOBAL__N_16kernel17lstm_cell_forwardIddiLi2EEEvNS_4cuda6detail10TensorInfoIT_T1_EES9_S9_S9_S9_S9_S9_S9_S8_S8_.has_indirect_call, 0
	.section	.AMDGPU.csdata,"",@progbits
; Kernel info:
; codeLenInByte = 6900
; TotalNumSgprs: 85
; NumVgprs: 72
; ScratchSize: 0
; MemoryBound: 0
; FloatMode: 240
; IeeeMode: 1
; LDSByteSize: 0 bytes/workgroup (compile time only)
; SGPRBlocks: 0
; VGPRBlocks: 4
; NumSGPRsForWavesPerEU: 85
; NumVGPRsForWavesPerEU: 72
; NamedBarCnt: 0
; Occupancy: 12
; WaveLimiterHint : 1
; COMPUTE_PGM_RSRC2:SCRATCH_EN: 0
; COMPUTE_PGM_RSRC2:USER_SGPR: 2
; COMPUTE_PGM_RSRC2:TRAP_HANDLER: 0
; COMPUTE_PGM_RSRC2:TGID_X_EN: 1
; COMPUTE_PGM_RSRC2:TGID_Y_EN: 0
; COMPUTE_PGM_RSRC2:TGID_Z_EN: 0
; COMPUTE_PGM_RSRC2:TIDIG_COMP_CNT: 0
	.section	.text._ZN2at6native12_GLOBAL__N_16kernel17lstm_cell_forwardIddlLi1EEEvNS_4cuda6detail10TensorInfoIT_T1_EES9_S9_S9_S9_S9_S9_S9_S8_S8_,"axG",@progbits,_ZN2at6native12_GLOBAL__N_16kernel17lstm_cell_forwardIddlLi1EEEvNS_4cuda6detail10TensorInfoIT_T1_EES9_S9_S9_S9_S9_S9_S9_S8_S8_,comdat
	.globl	_ZN2at6native12_GLOBAL__N_16kernel17lstm_cell_forwardIddlLi1EEEvNS_4cuda6detail10TensorInfoIT_T1_EES9_S9_S9_S9_S9_S9_S9_S8_S8_ ; -- Begin function _ZN2at6native12_GLOBAL__N_16kernel17lstm_cell_forwardIddlLi1EEEvNS_4cuda6detail10TensorInfoIT_T1_EES9_S9_S9_S9_S9_S9_S9_S8_S8_
	.p2align	8
	.type	_ZN2at6native12_GLOBAL__N_16kernel17lstm_cell_forwardIddlLi1EEEvNS_4cuda6detail10TensorInfoIT_T1_EES9_S9_S9_S9_S9_S9_S9_S8_S8_,@function
_ZN2at6native12_GLOBAL__N_16kernel17lstm_cell_forwardIddlLi1EEEvNS_4cuda6detail10TensorInfoIT_T1_EES9_S9_S9_S9_S9_S9_S9_S8_S8_: ; @_ZN2at6native12_GLOBAL__N_16kernel17lstm_cell_forwardIddlLi1EEEvNS_4cuda6detail10TensorInfoIT_T1_EES9_S9_S9_S9_S9_S9_S9_S8_S8_
; %bb.0:
	s_clause 0x1
	s_load_b32 s2, s[0:1], 0xd1c
	s_load_b128 s[8:11], s[0:1], 0xd00
	s_bfe_u32 s3, ttmp6, 0x4000c
	s_and_b32 s4, ttmp6, 15
	s_add_co_i32 s3, s3, 1
	s_getreg_b32 s5, hwreg(HW_REG_IB_STS2, 6, 4)
	s_mul_i32 s3, ttmp9, s3
	v_mov_b32_e32 v2, 0
	s_add_co_i32 s4, s4, s3
	s_delay_alu instid0(VALU_DEP_1)
	v_mov_b32_e32 v1, v2
	s_wait_kmcnt 0x0
	s_and_b32 s2, s2, 0xffff
	s_cmp_eq_u32 s5, 0
	s_mov_b32 s5, 0
	s_cselect_b32 s3, ttmp9, s4
	s_delay_alu instid0(SALU_CYCLE_1) | instskip(SKIP_1) | instid1(VALU_DEP_1)
	v_mad_u32 v0, s3, s2, v0
	s_mov_b32 s3, exec_lo
	v_cmpx_gt_i64_e64 s[10:11], v[0:1]
	s_cbranch_execz .LBB2_10
; %bb.1:
	s_clause 0x7
	s_load_b64 s[46:47], s[0:1], 0x750
	s_load_b64 s[48:49], s[0:1], 0x8f0
	;; [unrolled: 1-line block ×8, first 2 shown]
	s_add_nc_u64 s[30:31], s[0:1], 0xd10
	s_load_b64 s[14:15], s[0:1], 0x340
	s_load_b32 s3, s[30:31], 0x0
	s_clause 0x6
	s_load_b64 s[16:17], s[0:1], 0x0
	s_load_b64 s[18:19], s[0:1], 0xd0
	;; [unrolled: 1-line block ×7, first 2 shown]
	v_mov_b64_e32 v[4:5], 0x3e928af3fca7ab0c
	s_wait_xcnt 0x0
	s_mov_b32 s31, s5
	s_mul_u64 s[34:35], s[8:9], 3
	s_sub_nc_u64 s[36:37], 0, s[8:9]
	s_mov_b64 s[38:39], 0xffffffff
	s_mov_b64 s[40:41], 0xbfe62e42fefa39ef
	;; [unrolled: 1-line block ×4, first 2 shown]
                                        ; implicit-def: $vgpr12_vgpr13
                                        ; implicit-def: $vgpr12_vgpr13
	;; [unrolled: 1-line block ×8, first 2 shown]
	s_wait_kmcnt 0x0
	s_cmp_lg_u64 s[14:15], 0
	v_mul_u64_e32 v[6:7], s[46:47], v[0:1]
	v_mul_u64_e32 v[8:9], s[48:49], v[0:1]
	;; [unrolled: 1-line block ×3, first 2 shown]
	s_mul_i32 s30, s3, s2
	s_cselect_b32 s33, -1, 0
	s_mul_u64 s[0:1], s[30:31], s[46:47]
	s_mul_u64 s[2:3], s[30:31], s[48:49]
	s_mul_u64 s[50:51], s[30:31], s[50:51]
	s_lshl_b64 s[46:47], s[0:1], 3
	s_lshl_b64 s[48:49], s[2:3], 3
	;; [unrolled: 1-line block ×3, first 2 shown]
	s_delay_alu instid0(VALU_DEP_3) | instskip(NEXT) | instid1(VALU_DEP_3)
	v_lshl_add_u64 v[6:7], v[6:7], 3, s[52:53]
	v_lshl_add_u64 v[8:9], v[8:9], 3, s[54:55]
	s_delay_alu instid0(VALU_DEP_3)
	v_lshl_add_u64 v[10:11], v[10:11], 3, s[56:57]
	s_ashr_i32 s52, s9, 31
	s_mov_b32 s54, 0
	s_branch .LBB2_5
.LBB2_2:                                ;   in Loop: Header=BB2_5 Depth=1
	s_or_b32 exec_lo, exec_lo, s0
	s_delay_alu instid0(VALU_DEP_1) | instskip(SKIP_2) | instid1(VALU_DEP_1)
	v_mul_u64_e32 v[12:13], 3, v[24:25]
	v_mad_nc_u64_u32 v[18:19], s34, v24, v[0:1]
	s_and_not1_b32 vcc_lo, exec_lo, s33
	v_mad_u32 v3, s35, v24, v19
	s_delay_alu instid0(VALU_DEP_1) | instskip(NEXT) | instid1(VALU_DEP_4)
	v_mad_u32 v19, s34, v25, v3
	v_add_nc_u64_e32 v[20:21], 1, v[12:13]
	v_add_nc_u64_e32 v[22:23], 2, v[12:13]
	v_add_nc_u64_e32 v[26:27], 3, v[12:13]
	s_delay_alu instid0(VALU_DEP_3) | instskip(NEXT) | instid1(VALU_DEP_3)
	v_mad_nc_u64_u32 v[16:17], s8, v20, v[0:1]
	v_mad_nc_u64_u32 v[14:15], s8, v22, v[0:1]
	s_delay_alu instid0(VALU_DEP_3) | instskip(NEXT) | instid1(VALU_DEP_3)
	v_mad_nc_u64_u32 v[12:13], s8, v26, v[0:1]
	v_mad_u32 v17, s9, v20, v17
	s_delay_alu instid0(VALU_DEP_3) | instskip(NEXT) | instid1(VALU_DEP_3)
	v_mad_u32 v15, s9, v22, v15
	v_mad_u32 v13, s9, v26, v13
	s_delay_alu instid0(VALU_DEP_3) | instskip(NEXT) | instid1(VALU_DEP_3)
	v_mad_u32 v17, s8, v21, v17
	v_mad_u32 v15, s8, v23, v15
	s_delay_alu instid0(VALU_DEP_3)
	v_mad_u32 v13, s8, v27, v13
	v_mul_u64_e32 v[20:21], s[18:19], v[18:19]
	v_mul_u64_e32 v[22:23], s[22:23], v[18:19]
	;; [unrolled: 1-line block ×8, first 2 shown]
	v_lshl_add_u64 v[40:41], v[20:21], 3, s[16:17]
	v_lshl_add_u64 v[42:43], v[22:23], 3, s[20:21]
	;; [unrolled: 1-line block ×8, first 2 shown]
	s_clause 0x3
	global_load_b64 v[36:37], v[40:41], off
	global_load_b64 v[32:33], v[26:27], off
	;; [unrolled: 1-line block ×4, first 2 shown]
	s_clause 0x3
	global_load_b64 v[38:39], v[42:43], off
	global_load_b64 v[34:35], v[50:51], off
	;; [unrolled: 1-line block ×5, first 2 shown]
	s_cbranch_vccnz .LBB2_9
; %bb.3:                                ;   in Loop: Header=BB2_5 Depth=1
	s_wait_xcnt 0x7
	v_sub_nc_u64_e32 v[26:27], 1, v[24:25]
	v_sub_nc_u64_e32 v[40:41], 2, v[24:25]
	s_wait_xcnt 0x4
	v_sub_nc_u64_e32 v[42:43], 3, v[24:25]
	v_mad_nc_u64_u32 v[44:45], s36, v24, v[0:1]
	s_delay_alu instid0(VALU_DEP_4) | instskip(SKIP_1) | instid1(VALU_DEP_4)
	v_mad_nc_u64_u32 v[46:47], s8, v26, v[0:1]
	s_wait_xcnt 0x3
	v_mad_nc_u64_u32 v[50:51], s8, v40, v[0:1]
	s_wait_xcnt 0x2
	s_delay_alu instid0(VALU_DEP_4) | instskip(NEXT) | instid1(VALU_DEP_4)
	v_mad_nc_u64_u32 v[52:53], s8, v42, v[0:1]
	v_mad_u32 v3, s37, v24, v45
	s_delay_alu instid0(VALU_DEP_4) | instskip(NEXT) | instid1(VALU_DEP_4)
	v_mad_u32 v24, s9, v26, v47
	v_mad_u32 v26, s9, v40, v51
	s_delay_alu instid0(VALU_DEP_4) | instskip(NEXT) | instid1(VALU_DEP_4)
	v_mad_u32 v40, s9, v42, v53
	v_mad_u32 v45, s36, v25, v3
	s_delay_alu instid0(VALU_DEP_4) | instskip(NEXT) | instid1(VALU_DEP_4)
	v_mad_u32 v47, s8, v27, v24
	v_mad_u32 v51, s8, v41, v26
	s_delay_alu instid0(VALU_DEP_4) | instskip(NEXT) | instid1(VALU_DEP_4)
	v_mad_u32 v53, s8, v43, v40
	v_mul_u64_e32 v[24:25], s[24:25], v[44:45]
	v_mul_u64_e32 v[26:27], s[28:29], v[44:45]
	;; [unrolled: 1-line block ×8, first 2 shown]
	s_wait_xcnt 0x1
	v_lshl_add_u64 v[54:55], v[24:25], 3, s[14:15]
	v_lshl_add_u64 v[56:57], v[26:27], 3, s[26:27]
	;; [unrolled: 1-line block ×8, first 2 shown]
	s_clause 0x3
	global_load_b64 v[46:47], v[54:55], off
	global_load_b64 v[42:43], v[58:59], off
	;; [unrolled: 1-line block ×4, first 2 shown]
	s_clause 0x3
	global_load_b64 v[44:45], v[56:57], off
	global_load_b64 v[40:41], v[64:65], off
	;; [unrolled: 1-line block ×4, first 2 shown]
.LBB2_4:                                ;   in Loop: Header=BB2_5 Depth=1
	s_wait_loadcnt 0x3
	v_add_f64_e32 v[32:33], v[32:33], v[34:35]
	s_wait_loadcnt 0x2
	v_add_f64_e32 v[30:31], v[30:31], v[48:49]
	v_add_f64_e32 v[36:37], v[36:37], v[38:39]
	s_wait_loadcnt 0x1
	v_add_f64_e32 v[20:21], v[20:21], v[22:23]
	v_mul_u64_e32 v[18:19], s[12:13], v[18:19]
	v_mul_u64_e32 v[14:15], s[12:13], v[14:15]
	;; [unrolled: 1-line block ×4, first 2 shown]
	v_add_nc_u64_e32 v[0:1], s[30:31], v[0:1]
	s_wait_xcnt 0x0
	v_add_nc_u64_e32 v[6:7], s[46:47], v[6:7]
	v_add_f64_e32 v[32:33], v[32:33], v[42:43]
	v_add_f64_e32 v[30:31], v[30:31], v[52:53]
	;; [unrolled: 1-line block ×4, first 2 shown]
	v_lshl_add_u64 v[18:19], v[18:19], 3, s[6:7]
	v_lshl_add_u64 v[14:15], v[14:15], 3, s[6:7]
	;; [unrolled: 1-line block ×4, first 2 shown]
	v_add_f64_e32 v[32:33], v[40:41], v[32:33]
	v_add_f64_e32 v[36:37], v[44:45], v[36:37]
	s_wait_loadcnt 0x0
	v_add_f64_e32 v[20:21], v[24:25], v[20:21]
	s_delay_alu instid0(VALU_DEP_3) | instskip(SKIP_1) | instid1(VALU_DEP_4)
	v_cmp_ngt_f64_e64 s3, 0xc0900000, v[32:33]
	v_add_f64_e32 v[30:31], v[50:51], v[30:31]
	v_cmp_nlt_f64_e64 s1, 0x4090cc00, v[36:37]
	v_cmp_nlt_f64_e64 s4, 0x4090cc00, v[32:33]
	s_delay_alu instid0(VALU_DEP_3) | instskip(NEXT) | instid1(VALU_DEP_1)
	v_mul_f64_e64 v[48:49], |v[30:31]|, s[42:43]
	v_rndne_f64_e32 v[48:49], v[48:49]
	s_delay_alu instid0(VALU_DEP_1) | instskip(SKIP_2) | instid1(VALU_DEP_3)
	v_fma_f64 v[50:51], v[48:49], s[44:45], |v[30:31]|
	v_mul_f64_e32 v[52:53], 0x3d53de6af278e000, v[48:49]
	v_cvt_i32_f64_e32 v3, v[48:49]
	v_add_f64_e32 v[54:55], 0, v[50:51]
	s_delay_alu instid0(VALU_DEP_1) | instskip(SKIP_1) | instid1(VALU_DEP_2)
	v_add_f64_e64 v[56:57], v[54:55], -v[52:53]
	v_add_f64_e64 v[50:51], v[50:51], -v[54:55]
	;; [unrolled: 1-line block ×3, first 2 shown]
	s_delay_alu instid0(VALU_DEP_2) | instskip(NEXT) | instid1(VALU_DEP_2)
	v_add_f64_e32 v[50:51], 0, v[50:51]
	v_add_f64_e64 v[52:53], v[54:55], -v[52:53]
	s_delay_alu instid0(VALU_DEP_1) | instskip(SKIP_1) | instid1(VALU_DEP_2)
	v_add_f64_e32 v[50:51], v[50:51], v[52:53]
	v_mul_f64_e32 v[52:53], 0x3ac9cc01f97b57a0, v[48:49]
	v_add_f64_e32 v[54:55], v[56:57], v[50:51]
	s_delay_alu instid0(VALU_DEP_1) | instskip(SKIP_1) | instid1(VALU_DEP_2)
	v_add_f64_e64 v[58:59], v[54:55], -v[52:53]
	v_add_f64_e64 v[56:57], v[56:57], -v[54:55]
	;; [unrolled: 1-line block ×3, first 2 shown]
	s_delay_alu instid0(VALU_DEP_2) | instskip(NEXT) | instid1(VALU_DEP_2)
	v_add_f64_e32 v[50:51], v[50:51], v[56:57]
	v_add_f64_e64 v[52:53], v[54:55], -v[52:53]
	s_delay_alu instid0(VALU_DEP_1) | instskip(NEXT) | instid1(VALU_DEP_1)
	v_add_f64_e32 v[50:51], v[50:51], v[52:53]
	v_add_f64_e32 v[52:53], v[58:59], v[50:51]
	s_delay_alu instid0(VALU_DEP_1) | instskip(SKIP_2) | instid1(VALU_DEP_1)
	v_add_f64_e64 v[54:55], v[58:59], -v[52:53]
	v_mul_f64_e32 v[56:57], v[52:53], v[52:53]
	v_fmamk_f64 v[60:61], v[52:53], 0x3e5ade156a5dcb37, v[4:5]
	v_fmaak_f64 v[60:61], v[52:53], v[60:61], 0x3ec71dee623fde64
	s_delay_alu instid0(VALU_DEP_1) | instskip(NEXT) | instid1(VALU_DEP_1)
	v_fmaak_f64 v[60:61], v[52:53], v[60:61], 0x3efa01997c89e6b0
	v_fmaak_f64 v[60:61], v[52:53], v[60:61], 0x3f2a01a014761f6e
	s_delay_alu instid0(VALU_DEP_1) | instskip(SKIP_2) | instid1(VALU_DEP_3)
	v_fmaak_f64 v[60:61], v[52:53], v[60:61], 0x3f56c16c1852b7b0
	v_add_f64_e32 v[50:51], v[50:51], v[54:55]
	v_fma_f64 v[54:55], v[52:53], v[52:53], -v[56:57]
	v_fmaak_f64 v[60:61], v[52:53], v[60:61], 0x3f81111111122322
	s_delay_alu instid0(VALU_DEP_1) | instskip(NEXT) | instid1(VALU_DEP_1)
	v_fmaak_f64 v[60:61], v[52:53], v[60:61], 0x3fa55555555502a1
	v_fmaak_f64 v[60:61], v[52:53], v[60:61], 0x3fc5555555555511
	s_delay_alu instid0(VALU_DEP_1) | instskip(SKIP_1) | instid1(VALU_DEP_1)
	v_fmaak_f64 v[60:61], v[52:53], v[60:61], 0x3fe000000000000b
	v_add_f64_e32 v[58:59], v[50:51], v[50:51]
	v_fmac_f64_e32 v[54:55], v[52:53], v[58:59]
	s_delay_alu instid0(VALU_DEP_1) | instskip(NEXT) | instid1(VALU_DEP_1)
	v_add_f64_e32 v[58:59], v[56:57], v[54:55]
	v_add_f64_e64 v[56:57], v[58:59], -v[56:57]
	s_delay_alu instid0(VALU_DEP_1) | instskip(SKIP_1) | instid1(VALU_DEP_1)
	v_add_f64_e64 v[54:55], v[54:55], -v[56:57]
	v_mul_f64_e32 v[56:57], v[58:59], v[60:61]
	v_fma_f64 v[58:59], v[58:59], v[60:61], -v[56:57]
	s_delay_alu instid0(VALU_DEP_1) | instskip(NEXT) | instid1(VALU_DEP_1)
	v_fmac_f64_e32 v[58:59], v[54:55], v[60:61]
	v_add_f64_e32 v[54:55], v[56:57], v[58:59]
	s_delay_alu instid0(VALU_DEP_1) | instskip(SKIP_1) | instid1(VALU_DEP_2)
	v_add_f64_e32 v[60:61], v[52:53], v[54:55]
	v_add_f64_e64 v[56:57], v[54:55], -v[56:57]
	v_add_f64_e64 v[52:53], v[60:61], -v[52:53]
	s_delay_alu instid0(VALU_DEP_2) | instskip(NEXT) | instid1(VALU_DEP_2)
	v_add_f64_e64 v[56:57], v[58:59], -v[56:57]
	v_add_f64_e64 v[52:53], v[54:55], -v[52:53]
	s_delay_alu instid0(VALU_DEP_2) | instskip(NEXT) | instid1(VALU_DEP_1)
	v_add_f64_e32 v[50:51], v[50:51], v[56:57]
	v_add_f64_e32 v[50:51], v[50:51], v[52:53]
	s_delay_alu instid0(VALU_DEP_1) | instskip(NEXT) | instid1(VALU_DEP_1)
	v_add_f64_e32 v[52:53], v[60:61], v[50:51]
	v_add_f64_e32 v[54:55], 1.0, v[52:53]
	v_add_f64_e64 v[56:57], v[52:53], -v[60:61]
	s_delay_alu instid0(VALU_DEP_2) | instskip(NEXT) | instid1(VALU_DEP_2)
	v_add_f64_e32 v[58:59], -1.0, v[54:55]
	v_add_f64_e64 v[50:51], v[50:51], -v[56:57]
	s_delay_alu instid0(VALU_DEP_2) | instskip(NEXT) | instid1(VALU_DEP_1)
	v_add_f64_e64 v[52:53], v[52:53], -v[58:59]
	v_add_f64_e32 v[50:51], v[50:51], v[52:53]
	s_delay_alu instid0(VALU_DEP_1) | instskip(NEXT) | instid1(VALU_DEP_1)
	v_add_f64_e32 v[52:53], v[54:55], v[50:51]
	v_ldexp_f64 v[48:49], v[52:53], v3
	v_add_f64_e64 v[52:53], v[52:53], -v[54:55]
	s_delay_alu instid0(VALU_DEP_2) | instskip(NEXT) | instid1(VALU_DEP_1)
	v_rcp_f64_e32 v[56:57], v[48:49]
	v_add_f64_e64 v[50:51], v[50:51], -v[52:53]
	s_delay_alu instid0(VALU_DEP_1) | instskip(NEXT) | instid1(TRANS32_DEP_1)
	v_ldexp_f64 v[50:51], v[50:51], v3
	v_fma_f64 v[58:59], -v[48:49], v[56:57], 1.0
	s_delay_alu instid0(VALU_DEP_1) | instskip(NEXT) | instid1(VALU_DEP_1)
	v_fmac_f64_e32 v[56:57], v[58:59], v[56:57]
	v_fma_f64 v[58:59], -v[48:49], v[56:57], 1.0
	s_delay_alu instid0(VALU_DEP_1) | instskip(NEXT) | instid1(VALU_DEP_1)
	v_fmac_f64_e32 v[56:57], v[58:59], v[56:57]
	v_mul_f64_e32 v[52:53], v[48:49], v[56:57]
	s_delay_alu instid0(VALU_DEP_1) | instskip(NEXT) | instid1(VALU_DEP_1)
	v_fma_f64 v[54:55], v[56:57], v[48:49], -v[52:53]
	v_fmac_f64_e32 v[54:55], v[56:57], v[50:51]
	s_delay_alu instid0(VALU_DEP_1) | instskip(NEXT) | instid1(VALU_DEP_1)
	v_add_f64_e32 v[58:59], v[52:53], v[54:55]
	v_add_f64_e64 v[52:53], v[58:59], -v[52:53]
	v_add_f64_e64 v[60:61], -v[58:59], 1.0
	s_delay_alu instid0(VALU_DEP_2) | instskip(NEXT) | instid1(VALU_DEP_2)
	v_add_f64_e64 v[52:53], v[52:53], -v[54:55]
	v_add_f64_e64 v[54:55], -v[60:61], 1.0
	s_delay_alu instid0(VALU_DEP_1) | instskip(NEXT) | instid1(VALU_DEP_1)
	v_add_f64_e64 v[54:55], v[54:55], -v[58:59]
	v_add_f64_e32 v[52:53], v[52:53], v[54:55]
	s_delay_alu instid0(VALU_DEP_1) | instskip(NEXT) | instid1(VALU_DEP_1)
	v_add_f64_e32 v[54:55], v[60:61], v[52:53]
	v_add_f64_e64 v[58:59], v[60:61], -v[54:55]
	v_mul_f64_e32 v[60:61], v[56:57], v[54:55]
	s_delay_alu instid0(VALU_DEP_2) | instskip(NEXT) | instid1(VALU_DEP_2)
	v_add_f64_e32 v[52:53], v[52:53], v[58:59]
	v_mul_f64_e32 v[58:59], v[48:49], v[60:61]
	v_add_f64_e32 v[38:39], v[56:57], v[60:61]
	s_delay_alu instid0(VALU_DEP_2) | instskip(NEXT) | instid1(VALU_DEP_2)
	v_fma_f64 v[62:63], v[60:61], v[48:49], -v[58:59]
	v_add_f64_e64 v[46:47], v[38:39], -v[56:57]
	s_delay_alu instid0(VALU_DEP_2) | instskip(NEXT) | instid1(VALU_DEP_2)
	v_fmac_f64_e32 v[62:63], v[60:61], v[50:51]
	v_add_f64_e64 v[44:45], v[60:61], -v[46:47]
	s_delay_alu instid0(VALU_DEP_2) | instskip(NEXT) | instid1(VALU_DEP_1)
	v_add_f64_e32 v[64:65], v[58:59], v[62:63]
	v_add_f64_e64 v[66:67], v[54:55], -v[64:65]
	v_add_f64_e64 v[58:59], v[64:65], -v[58:59]
	s_delay_alu instid0(VALU_DEP_2) | instskip(NEXT) | instid1(VALU_DEP_2)
	v_add_f64_e64 v[54:55], v[54:55], -v[66:67]
	v_add_f64_e64 v[58:59], v[58:59], -v[62:63]
	s_delay_alu instid0(VALU_DEP_2) | instskip(NEXT) | instid1(VALU_DEP_1)
	v_add_f64_e64 v[54:55], v[54:55], -v[64:65]
	v_add_f64_e32 v[52:53], v[52:53], v[54:55]
	s_delay_alu instid0(VALU_DEP_1) | instskip(NEXT) | instid1(VALU_DEP_1)
	v_add_f64_e32 v[52:53], v[58:59], v[52:53]
	v_add_f64_e32 v[52:53], v[66:67], v[52:53]
	s_delay_alu instid0(VALU_DEP_1) | instskip(SKIP_2) | instid1(VALU_DEP_3)
	v_mul_f64_e32 v[46:47], v[56:57], v[52:53]
	v_mul_f64_e32 v[52:53], 0xbff71547652b82fe, v[36:37]
	;; [unrolled: 1-line block ×3, first 2 shown]
	v_add_f64_e32 v[44:45], v[44:45], v[46:47]
	s_delay_alu instid0(VALU_DEP_3) | instskip(NEXT) | instid1(VALU_DEP_2)
	v_rndne_f64_e32 v[46:47], v[52:53]
	v_add_f64_e32 v[52:53], v[38:39], v[44:45]
	s_delay_alu instid0(VALU_DEP_2) | instskip(SKIP_1) | instid1(VALU_DEP_3)
	v_fma_f64 v[34:35], v[46:47], s[40:41], -v[36:37]
	v_cvt_i32_f64_e32 v3, v[46:47]
	v_add_f64_e32 v[54:55], v[48:49], v[52:53]
	v_add_f64_e64 v[38:39], v[52:53], -v[38:39]
	s_delay_alu instid0(VALU_DEP_4) | instskip(SKIP_1) | instid1(VALU_DEP_4)
	v_fmac_f64_e32 v[34:35], 0xbc7abc9e3b39803f, v[46:47]
	v_add_f64_e64 v[60:61], v[48:49], -v[52:53]
	v_add_f64_e64 v[42:43], v[54:55], -v[48:49]
	s_delay_alu instid0(VALU_DEP_4) | instskip(NEXT) | instid1(VALU_DEP_4)
	v_add_f64_e64 v[38:39], v[44:45], -v[38:39]
	v_fmamk_f64 v[40:41], v[34:35], 0x3e5ade156a5dcb37, v[4:5]
	s_delay_alu instid0(VALU_DEP_4) | instskip(NEXT) | instid1(VALU_DEP_2)
	v_add_f64_e64 v[46:47], v[48:49], -v[60:61]
	v_fmaak_f64 v[40:41], v[34:35], v[40:41], 0x3ec71dee623fde64
	s_delay_alu instid0(VALU_DEP_1) | instskip(NEXT) | instid1(VALU_DEP_1)
	v_fmaak_f64 v[40:41], v[34:35], v[40:41], 0x3efa01997c89e6b0
	v_fmaak_f64 v[40:41], v[34:35], v[40:41], 0x3f2a01a014761f6e
	s_delay_alu instid0(VALU_DEP_1) | instskip(SKIP_3) | instid1(VALU_DEP_4)
	v_fmaak_f64 v[40:41], v[34:35], v[40:41], 0x3f56c16c1852b7b0
	v_add_f64_e64 v[42:43], v[52:53], -v[42:43]
	v_add_f64_e32 v[44:45], v[50:51], v[38:39]
	v_add_f64_e64 v[46:47], v[46:47], -v[52:53]
	v_fmaak_f64 v[40:41], v[34:35], v[40:41], 0x3f81111111122322
	s_delay_alu instid0(VALU_DEP_1) | instskip(NEXT) | instid1(VALU_DEP_1)
	v_fmaak_f64 v[40:41], v[34:35], v[40:41], 0x3fa55555555502a1
	v_fmaak_f64 v[40:41], v[34:35], v[40:41], 0x3fc5555555555511
	s_delay_alu instid0(VALU_DEP_1) | instskip(SKIP_2) | instid1(VALU_DEP_3)
	v_fmaak_f64 v[40:41], v[34:35], v[40:41], 0x3fe000000000000b
	v_add_f64_e32 v[42:43], v[44:45], v[42:43]
	v_rndne_f64_e32 v[44:45], v[56:57]
	v_fma_f64 v[40:41], v[34:35], v[40:41], 1.0
	v_add_f64_e32 v[46:47], v[50:51], v[46:47]
	s_delay_alu instid0(VALU_DEP_4) | instskip(NEXT) | instid1(VALU_DEP_4)
	v_add_f64_e32 v[56:57], v[54:55], v[42:43]
	v_fma_f64 v[58:59], v[44:45], s[40:41], -v[32:33]
	s_delay_alu instid0(VALU_DEP_4) | instskip(NEXT) | instid1(VALU_DEP_4)
	v_fma_f64 v[34:35], v[34:35], v[40:41], 1.0
	v_add_f64_e64 v[38:39], v[46:47], -v[38:39]
	s_delay_alu instid0(VALU_DEP_4) | instskip(NEXT) | instid1(VALU_DEP_3)
	v_rcp_f64_e32 v[40:41], v[56:57]
	v_fmac_f64_e32 v[58:59], 0xbc7abc9e3b39803f, v[44:45]
	s_delay_alu instid0(VALU_DEP_3) | instskip(SKIP_1) | instid1(VALU_DEP_3)
	v_ldexp_f64 v[34:35], v[34:35], v3
	v_cvt_i32_f64_e32 v3, v[44:45]
	v_fmamk_f64 v[48:49], v[58:59], 0x3e5ade156a5dcb37, v[4:5]
	s_delay_alu instid0(VALU_DEP_3) | instskip(NEXT) | instid1(TRANS32_DEP_1)
	v_add_f64_e32 v[34:35], 1.0, v[34:35]
	v_fma_f64 v[52:53], -v[56:57], v[40:41], 1.0
	s_delay_alu instid0(VALU_DEP_3) | instskip(NEXT) | instid1(VALU_DEP_1)
	v_fmaak_f64 v[48:49], v[58:59], v[48:49], 0x3ec71dee623fde64
	v_fmaak_f64 v[48:49], v[58:59], v[48:49], 0x3efa01997c89e6b0
	s_delay_alu instid0(VALU_DEP_1) | instskip(NEXT) | instid1(VALU_DEP_1)
	v_fmaak_f64 v[48:49], v[58:59], v[48:49], 0x3f2a01a014761f6e
	v_fmaak_f64 v[48:49], v[58:59], v[48:49], 0x3f56c16c1852b7b0
	v_div_scale_f64 v[50:51], null, v[34:35], v[34:35], 1.0
	s_delay_alu instid0(VALU_DEP_2) | instskip(SKIP_1) | instid1(VALU_DEP_2)
	v_fmaak_f64 v[48:49], v[58:59], v[48:49], 0x3f81111111122322
	v_fmac_f64_e32 v[40:41], v[52:53], v[40:41]
	v_fmaak_f64 v[48:49], v[58:59], v[48:49], 0x3fa55555555502a1
	s_delay_alu instid0(VALU_DEP_1) | instskip(NEXT) | instid1(VALU_DEP_1)
	v_fmaak_f64 v[48:49], v[58:59], v[48:49], 0x3fc5555555555511
	v_fmaak_f64 v[48:49], v[58:59], v[48:49], 0x3fe000000000000b
	s_delay_alu instid0(VALU_DEP_1) | instskip(SKIP_2) | instid1(VALU_DEP_2)
	v_fma_f64 v[48:49], v[58:59], v[48:49], 1.0
	v_rcp_f64_e32 v[52:53], v[50:51]
	v_fma_f64 v[46:47], -v[56:57], v[40:41], 1.0
	v_fma_f64 v[44:45], v[58:59], v[48:49], 1.0
	v_add_f64_e32 v[48:49], v[60:61], v[38:39]
	s_delay_alu instid0(VALU_DEP_3) | instskip(NEXT) | instid1(TRANS32_DEP_1)
	v_fmac_f64_e32 v[40:41], v[46:47], v[40:41]
	v_fma_f64 v[46:47], -v[50:51], v[52:53], 1.0
	s_delay_alu instid0(VALU_DEP_4) | instskip(NEXT) | instid1(VALU_DEP_3)
	v_ldexp_f64 v[44:45], v[44:45], v3
	v_mul_f64_e32 v[58:59], v[48:49], v[40:41]
	s_delay_alu instid0(VALU_DEP_3) | instskip(SKIP_1) | instid1(VALU_DEP_4)
	v_fmac_f64_e32 v[52:53], v[52:53], v[46:47]
	v_add_f64_e64 v[46:47], v[56:57], -v[54:55]
	v_add_f64_e32 v[44:45], 1.0, v[44:45]
	s_delay_alu instid0(VALU_DEP_4) | instskip(NEXT) | instid1(VALU_DEP_3)
	v_mul_f64_e32 v[54:55], v[56:57], v[58:59]
	v_add_f64_e64 v[42:43], v[42:43], -v[46:47]
	s_delay_alu instid0(VALU_DEP_2) | instskip(NEXT) | instid1(VALU_DEP_4)
	v_fma_f64 v[46:47], v[58:59], v[56:57], -v[54:55]
	v_div_scale_f64 v[56:57], null, v[44:45], v[44:45], 1.0
	s_delay_alu instid0(VALU_DEP_2) | instskip(NEXT) | instid1(VALU_DEP_2)
	v_fmac_f64_e32 v[46:47], v[58:59], v[42:43]
	v_rcp_f64_e32 v[42:43], v[56:57]
	v_nop
	s_delay_alu instid0(TRANS32_DEP_1) | instskip(NEXT) | instid1(VALU_DEP_1)
	v_fma_f64 v[62:63], -v[56:57], v[42:43], 1.0
	v_fmac_f64_e32 v[42:43], v[42:43], v[62:63]
	s_delay_alu instid0(VALU_DEP_4) | instskip(NEXT) | instid1(VALU_DEP_1)
	v_add_f64_e32 v[62:63], v[54:55], v[46:47]
	v_add_f64_e64 v[54:55], v[62:63], -v[54:55]
	s_delay_alu instid0(VALU_DEP_1) | instskip(SKIP_2) | instid1(VALU_DEP_2)
	v_add_f64_e64 v[46:47], v[46:47], -v[54:55]
	v_add_f64_e64 v[54:55], v[48:49], -v[60:61]
	;; [unrolled: 1-line block ×4, first 2 shown]
	s_delay_alu instid0(VALU_DEP_2) | instskip(SKIP_1) | instid1(VALU_DEP_2)
	v_add_f64_e64 v[48:49], v[48:49], -v[60:61]
	v_fma_f64 v[54:55], -v[56:57], v[42:43], 1.0
	v_add_f64_e64 v[48:49], v[48:49], -v[62:63]
	v_fma_f64 v[62:63], -v[50:51], v[52:53], 1.0
	s_delay_alu instid0(VALU_DEP_3) | instskip(NEXT) | instid1(VALU_DEP_3)
	v_fmac_f64_e32 v[42:43], v[42:43], v[54:55]
	v_add_f64_e64 v[46:47], v[48:49], -v[46:47]
	s_delay_alu instid0(VALU_DEP_3) | instskip(SKIP_1) | instid1(VALU_DEP_3)
	v_fmac_f64_e32 v[52:53], v[52:53], v[62:63]
	v_div_scale_f64 v[48:49], vcc_lo, 1.0, v[34:35], 1.0
	v_add_f64_e32 v[38:39], v[38:39], v[46:47]
	v_div_scale_f64 v[46:47], s0, 1.0, v[44:45], 1.0
	s_delay_alu instid0(VALU_DEP_3) | instskip(NEXT) | instid1(VALU_DEP_3)
	v_mul_f64_e32 v[54:55], v[48:49], v[52:53]
	v_add_f64_e32 v[38:39], v[60:61], v[38:39]
	s_delay_alu instid0(VALU_DEP_2) | instskip(NEXT) | instid1(VALU_DEP_4)
	v_fma_f64 v[48:49], -v[50:51], v[54:55], v[48:49]
	v_mul_f64_e32 v[50:51], v[46:47], v[42:43]
	s_delay_alu instid0(VALU_DEP_3) | instskip(NEXT) | instid1(VALU_DEP_3)
	v_mul_f64_e32 v[38:39], v[40:41], v[38:39]
	v_div_fmas_f64 v[48:49], v[48:49], v[52:53], v[54:55]
	s_delay_alu instid0(VALU_DEP_3) | instskip(SKIP_2) | instid1(VALU_DEP_4)
	v_fma_f64 v[46:47], -v[56:57], v[50:51], v[46:47]
	s_mov_b32 vcc_lo, s0
	v_cmp_ngt_f64_e64 s0, 0xc0900000, v[36:37]
	v_add_f64_e32 v[38:39], v[58:59], v[38:39]
	s_delay_alu instid0(VALU_DEP_4) | instskip(NEXT) | instid1(VALU_DEP_4)
	v_div_fixup_f64 v[34:35], v[48:49], v[34:35], 1.0
	v_div_fmas_f64 v[40:41], v[46:47], v[42:43], v[50:51]
	v_cmp_nlt_f64_e64 vcc_lo, 0x40331000, |v[30:31]|
	s_delay_alu instid0(VALU_DEP_3) | instskip(NEXT) | instid1(VALU_DEP_3)
	v_cndmask_b32_e64 v3, 0, v35, s0
	v_div_fixup_f64 v[40:41], v[40:41], v[44:45], 1.0
	v_cndmask_b32_e32 v36, 0x3ff00000, v39, vcc_lo
	s_delay_alu instid0(VALU_DEP_3) | instskip(NEXT) | instid1(VALU_DEP_3)
	v_cndmask_b32_e64 v33, 0x3ff00000, v3, s1
	v_cndmask_b32_e64 v39, 0, v41, s3
	v_cmp_gt_f64_e64 s2, 0x3e400000, |v[30:31]|
	v_and_b32_e32 v35, 0x7fffffff, v31
	s_delay_alu instid0(VALU_DEP_1) | instskip(SKIP_3) | instid1(VALU_DEP_3)
	v_dual_cndmask_b32 v35, v36, v35, s2 :: v_dual_cndmask_b32 v36, 0, v38, vcc_lo
	s_and_b32 vcc_lo, s1, s0
	v_cmp_ngt_f64_e64 s0, 0xc0900000, v[20:21]
	v_cndmask_b32_e32 v32, 0, v34, vcc_lo
	v_bfi_b32 v31, 0x7fffffff, v35, v31
	v_cndmask_b32_e64 v30, v36, v30, s2
	s_and_b32 vcc_lo, s4, s3
	v_cndmask_b32_e64 v35, 0x3ff00000, v39, s4
	v_cndmask_b32_e32 v34, 0, v40, vcc_lo
	v_cmp_nlt_f64_e64 s1, 0x4090cc00, v[20:21]
	v_mul_f64_e32 v[36:37], v[32:33], v[30:31]
	s_delay_alu instid0(VALU_DEP_1) | instskip(NEXT) | instid1(VALU_DEP_1)
	v_fmac_f64_e32 v[36:37], v[28:29], v[34:35]
	v_mul_f64_e64 v[28:29], |v[36:37]|, s[42:43]
	v_cmp_gt_f64_e64 s2, 0x3e400000, |v[36:37]|
	s_delay_alu instid0(VALU_DEP_2) | instskip(NEXT) | instid1(VALU_DEP_1)
	v_rndne_f64_e32 v[28:29], v[28:29]
	v_fma_f64 v[38:39], v[28:29], s[44:45], |v[36:37]|
	v_mul_f64_e32 v[40:41], 0x3d53de6af278e000, v[28:29]
	v_cvt_i32_f64_e32 v3, v[28:29]
	s_delay_alu instid0(VALU_DEP_3) | instskip(NEXT) | instid1(VALU_DEP_1)
	v_add_f64_e32 v[42:43], 0, v[38:39]
	v_add_f64_e64 v[44:45], v[42:43], -v[40:41]
	v_add_f64_e64 v[38:39], v[38:39], -v[42:43]
	s_delay_alu instid0(VALU_DEP_2) | instskip(NEXT) | instid1(VALU_DEP_2)
	v_add_f64_e64 v[42:43], v[42:43], -v[44:45]
	v_add_f64_e32 v[38:39], 0, v[38:39]
	s_delay_alu instid0(VALU_DEP_2) | instskip(NEXT) | instid1(VALU_DEP_1)
	v_add_f64_e64 v[40:41], v[42:43], -v[40:41]
	v_add_f64_e32 v[38:39], v[38:39], v[40:41]
	v_mul_f64_e32 v[40:41], 0x3ac9cc01f97b57a0, v[28:29]
	s_delay_alu instid0(VALU_DEP_2) | instskip(NEXT) | instid1(VALU_DEP_1)
	v_add_f64_e32 v[42:43], v[44:45], v[38:39]
	v_add_f64_e64 v[46:47], v[42:43], -v[40:41]
	v_add_f64_e64 v[44:45], v[44:45], -v[42:43]
	s_delay_alu instid0(VALU_DEP_2) | instskip(NEXT) | instid1(VALU_DEP_2)
	v_add_f64_e64 v[42:43], v[42:43], -v[46:47]
	v_add_f64_e32 v[38:39], v[38:39], v[44:45]
	s_delay_alu instid0(VALU_DEP_2) | instskip(NEXT) | instid1(VALU_DEP_1)
	v_add_f64_e64 v[40:41], v[42:43], -v[40:41]
	v_add_f64_e32 v[38:39], v[38:39], v[40:41]
	s_delay_alu instid0(VALU_DEP_1) | instskip(NEXT) | instid1(VALU_DEP_1)
	v_add_f64_e32 v[40:41], v[46:47], v[38:39]
	v_add_f64_e64 v[42:43], v[46:47], -v[40:41]
	v_mul_f64_e32 v[44:45], v[40:41], v[40:41]
	s_delay_alu instid0(VALU_DEP_2) | instskip(NEXT) | instid1(VALU_DEP_2)
	v_add_f64_e32 v[38:39], v[38:39], v[42:43]
	v_fma_f64 v[42:43], v[40:41], v[40:41], -v[44:45]
	s_delay_alu instid0(VALU_DEP_2) | instskip(NEXT) | instid1(VALU_DEP_1)
	v_add_f64_e32 v[46:47], v[38:39], v[38:39]
	v_fmac_f64_e32 v[42:43], v[40:41], v[46:47]
	v_fmamk_f64 v[46:47], v[40:41], 0x3e5ade156a5dcb37, v[4:5]
	s_delay_alu instid0(VALU_DEP_1) | instskip(NEXT) | instid1(VALU_DEP_1)
	v_fmaak_f64 v[46:47], v[40:41], v[46:47], 0x3ec71dee623fde64
	v_fmaak_f64 v[46:47], v[40:41], v[46:47], 0x3efa01997c89e6b0
	s_delay_alu instid0(VALU_DEP_1) | instskip(NEXT) | instid1(VALU_DEP_1)
	v_fmaak_f64 v[46:47], v[40:41], v[46:47], 0x3f2a01a014761f6e
	v_fmaak_f64 v[46:47], v[40:41], v[46:47], 0x3f56c16c1852b7b0
	v_add_f64_e32 v[48:49], v[44:45], v[42:43]
	s_delay_alu instid0(VALU_DEP_2) | instskip(NEXT) | instid1(VALU_DEP_1)
	v_fmaak_f64 v[46:47], v[40:41], v[46:47], 0x3f81111111122322
	v_fmaak_f64 v[46:47], v[40:41], v[46:47], 0x3fa55555555502a1
	s_delay_alu instid0(VALU_DEP_1) | instskip(NEXT) | instid1(VALU_DEP_1)
	v_fmaak_f64 v[46:47], v[40:41], v[46:47], 0x3fc5555555555511
	v_fmaak_f64 v[46:47], v[40:41], v[46:47], 0x3fe000000000000b
	v_add_f64_e64 v[44:45], v[48:49], -v[44:45]
	s_delay_alu instid0(VALU_DEP_2) | instskip(NEXT) | instid1(VALU_DEP_2)
	v_mul_f64_e32 v[50:51], v[48:49], v[46:47]
	v_add_f64_e64 v[42:43], v[42:43], -v[44:45]
	s_delay_alu instid0(VALU_DEP_2) | instskip(NEXT) | instid1(VALU_DEP_1)
	v_fma_f64 v[44:45], v[48:49], v[46:47], -v[50:51]
	v_fmac_f64_e32 v[44:45], v[42:43], v[46:47]
	s_delay_alu instid0(VALU_DEP_1) | instskip(NEXT) | instid1(VALU_DEP_1)
	v_add_f64_e32 v[42:43], v[50:51], v[44:45]
	v_add_f64_e32 v[46:47], v[40:41], v[42:43]
	v_add_f64_e64 v[48:49], v[42:43], -v[50:51]
	s_delay_alu instid0(VALU_DEP_2) | instskip(NEXT) | instid1(VALU_DEP_2)
	v_add_f64_e64 v[40:41], v[46:47], -v[40:41]
	v_add_f64_e64 v[44:45], v[44:45], -v[48:49]
	s_delay_alu instid0(VALU_DEP_2) | instskip(NEXT) | instid1(VALU_DEP_2)
	v_add_f64_e64 v[40:41], v[42:43], -v[40:41]
	v_add_f64_e32 v[38:39], v[38:39], v[44:45]
	s_delay_alu instid0(VALU_DEP_1) | instskip(NEXT) | instid1(VALU_DEP_1)
	v_add_f64_e32 v[38:39], v[38:39], v[40:41]
	v_add_f64_e32 v[40:41], v[46:47], v[38:39]
	s_delay_alu instid0(VALU_DEP_1) | instskip(SKIP_1) | instid1(VALU_DEP_2)
	v_add_f64_e32 v[42:43], 1.0, v[40:41]
	v_add_f64_e64 v[44:45], v[40:41], -v[46:47]
	v_add_f64_e32 v[46:47], -1.0, v[42:43]
	s_delay_alu instid0(VALU_DEP_2) | instskip(NEXT) | instid1(VALU_DEP_2)
	v_add_f64_e64 v[38:39], v[38:39], -v[44:45]
	v_add_f64_e64 v[40:41], v[40:41], -v[46:47]
	s_delay_alu instid0(VALU_DEP_1) | instskip(NEXT) | instid1(VALU_DEP_1)
	v_add_f64_e32 v[38:39], v[38:39], v[40:41]
	v_add_f64_e32 v[28:29], v[42:43], v[38:39]
	s_delay_alu instid0(VALU_DEP_1) | instskip(SKIP_1) | instid1(VALU_DEP_2)
	v_ldexp_f64 v[40:41], v[28:29], v3
	v_add_f64_e64 v[28:29], v[28:29], -v[42:43]
	v_rcp_f64_e32 v[44:45], v[40:41]
	s_delay_alu instid0(VALU_DEP_1) | instskip(NEXT) | instid1(VALU_DEP_1)
	v_add_f64_e64 v[28:29], v[38:39], -v[28:29]
	v_ldexp_f64 v[28:29], v[28:29], v3
	s_delay_alu instid0(TRANS32_DEP_1) | instskip(NEXT) | instid1(VALU_DEP_1)
	v_fma_f64 v[46:47], -v[40:41], v[44:45], 1.0
	v_fmac_f64_e32 v[44:45], v[46:47], v[44:45]
	s_delay_alu instid0(VALU_DEP_1) | instskip(NEXT) | instid1(VALU_DEP_1)
	v_fma_f64 v[46:47], -v[40:41], v[44:45], 1.0
	v_fmac_f64_e32 v[44:45], v[46:47], v[44:45]
	s_delay_alu instid0(VALU_DEP_1) | instskip(NEXT) | instid1(VALU_DEP_1)
	v_mul_f64_e32 v[38:39], v[40:41], v[44:45]
	v_fma_f64 v[42:43], v[44:45], v[40:41], -v[38:39]
	s_delay_alu instid0(VALU_DEP_1) | instskip(NEXT) | instid1(VALU_DEP_1)
	v_fmac_f64_e32 v[42:43], v[44:45], v[28:29]
	v_add_f64_e32 v[46:47], v[38:39], v[42:43]
	s_delay_alu instid0(VALU_DEP_1) | instskip(SKIP_1) | instid1(VALU_DEP_2)
	v_add_f64_e64 v[48:49], -v[46:47], 1.0
	v_add_f64_e64 v[38:39], v[46:47], -v[38:39]
	v_add_f64_e64 v[50:51], -v[48:49], 1.0
	s_delay_alu instid0(VALU_DEP_2) | instskip(NEXT) | instid1(VALU_DEP_2)
	v_add_f64_e64 v[38:39], v[38:39], -v[42:43]
	v_add_f64_e64 v[42:43], v[50:51], -v[46:47]
	s_delay_alu instid0(VALU_DEP_1) | instskip(NEXT) | instid1(VALU_DEP_1)
	v_add_f64_e32 v[38:39], v[38:39], v[42:43]
	v_add_f64_e32 v[42:43], v[48:49], v[38:39]
	s_delay_alu instid0(VALU_DEP_1) | instskip(SKIP_1) | instid1(VALU_DEP_2)
	v_mul_f64_e32 v[46:47], v[44:45], v[42:43]
	v_add_f64_e64 v[48:49], v[48:49], -v[42:43]
	v_mul_f64_e32 v[50:51], v[40:41], v[46:47]
	s_delay_alu instid0(VALU_DEP_2) | instskip(NEXT) | instid1(VALU_DEP_2)
	v_add_f64_e32 v[38:39], v[38:39], v[48:49]
	v_fma_f64 v[52:53], v[46:47], v[40:41], -v[50:51]
	s_delay_alu instid0(VALU_DEP_1) | instskip(NEXT) | instid1(VALU_DEP_1)
	v_fmac_f64_e32 v[52:53], v[46:47], v[28:29]
	v_add_f64_e32 v[54:55], v[50:51], v[52:53]
	s_delay_alu instid0(VALU_DEP_1) | instskip(SKIP_1) | instid1(VALU_DEP_2)
	v_add_f64_e64 v[56:57], v[42:43], -v[54:55]
	v_add_f64_e64 v[48:49], v[54:55], -v[50:51]
	v_add_f64_e64 v[42:43], v[42:43], -v[56:57]
	s_delay_alu instid0(VALU_DEP_2) | instskip(NEXT) | instid1(VALU_DEP_2)
	v_add_f64_e64 v[48:49], v[48:49], -v[52:53]
	v_add_f64_e64 v[42:43], v[42:43], -v[54:55]
	s_delay_alu instid0(VALU_DEP_1) | instskip(SKIP_1) | instid1(VALU_DEP_2)
	v_add_f64_e32 v[38:39], v[38:39], v[42:43]
	v_add_f64_e32 v[42:43], v[44:45], v[46:47]
	;; [unrolled: 1-line block ×3, first 2 shown]
	s_delay_alu instid0(VALU_DEP_2) | instskip(NEXT) | instid1(VALU_DEP_2)
	v_add_f64_e64 v[48:49], v[42:43], -v[44:45]
	v_add_f64_e32 v[38:39], v[56:57], v[38:39]
	s_delay_alu instid0(VALU_DEP_2) | instskip(NEXT) | instid1(VALU_DEP_2)
	v_add_f64_e64 v[46:47], v[46:47], -v[48:49]
	v_mul_f64_e32 v[38:39], v[44:45], v[38:39]
	s_delay_alu instid0(VALU_DEP_1) | instskip(NEXT) | instid1(VALU_DEP_1)
	v_add_f64_e32 v[38:39], v[46:47], v[38:39]
	v_add_f64_e32 v[44:45], v[42:43], v[38:39]
	s_delay_alu instid0(VALU_DEP_1) | instskip(SKIP_2) | instid1(VALU_DEP_3)
	v_add_f64_e32 v[22:23], v[40:41], v[44:45]
	v_add_f64_e64 v[42:43], v[44:45], -v[42:43]
	v_add_f64_e64 v[46:47], v[40:41], -v[44:45]
	;; [unrolled: 1-line block ×3, first 2 shown]
	s_delay_alu instid0(VALU_DEP_3) | instskip(SKIP_1) | instid1(VALU_DEP_4)
	v_add_f64_e64 v[38:39], v[38:39], -v[42:43]
	v_mul_f64_e32 v[42:43], 0xbff71547652b82fe, v[20:21]
	v_add_f64_e64 v[40:41], v[40:41], -v[46:47]
	s_delay_alu instid0(VALU_DEP_4) | instskip(NEXT) | instid1(VALU_DEP_4)
	v_add_f64_e64 v[24:25], v[44:45], -v[26:27]
	v_add_f64_e32 v[26:27], v[28:29], v[38:39]
	s_delay_alu instid0(VALU_DEP_3) | instskip(NEXT) | instid1(VALU_DEP_2)
	v_add_f64_e64 v[40:41], v[40:41], -v[44:45]
	v_add_f64_e32 v[24:25], v[26:27], v[24:25]
	v_rndne_f64_e32 v[26:27], v[42:43]
	s_delay_alu instid0(VALU_DEP_3) | instskip(NEXT) | instid1(VALU_DEP_3)
	v_add_f64_e32 v[28:29], v[28:29], v[40:41]
	v_add_f64_e32 v[42:43], v[22:23], v[24:25]
	s_delay_alu instid0(VALU_DEP_3) | instskip(NEXT) | instid1(VALU_DEP_3)
	v_fma_f64 v[48:49], v[26:27], s[40:41], -v[20:21]
	v_add_f64_e64 v[28:29], v[28:29], -v[38:39]
	v_cvt_i32_f64_e32 v3, v[26:27]
	v_and_b32_e32 v20, 0x7fffffff, v37
	v_rcp_f64_e32 v[50:51], v[42:43]
	s_delay_alu instid0(VALU_DEP_4) | instskip(SKIP_1) | instid1(VALU_DEP_2)
	v_fmac_f64_e32 v[48:49], 0xbc7abc9e3b39803f, v[26:27]
	v_add_f64_e64 v[22:23], v[42:43], -v[22:23]
	v_fmamk_f64 v[52:53], v[48:49], 0x3e5ade156a5dcb37, v[4:5]
	s_delay_alu instid0(VALU_DEP_2) | instskip(NEXT) | instid1(TRANS32_DEP_1)
	v_add_f64_e64 v[22:23], v[24:25], -v[22:23]
	v_fma_f64 v[44:45], -v[42:43], v[50:51], 1.0
	s_delay_alu instid0(VALU_DEP_3) | instskip(NEXT) | instid1(VALU_DEP_1)
	v_fmaak_f64 v[52:53], v[48:49], v[52:53], 0x3ec71dee623fde64
	v_fmaak_f64 v[40:41], v[48:49], v[52:53], 0x3efa01997c89e6b0
	s_delay_alu instid0(VALU_DEP_1) | instskip(NEXT) | instid1(VALU_DEP_1)
	v_fmaak_f64 v[40:41], v[48:49], v[40:41], 0x3f2a01a014761f6e
	v_fmaak_f64 v[40:41], v[48:49], v[40:41], 0x3f56c16c1852b7b0
	s_delay_alu instid0(VALU_DEP_1) | instskip(SKIP_2) | instid1(VALU_DEP_3)
	v_fmaak_f64 v[40:41], v[48:49], v[40:41], 0x3f81111111122322
	v_fmac_f64_e32 v[50:51], v[44:45], v[50:51]
	v_add_f64_e32 v[44:45], v[46:47], v[28:29]
	v_fmaak_f64 v[40:41], v[48:49], v[40:41], 0x3fa55555555502a1
	s_delay_alu instid0(VALU_DEP_1) | instskip(NEXT) | instid1(VALU_DEP_1)
	v_fmaak_f64 v[40:41], v[48:49], v[40:41], 0x3fc5555555555511
	v_fmaak_f64 v[40:41], v[48:49], v[40:41], 0x3fe000000000000b
	s_delay_alu instid0(VALU_DEP_1) | instskip(SKIP_1) | instid1(VALU_DEP_2)
	v_fma_f64 v[40:41], v[48:49], v[40:41], 1.0
	v_fma_f64 v[38:39], -v[42:43], v[50:51], 1.0
	v_fma_f64 v[26:27], v[48:49], v[40:41], 1.0
	s_delay_alu instid0(VALU_DEP_2) | instskip(NEXT) | instid1(VALU_DEP_2)
	v_fmac_f64_e32 v[50:51], v[38:39], v[50:51]
	v_ldexp_f64 v[26:27], v[26:27], v3
	s_delay_alu instid0(VALU_DEP_2) | instskip(NEXT) | instid1(VALU_DEP_2)
	v_mul_f64_e32 v[38:39], v[44:45], v[50:51]
	v_add_f64_e32 v[26:27], 1.0, v[26:27]
	s_delay_alu instid0(VALU_DEP_2) | instskip(NEXT) | instid1(VALU_DEP_1)
	v_mul_f64_e32 v[40:41], v[42:43], v[38:39]
	v_fma_f64 v[24:25], v[38:39], v[42:43], -v[40:41]
	s_delay_alu instid0(VALU_DEP_3) | instskip(NEXT) | instid1(VALU_DEP_2)
	v_div_scale_f64 v[42:43], null, v[26:27], v[26:27], 1.0
	v_fmac_f64_e32 v[24:25], v[38:39], v[22:23]
	s_delay_alu instid0(VALU_DEP_2) | instskip(NEXT) | instid1(VALU_DEP_1)
	v_rcp_f64_e32 v[22:23], v[42:43]
	v_add_f64_e32 v[48:49], v[40:41], v[24:25]
	s_delay_alu instid0(TRANS32_DEP_1) | instskip(NEXT) | instid1(VALU_DEP_2)
	v_fma_f64 v[52:53], -v[42:43], v[22:23], 1.0
	v_add_f64_e64 v[54:55], v[44:45], -v[48:49]
	v_add_f64_e64 v[40:41], v[48:49], -v[40:41]
	s_delay_alu instid0(VALU_DEP_3) | instskip(NEXT) | instid1(VALU_DEP_3)
	v_fmac_f64_e32 v[22:23], v[22:23], v[52:53]
	v_add_f64_e64 v[52:53], v[44:45], -v[54:55]
	v_add_f64_e64 v[44:45], v[44:45], -v[46:47]
	s_delay_alu instid0(VALU_DEP_4) | instskip(SKIP_4) | instid1(VALU_DEP_3)
	v_add_f64_e64 v[24:25], v[24:25], -v[40:41]
	v_div_scale_f64 v[46:47], vcc_lo, 1.0, v[26:27], 1.0
	v_fma_f64 v[56:57], -v[42:43], v[22:23], 1.0
	v_add_f64_e64 v[40:41], v[52:53], -v[48:49]
	v_add_f64_e64 v[28:29], v[28:29], -v[44:45]
	v_fmac_f64_e32 v[22:23], v[22:23], v[56:57]
	s_delay_alu instid0(VALU_DEP_3) | instskip(NEXT) | instid1(VALU_DEP_2)
	v_add_f64_e64 v[24:25], v[40:41], -v[24:25]
	v_mul_f64_e32 v[40:41], v[46:47], v[22:23]
	s_delay_alu instid0(VALU_DEP_2) | instskip(NEXT) | instid1(VALU_DEP_2)
	v_add_f64_e32 v[24:25], v[28:29], v[24:25]
	v_fma_f64 v[28:29], -v[42:43], v[40:41], v[46:47]
	s_delay_alu instid0(VALU_DEP_2) | instskip(NEXT) | instid1(VALU_DEP_2)
	v_add_f64_e32 v[24:25], v[54:55], v[24:25]
	v_div_fmas_f64 v[22:23], v[28:29], v[22:23], v[40:41]
	v_cmp_nlt_f64_e64 vcc_lo, 0x40331000, |v[36:37]|
	s_delay_alu instid0(VALU_DEP_3) | instskip(NEXT) | instid1(VALU_DEP_3)
	v_mul_f64_e32 v[24:25], v[50:51], v[24:25]
	v_div_fixup_f64 v[22:23], v[22:23], v[26:27], 1.0
	s_delay_alu instid0(VALU_DEP_1) | instskip(NEXT) | instid1(VALU_DEP_1)
	v_dual_add_f64 v[24:25], v[38:39], v[24:25] :: v_dual_cndmask_b32 v3, 0, v23, s0
	v_cndmask_b32_e32 v21, 0x3ff00000, v25, vcc_lo
	s_delay_alu instid0(VALU_DEP_2) | instskip(SKIP_1) | instid1(VALU_DEP_2)
	v_cndmask_b32_e32 v24, 0, v24, vcc_lo
	s_and_b32 vcc_lo, s1, s0
	v_cndmask_b32_e64 v23, v21, v20, s2
	v_cndmask_b32_e64 v21, 0x3ff00000, v3, s1
	s_delay_alu instid0(VALU_DEP_3) | instskip(SKIP_1) | instid1(VALU_DEP_4)
	v_dual_cndmask_b32 v20, 0, v22, vcc_lo :: v_dual_cndmask_b32 v22, v24, v36, s2
	v_cmp_le_i64_e32 vcc_lo, s[10:11], v[0:1]
	v_bfi_b32 v23, 0x7fffffff, v23, v37
	s_delay_alu instid0(VALU_DEP_1)
	v_mul_f64_e32 v[22:23], v[20:21], v[22:23]
	s_or_b32 s54, vcc_lo, s54
	global_store_b64 v[8:9], v[22:23], off
	global_store_b64 v[10:11], v[36:37], off
	s_wait_xcnt 0x1
	v_add_nc_u64_e32 v[8:9], s[48:49], v[8:9]
	s_wait_xcnt 0x0
	v_add_nc_u64_e32 v[10:11], s[50:51], v[10:11]
	s_clause 0x3
	global_store_b64 v[18:19], v[32:33], off
	global_store_b64 v[16:17], v[34:35], off
	;; [unrolled: 1-line block ×4, first 2 shown]
	s_wait_xcnt 0x0
	s_and_not1_b32 exec_lo, exec_lo, s54
	s_cbranch_execz .LBB2_10
.LBB2_5:                                ; =>This Inner Loop Header: Depth=1
	v_or_b32_e32 v3, s9, v1
                                        ; implicit-def: $vgpr24_vgpr25
	s_mov_b32 s0, exec_lo
	s_delay_alu instid0(VALU_DEP_1)
	v_cmpx_ne_u64_e32 0, v[2:3]
	s_xor_b32 s1, exec_lo, s0
	s_cbranch_execz .LBB2_7
; %bb.6:                                ;   in Loop: Header=BB2_5 Depth=1
	s_mov_b32 s53, s52
	v_dual_mov_b32 v17, v2 :: v_dual_ashrrev_i32 v12, 31, v1
	s_add_nc_u64 s[2:3], s[8:9], s[52:53]
	s_delay_alu instid0(SALU_CYCLE_1) | instskip(NEXT) | instid1(VALU_DEP_1)
	s_xor_b64 s[2:3], s[2:3], s[52:53]
	v_mov_b32_e32 v13, v12
	s_cvt_f32_u32 s0, s2
	s_cvt_f32_u32 s4, s3
	s_sub_nc_u64 s[58:59], 0, s[2:3]
	s_delay_alu instid0(VALU_DEP_1) | instskip(NEXT) | instid1(SALU_CYCLE_1)
	v_add_nc_u64_e32 v[14:15], v[0:1], v[12:13]
	s_fmamk_f32 s0, s4, 0x4f800000, s0
	v_mov_b32_e32 v21, v2
	s_delay_alu instid0(SALU_CYCLE_2) | instskip(NEXT) | instid1(VALU_DEP_2)
	v_s_rcp_f32 s0, s0
	v_xor_b32_e32 v16, v14, v12
	s_delay_alu instid0(VALU_DEP_3) | instskip(SKIP_1) | instid1(TRANS32_DEP_1)
	v_dual_mov_b32 v25, v2 :: v_dual_bitop2_b32 v20, v15, v12 bitop3:0x14
	v_xor_b32_e32 v12, s52, v12
	s_mul_f32 s0, s0, 0x5f7ffffc
	s_delay_alu instid0(SALU_CYCLE_3) | instskip(NEXT) | instid1(SALU_CYCLE_3)
	s_mul_f32 s4, s0, 0x2f800000
	s_trunc_f32 s4, s4
	s_delay_alu instid0(SALU_CYCLE_3) | instskip(SKIP_1) | instid1(SALU_CYCLE_2)
	s_fmamk_f32 s0, s4, 0xcf800000, s0
	s_cvt_u32_f32 s57, s4
	s_cvt_u32_f32 s56, s0
	s_delay_alu instid0(SALU_CYCLE_3) | instskip(NEXT) | instid1(SALU_CYCLE_1)
	s_mul_u64 s[60:61], s[58:59], s[56:57]
	s_mul_hi_u32 s63, s56, s61
	s_mul_i32 s62, s56, s61
	s_mul_hi_u32 s4, s56, s60
	s_mul_i32 s53, s57, s60
	s_add_nc_u64 s[62:63], s[4:5], s[62:63]
	s_mul_hi_u32 s0, s57, s60
	s_mul_hi_u32 s55, s57, s61
	s_add_co_u32 s4, s62, s53
	s_add_co_ci_u32 s4, s63, s0
	s_mul_i32 s60, s57, s61
	s_add_co_ci_u32 s61, s55, 0
	s_delay_alu instid0(SALU_CYCLE_1) | instskip(NEXT) | instid1(SALU_CYCLE_1)
	s_add_nc_u64 s[60:61], s[4:5], s[60:61]
	s_add_co_u32 s56, s56, s60
	s_cselect_b32 s0, -1, 0
	s_delay_alu instid0(SALU_CYCLE_1) | instskip(SKIP_1) | instid1(SALU_CYCLE_1)
	s_cmp_lg_u32 s0, 0
	s_add_co_ci_u32 s57, s57, s61
	s_mul_u64 s[58:59], s[58:59], s[56:57]
	s_delay_alu instid0(SALU_CYCLE_1)
	s_mul_hi_u32 s61, s56, s59
	s_mul_i32 s60, s56, s59
	s_mul_hi_u32 s4, s56, s58
	s_mul_i32 s53, s57, s58
	s_add_nc_u64 s[60:61], s[4:5], s[60:61]
	s_mul_hi_u32 s0, s57, s58
	s_mul_hi_u32 s55, s57, s59
	s_add_co_u32 s4, s60, s53
	s_add_co_ci_u32 s4, s61, s0
	s_mul_i32 s58, s57, s59
	s_add_co_ci_u32 s59, s55, 0
	s_delay_alu instid0(SALU_CYCLE_1) | instskip(NEXT) | instid1(SALU_CYCLE_1)
	s_add_nc_u64 s[58:59], s[4:5], s[58:59]
	s_add_co_u32 s0, s56, s58
	s_cselect_b32 s4, -1, 0
	v_mul_hi_u32 v24, v16, s0
	s_cmp_lg_u32 s4, 0
	s_add_co_ci_u32 s4, s57, s59
	s_and_b64 s[56:57], s[0:1], s[38:39]
	v_mul_u64_e32 v[18:19], s[4:5], v[16:17]
	v_mul_u64_e32 v[14:15], s[56:57], v[20:21]
	;; [unrolled: 1-line block ×3, first 2 shown]
	s_delay_alu instid0(VALU_DEP_3) | instskip(NEXT) | instid1(VALU_DEP_1)
	v_add_nc_u64_e32 v[18:19], v[24:25], v[18:19]
	v_add_co_u32 v3, vcc_lo, v18, v14
	s_delay_alu instid0(VALU_DEP_2) | instskip(NEXT) | instid1(VALU_DEP_4)
	v_add_co_ci_u32_e32 v24, vcc_lo, v19, v15, vcc_lo
	v_add_co_ci_u32_e32 v23, vcc_lo, 0, v23, vcc_lo
	s_delay_alu instid0(VALU_DEP_1) | instskip(NEXT) | instid1(VALU_DEP_1)
	v_add_nc_u64_e32 v[14:15], v[24:25], v[22:23]
	v_mul_u64_e32 v[18:19], s[2:3], v[14:15]
	s_delay_alu instid0(VALU_DEP_1) | instskip(NEXT) | instid1(VALU_DEP_2)
	v_sub_nc_u32_e32 v3, v20, v19
	v_sub_co_u32 v13, vcc_lo, v16, v18
	s_delay_alu instid0(VALU_DEP_1) | instskip(NEXT) | instid1(VALU_DEP_3)
	v_sub_co_ci_u32_e64 v20, null, v20, v19, vcc_lo
	v_subrev_co_ci_u32_e64 v3, null, s3, v3, vcc_lo
	s_delay_alu instid0(VALU_DEP_3) | instskip(SKIP_1) | instid1(VALU_DEP_3)
	v_sub_co_u32 v16, s0, v13, s2
	v_add_nc_u64_e32 v[18:19], 1, v[14:15]
	v_subrev_co_ci_u32_e64 v3, null, 0, v3, s0
	s_delay_alu instid0(VALU_DEP_3) | instskip(SKIP_1) | instid1(VALU_DEP_3)
	v_cmp_le_u32_e32 vcc_lo, s2, v16
	v_cndmask_b32_e64 v16, 0, -1, vcc_lo
	v_cmp_le_u32_e32 vcc_lo, s3, v3
	v_cndmask_b32_e64 v17, 0, -1, vcc_lo
	;; [unrolled: 2-line block ×4, first 2 shown]
	v_cmp_eq_u32_e32 vcc_lo, s3, v3
	v_cndmask_b32_e32 v3, v17, v16, vcc_lo
	v_cmp_eq_u32_e32 vcc_lo, s3, v20
	v_add_nc_u64_e32 v[16:17], 2, v[14:15]
	v_cndmask_b32_e32 v13, v21, v13, vcc_lo
	s_delay_alu instid0(VALU_DEP_4) | instskip(NEXT) | instid1(VALU_DEP_2)
	v_cmp_ne_u32_e32 vcc_lo, 0, v3
	v_cmp_ne_u32_e64 s0, 0, v13
	s_delay_alu instid0(VALU_DEP_4) | instskip(NEXT) | instid1(VALU_DEP_1)
	v_dual_cndmask_b32 v3, v19, v17, vcc_lo :: v_dual_cndmask_b32 v13, v18, v16, vcc_lo
	v_dual_cndmask_b32 v14, v14, v13, s0 :: v_dual_mov_b32 v13, v12
	s_delay_alu instid0(VALU_DEP_1) | instskip(NEXT) | instid1(VALU_DEP_1)
	v_dual_cndmask_b32 v3, v15, v3, s0 :: v_dual_bitop2_b32 v14, v14, v12 bitop3:0x14
	v_xor_b32_e32 v15, v3, v12
	s_delay_alu instid0(VALU_DEP_1)
	v_sub_nc_u64_e32 v[24:25], v[14:15], v[12:13]
.LBB2_7:                                ;   in Loop: Header=BB2_5 Depth=1
	s_and_not1_saveexec_b32 s0, s1
	s_cbranch_execz .LBB2_2
; %bb.8:                                ;   in Loop: Header=BB2_5 Depth=1
	v_cvt_f32_u32_e32 v3, s8
	s_sub_co_i32 s1, 0, s8
	v_mov_b32_e32 v25, v2
	s_delay_alu instid0(VALU_DEP_2) | instskip(SKIP_1) | instid1(TRANS32_DEP_1)
	v_rcp_iflag_f32_e32 v3, v3
	v_nop
	v_mul_f32_e32 v3, 0x4f7ffffe, v3
	s_delay_alu instid0(VALU_DEP_1) | instskip(NEXT) | instid1(VALU_DEP_1)
	v_cvt_u32_f32_e32 v3, v3
	v_mul_lo_u32 v12, s1, v3
	s_delay_alu instid0(VALU_DEP_1) | instskip(NEXT) | instid1(VALU_DEP_1)
	v_mul_hi_u32 v12, v3, v12
	v_add_nc_u32_e32 v3, v3, v12
	s_delay_alu instid0(VALU_DEP_1) | instskip(NEXT) | instid1(VALU_DEP_1)
	v_mul_hi_u32 v3, v0, v3
	v_mul_lo_u32 v12, v3, s8
	s_delay_alu instid0(VALU_DEP_1) | instskip(NEXT) | instid1(VALU_DEP_1)
	v_dual_add_nc_u32 v13, 1, v3 :: v_dual_sub_nc_u32 v12, v0, v12
	v_subrev_nc_u32_e32 v14, s8, v12
	v_cmp_le_u32_e32 vcc_lo, s8, v12
	s_delay_alu instid0(VALU_DEP_2) | instskip(NEXT) | instid1(VALU_DEP_1)
	v_dual_cndmask_b32 v12, v12, v14 :: v_dual_cndmask_b32 v3, v3, v13
	v_cmp_le_u32_e32 vcc_lo, s8, v12
	s_delay_alu instid0(VALU_DEP_2) | instskip(NEXT) | instid1(VALU_DEP_1)
	v_add_nc_u32_e32 v13, 1, v3
	v_cndmask_b32_e32 v24, v3, v13, vcc_lo
	s_branch .LBB2_2
.LBB2_9:                                ;   in Loop: Header=BB2_5 Depth=1
	s_wait_xcnt 0x8
	v_mov_b64_e32 v[40:41], 0
	s_wait_xcnt 0x3
	v_mov_b64_e32 v[50:51], 0
	v_mov_b64_e32 v[24:25], 0
	;; [unrolled: 1-line block ×4, first 2 shown]
	s_wait_xcnt 0x2
	v_mov_b64_e32 v[52:53], 0
	v_mov_b64_e32 v[42:43], 0
	;; [unrolled: 1-line block ×3, first 2 shown]
	s_branch .LBB2_4
.LBB2_10:
	s_sendmsg sendmsg(MSG_DEALLOC_VGPRS)
	s_endpgm
	.section	.rodata,"a",@progbits
	.p2align	6, 0x0
	.amdhsa_kernel _ZN2at6native12_GLOBAL__N_16kernel17lstm_cell_forwardIddlLi1EEEvNS_4cuda6detail10TensorInfoIT_T1_EES9_S9_S9_S9_S9_S9_S9_S8_S8_
		.amdhsa_group_segment_fixed_size 0
		.amdhsa_private_segment_fixed_size 0
		.amdhsa_kernarg_size 3600
		.amdhsa_user_sgpr_count 2
		.amdhsa_user_sgpr_dispatch_ptr 0
		.amdhsa_user_sgpr_queue_ptr 0
		.amdhsa_user_sgpr_kernarg_segment_ptr 1
		.amdhsa_user_sgpr_dispatch_id 0
		.amdhsa_user_sgpr_kernarg_preload_length 0
		.amdhsa_user_sgpr_kernarg_preload_offset 0
		.amdhsa_user_sgpr_private_segment_size 0
		.amdhsa_wavefront_size32 1
		.amdhsa_uses_dynamic_stack 0
		.amdhsa_enable_private_segment 0
		.amdhsa_system_sgpr_workgroup_id_x 1
		.amdhsa_system_sgpr_workgroup_id_y 0
		.amdhsa_system_sgpr_workgroup_id_z 0
		.amdhsa_system_sgpr_workgroup_info 0
		.amdhsa_system_vgpr_workitem_id 0
		.amdhsa_next_free_vgpr 70
		.amdhsa_next_free_sgpr 64
		.amdhsa_named_barrier_count 0
		.amdhsa_reserve_vcc 1
		.amdhsa_float_round_mode_32 0
		.amdhsa_float_round_mode_16_64 0
		.amdhsa_float_denorm_mode_32 3
		.amdhsa_float_denorm_mode_16_64 3
		.amdhsa_fp16_overflow 0
		.amdhsa_memory_ordered 1
		.amdhsa_forward_progress 1
		.amdhsa_inst_pref_size 44
		.amdhsa_round_robin_scheduling 0
		.amdhsa_exception_fp_ieee_invalid_op 0
		.amdhsa_exception_fp_denorm_src 0
		.amdhsa_exception_fp_ieee_div_zero 0
		.amdhsa_exception_fp_ieee_overflow 0
		.amdhsa_exception_fp_ieee_underflow 0
		.amdhsa_exception_fp_ieee_inexact 0
		.amdhsa_exception_int_div_zero 0
	.end_amdhsa_kernel
	.section	.text._ZN2at6native12_GLOBAL__N_16kernel17lstm_cell_forwardIddlLi1EEEvNS_4cuda6detail10TensorInfoIT_T1_EES9_S9_S9_S9_S9_S9_S9_S8_S8_,"axG",@progbits,_ZN2at6native12_GLOBAL__N_16kernel17lstm_cell_forwardIddlLi1EEEvNS_4cuda6detail10TensorInfoIT_T1_EES9_S9_S9_S9_S9_S9_S9_S8_S8_,comdat
.Lfunc_end2:
	.size	_ZN2at6native12_GLOBAL__N_16kernel17lstm_cell_forwardIddlLi1EEEvNS_4cuda6detail10TensorInfoIT_T1_EES9_S9_S9_S9_S9_S9_S9_S8_S8_, .Lfunc_end2-_ZN2at6native12_GLOBAL__N_16kernel17lstm_cell_forwardIddlLi1EEEvNS_4cuda6detail10TensorInfoIT_T1_EES9_S9_S9_S9_S9_S9_S9_S8_S8_
                                        ; -- End function
	.set _ZN2at6native12_GLOBAL__N_16kernel17lstm_cell_forwardIddlLi1EEEvNS_4cuda6detail10TensorInfoIT_T1_EES9_S9_S9_S9_S9_S9_S9_S8_S8_.num_vgpr, 70
	.set _ZN2at6native12_GLOBAL__N_16kernel17lstm_cell_forwardIddlLi1EEEvNS_4cuda6detail10TensorInfoIT_T1_EES9_S9_S9_S9_S9_S9_S9_S8_S8_.num_agpr, 0
	.set _ZN2at6native12_GLOBAL__N_16kernel17lstm_cell_forwardIddlLi1EEEvNS_4cuda6detail10TensorInfoIT_T1_EES9_S9_S9_S9_S9_S9_S9_S8_S8_.numbered_sgpr, 64
	.set _ZN2at6native12_GLOBAL__N_16kernel17lstm_cell_forwardIddlLi1EEEvNS_4cuda6detail10TensorInfoIT_T1_EES9_S9_S9_S9_S9_S9_S9_S8_S8_.num_named_barrier, 0
	.set _ZN2at6native12_GLOBAL__N_16kernel17lstm_cell_forwardIddlLi1EEEvNS_4cuda6detail10TensorInfoIT_T1_EES9_S9_S9_S9_S9_S9_S9_S8_S8_.private_seg_size, 0
	.set _ZN2at6native12_GLOBAL__N_16kernel17lstm_cell_forwardIddlLi1EEEvNS_4cuda6detail10TensorInfoIT_T1_EES9_S9_S9_S9_S9_S9_S9_S8_S8_.uses_vcc, 1
	.set _ZN2at6native12_GLOBAL__N_16kernel17lstm_cell_forwardIddlLi1EEEvNS_4cuda6detail10TensorInfoIT_T1_EES9_S9_S9_S9_S9_S9_S9_S8_S8_.uses_flat_scratch, 0
	.set _ZN2at6native12_GLOBAL__N_16kernel17lstm_cell_forwardIddlLi1EEEvNS_4cuda6detail10TensorInfoIT_T1_EES9_S9_S9_S9_S9_S9_S9_S8_S8_.has_dyn_sized_stack, 0
	.set _ZN2at6native12_GLOBAL__N_16kernel17lstm_cell_forwardIddlLi1EEEvNS_4cuda6detail10TensorInfoIT_T1_EES9_S9_S9_S9_S9_S9_S9_S8_S8_.has_recursion, 0
	.set _ZN2at6native12_GLOBAL__N_16kernel17lstm_cell_forwardIddlLi1EEEvNS_4cuda6detail10TensorInfoIT_T1_EES9_S9_S9_S9_S9_S9_S9_S8_S8_.has_indirect_call, 0
	.section	.AMDGPU.csdata,"",@progbits
; Kernel info:
; codeLenInByte = 5628
; TotalNumSgprs: 66
; NumVgprs: 70
; ScratchSize: 0
; MemoryBound: 0
; FloatMode: 240
; IeeeMode: 1
; LDSByteSize: 0 bytes/workgroup (compile time only)
; SGPRBlocks: 0
; VGPRBlocks: 4
; NumSGPRsForWavesPerEU: 66
; NumVGPRsForWavesPerEU: 70
; NamedBarCnt: 0
; Occupancy: 12
; WaveLimiterHint : 1
; COMPUTE_PGM_RSRC2:SCRATCH_EN: 0
; COMPUTE_PGM_RSRC2:USER_SGPR: 2
; COMPUTE_PGM_RSRC2:TRAP_HANDLER: 0
; COMPUTE_PGM_RSRC2:TGID_X_EN: 1
; COMPUTE_PGM_RSRC2:TGID_Y_EN: 0
; COMPUTE_PGM_RSRC2:TGID_Z_EN: 0
; COMPUTE_PGM_RSRC2:TIDIG_COMP_CNT: 0
	.section	.text._ZN2at6native12_GLOBAL__N_16kernel17lstm_cell_forwardIddlLi2EEEvNS_4cuda6detail10TensorInfoIT_T1_EES9_S9_S9_S9_S9_S9_S9_S8_S8_,"axG",@progbits,_ZN2at6native12_GLOBAL__N_16kernel17lstm_cell_forwardIddlLi2EEEvNS_4cuda6detail10TensorInfoIT_T1_EES9_S9_S9_S9_S9_S9_S9_S8_S8_,comdat
	.globl	_ZN2at6native12_GLOBAL__N_16kernel17lstm_cell_forwardIddlLi2EEEvNS_4cuda6detail10TensorInfoIT_T1_EES9_S9_S9_S9_S9_S9_S9_S8_S8_ ; -- Begin function _ZN2at6native12_GLOBAL__N_16kernel17lstm_cell_forwardIddlLi2EEEvNS_4cuda6detail10TensorInfoIT_T1_EES9_S9_S9_S9_S9_S9_S9_S8_S8_
	.p2align	8
	.type	_ZN2at6native12_GLOBAL__N_16kernel17lstm_cell_forwardIddlLi2EEEvNS_4cuda6detail10TensorInfoIT_T1_EES9_S9_S9_S9_S9_S9_S9_S8_S8_,@function
_ZN2at6native12_GLOBAL__N_16kernel17lstm_cell_forwardIddlLi2EEEvNS_4cuda6detail10TensorInfoIT_T1_EES9_S9_S9_S9_S9_S9_S9_S8_S8_: ; @_ZN2at6native12_GLOBAL__N_16kernel17lstm_cell_forwardIddlLi2EEEvNS_4cuda6detail10TensorInfoIT_T1_EES9_S9_S9_S9_S9_S9_S9_S8_S8_
; %bb.0:
	s_clause 0x1
	s_load_b32 s2, s[0:1], 0xd1c
	s_load_b128 s[8:11], s[0:1], 0xd00
	s_bfe_u32 s3, ttmp6, 0x4000c
	s_and_b32 s4, ttmp6, 15
	s_add_co_i32 s3, s3, 1
	s_getreg_b32 s5, hwreg(HW_REG_IB_STS2, 6, 4)
	s_mul_i32 s3, ttmp9, s3
	v_mov_b32_e32 v2, 0
	s_add_co_i32 s4, s4, s3
	s_delay_alu instid0(VALU_DEP_1)
	v_mov_b32_e32 v1, v2
	s_wait_kmcnt 0x0
	s_and_b32 s2, s2, 0xffff
	s_cmp_eq_u32 s5, 0
	s_mov_b32 s5, 0
	s_cselect_b32 s3, ttmp9, s4
	s_delay_alu instid0(SALU_CYCLE_1) | instskip(SKIP_1) | instid1(VALU_DEP_1)
	v_mad_u32 v0, s3, s2, v0
	s_mov_b32 s3, exec_lo
	v_cmpx_gt_i64_e64 s[10:11], v[0:1]
	s_cbranch_execz .LBB3_70
; %bb.1:
	s_add_nc_u64 s[24:25], s[0:1], 0xd10
	s_clause 0x4
	s_load_b64 s[6:7], s[0:1], 0x340
	s_load_b64 s[34:35], s[0:1], 0x0
	;; [unrolled: 1-line block ×3, first 2 shown]
	s_load_b128 s[12:15], s[0:1], 0xd0
	s_load_b64 s[42:43], s[0:1], 0x1a0
	s_load_b32 s3, s[24:25], 0x0
	s_clause 0x9
	s_load_b64 s[44:45], s[0:1], 0x1b0
	s_load_b128 s[16:19], s[0:1], 0x270
	s_load_b64 s[46:47], s[0:1], 0x410
	s_load_b64 s[48:49], s[0:1], 0x4e0
	;; [unrolled: 1-line block ×5, first 2 shown]
	s_load_b128 s[20:23], s[0:1], 0x750
	s_load_b64 s[56:57], s[0:1], 0x820
	; meta instruction
	s_load_b64 s[58:59], s[0:1], 0x830
	s_wait_xcnt 0x0
	s_clause 0x6
	s_load_b128 s[24:27], s[0:1], 0x8f0
	s_load_b64 s[60:61], s[0:1], 0x9c0
	s_load_b64 s[62:63], s[0:1], 0x9d0
	s_load_b128 s[28:31], s[0:1], 0xa90
	s_load_b64 s[64:65], s[0:1], 0xb60
	s_load_b64 s[66:67], s[0:1], 0xb70
	s_load_b128 s[36:39], s[0:1], 0xc30
	v_mov_b64_e32 v[4:5], 0x3e928af3fca7ab0c
	s_wait_kmcnt 0x0
	s_cmp_lg_u64 s[6:7], 0
	s_mul_i32 s68, s3, s2
	s_cselect_b32 s33, -1, 0
	s_mov_b32 s69, s5
	s_mul_u64 s[70:71], s[8:9], 3
	s_mov_b64 s[72:73], 0xffffffff
	s_mov_b64 s[74:75], 0xbfe62e42fefa39ef
	;; [unrolled: 1-line block ×4, first 2 shown]
	s_sub_nc_u64 s[80:81], 0, s[8:9]
	s_sub_nc_u64 s[82:83], 0, s[54:55]
	s_mov_b32 s90, 0
	s_sub_nc_u64 s[84:85], 0, s[58:59]
                                        ; implicit-def: $vgpr6_vgpr7
                                        ; implicit-def: $vgpr6_vgpr7
	;; [unrolled: 1-line block ×8, first 2 shown]
	s_sub_nc_u64 s[86:87], 0, s[62:63]
	s_branch .LBB3_5
.LBB3_2:                                ;   in Loop: Header=BB3_5 Depth=1
	s_or_b32 exec_lo, exec_lo, s0
	s_delay_alu instid0(SALU_CYCLE_1)
	s_and_not1_b32 vcc_lo, exec_lo, s33
	s_cbranch_vccnz .LBB3_69
; %bb.3:                                ;   in Loop: Header=BB3_5 Depth=1
	v_sub_nc_u64_e32 v[16:17], 1, v[20:21]
	v_sub_nc_u64_e32 v[48:49], 2, v[20:21]
	v_sub_nc_u64_e32 v[50:51], 3, v[20:21]
	v_mad_nc_u64_u32 v[52:53], s80, v20, v[0:1]
	s_delay_alu instid0(VALU_DEP_4) | instskip(NEXT) | instid1(VALU_DEP_4)
	v_mad_nc_u64_u32 v[54:55], s8, v16, v[0:1]
	v_mad_nc_u64_u32 v[56:57], s8, v48, v[0:1]
	s_delay_alu instid0(VALU_DEP_4) | instskip(NEXT) | instid1(VALU_DEP_4)
	v_mad_nc_u64_u32 v[58:59], s8, v50, v[0:1]
	v_mad_u32 v3, s81, v20, v53
	s_delay_alu instid0(VALU_DEP_4) | instskip(NEXT) | instid1(VALU_DEP_4)
	v_mad_u32 v16, s9, v16, v55
	v_mad_u32 v20, s9, v48, v57
	s_delay_alu instid0(VALU_DEP_4) | instskip(NEXT) | instid1(VALU_DEP_4)
	v_mad_u32 v48, s9, v50, v59
	;; [unrolled: 3-line block ×4, first 2 shown]
	v_mul_u64_e32 v[16:17], s[46:47], v[52:53]
	v_mul_u64_e32 v[20:21], s[50:51], v[52:53]
	;; [unrolled: 1-line block ×8, first 2 shown]
	v_lshl_add_u64 v[16:17], v[16:17], 3, s[6:7]
	v_lshl_add_u64 v[60:61], v[20:21], 3, s[48:49]
	;; [unrolled: 1-line block ×8, first 2 shown]
	s_clause 0x3
	global_load_b64 v[54:55], v[16:17], off
	global_load_b64 v[52:53], v[20:21], off
	;; [unrolled: 1-line block ×4, first 2 shown]
	s_clause 0x3
	global_load_b64 v[50:51], v[60:61], off
	global_load_b64 v[48:49], v[62:63], off
	;; [unrolled: 1-line block ×4, first 2 shown]
.LBB3_4:                                ;   in Loop: Header=BB3_5 Depth=1
	s_wait_loadcnt 0x2
	v_add_f64_e32 v[24:25], v[24:25], v[38:39]
	v_add_f64_e32 v[18:19], v[18:19], v[28:29]
	;; [unrolled: 1-line block ×3, first 2 shown]
	s_wait_loadcnt 0x1
	v_add_f64_e32 v[22:23], v[22:23], v[32:33]
	s_delay_alu instid0(VALU_DEP_4) | instskip(NEXT) | instid1(VALU_DEP_4)
	v_add_f64_e32 v[24:25], v[24:25], v[58:59]
	v_add_f64_e32 v[18:19], v[18:19], v[52:53]
	s_delay_alu instid0(VALU_DEP_4) | instskip(NEXT) | instid1(VALU_DEP_4)
	v_add_f64_e32 v[14:15], v[14:15], v[54:55]
	;; [unrolled: 3-line block ×3, first 2 shown]
	v_add_f64_e32 v[18:19], v[48:49], v[18:19]
	s_delay_alu instid0(VALU_DEP_4) | instskip(SKIP_1) | instid1(VALU_DEP_4)
	v_add_f64_e32 v[14:15], v[50:51], v[14:15]
	s_wait_loadcnt 0x0
	v_add_f64_e32 v[16:17], v[16:17], v[20:21]
	s_delay_alu instid0(VALU_DEP_4) | instskip(NEXT) | instid1(VALU_DEP_4)
	v_mul_f64_e64 v[38:39], |v[24:25]|, s[76:77]
	v_cmp_ngt_f64_e64 s3, 0xc0900000, v[18:19]
	s_delay_alu instid0(VALU_DEP_4) | instskip(SKIP_3) | instid1(VALU_DEP_4)
	v_mul_f64_e32 v[48:49], 0xbff71547652b82fe, v[14:15]
	v_cmp_nlt_f64_e64 s1, 0x4090cc00, v[14:15]
	v_cmp_nlt_f64_e64 s4, 0x4090cc00, v[18:19]
	v_rndne_f64_e32 v[38:39], v[38:39]
	v_rndne_f64_e32 v[48:49], v[48:49]
	s_wait_xcnt 0x1
	s_delay_alu instid0(VALU_DEP_2) | instskip(SKIP_2) | instid1(VALU_DEP_3)
	v_fma_f64 v[56:57], v[38:39], s[78:79], |v[24:25]|
	v_mul_f64_e32 v[58:59], 0x3d53de6af278e000, v[38:39]
	v_cvt_i32_f64_e32 v3, v[38:39]
	v_add_f64_e32 v[60:61], 0, v[56:57]
	s_delay_alu instid0(VALU_DEP_1) | instskip(SKIP_1) | instid1(VALU_DEP_2)
	v_add_f64_e64 v[62:63], v[60:61], -v[58:59]
	v_add_f64_e64 v[56:57], v[56:57], -v[60:61]
	;; [unrolled: 1-line block ×3, first 2 shown]
	s_delay_alu instid0(VALU_DEP_2) | instskip(NEXT) | instid1(VALU_DEP_2)
	v_add_f64_e32 v[56:57], 0, v[56:57]
	v_add_f64_e64 v[58:59], v[60:61], -v[58:59]
	s_delay_alu instid0(VALU_DEP_1) | instskip(SKIP_1) | instid1(VALU_DEP_2)
	v_add_f64_e32 v[56:57], v[56:57], v[58:59]
	v_mul_f64_e32 v[58:59], 0x3ac9cc01f97b57a0, v[38:39]
	v_add_f64_e32 v[60:61], v[62:63], v[56:57]
	s_wait_xcnt 0x0
	s_delay_alu instid0(VALU_DEP_1) | instskip(SKIP_1) | instid1(VALU_DEP_2)
	v_add_f64_e64 v[64:65], v[60:61], -v[58:59]
	v_add_f64_e64 v[62:63], v[62:63], -v[60:61]
	;; [unrolled: 1-line block ×3, first 2 shown]
	s_delay_alu instid0(VALU_DEP_2) | instskip(NEXT) | instid1(VALU_DEP_2)
	v_add_f64_e32 v[56:57], v[56:57], v[62:63]
	v_add_f64_e64 v[58:59], v[60:61], -v[58:59]
	s_delay_alu instid0(VALU_DEP_1) | instskip(NEXT) | instid1(VALU_DEP_1)
	v_add_f64_e32 v[56:57], v[56:57], v[58:59]
	v_add_f64_e32 v[58:59], v[64:65], v[56:57]
	s_delay_alu instid0(VALU_DEP_1) | instskip(SKIP_1) | instid1(VALU_DEP_2)
	v_add_f64_e64 v[60:61], v[64:65], -v[58:59]
	v_mul_f64_e32 v[62:63], v[58:59], v[58:59]
	v_add_f64_e32 v[56:57], v[56:57], v[60:61]
	s_delay_alu instid0(VALU_DEP_2) | instskip(NEXT) | instid1(VALU_DEP_2)
	v_fma_f64 v[60:61], v[58:59], v[58:59], -v[62:63]
	v_add_f64_e32 v[64:65], v[56:57], v[56:57]
	s_delay_alu instid0(VALU_DEP_1) | instskip(SKIP_1) | instid1(VALU_DEP_1)
	v_fmac_f64_e32 v[60:61], v[58:59], v[64:65]
	v_fmamk_f64 v[64:65], v[58:59], 0x3e5ade156a5dcb37, v[4:5]
	v_fmaak_f64 v[64:65], v[58:59], v[64:65], 0x3ec71dee623fde64
	s_delay_alu instid0(VALU_DEP_1) | instskip(NEXT) | instid1(VALU_DEP_1)
	v_fmaak_f64 v[64:65], v[58:59], v[64:65], 0x3efa01997c89e6b0
	v_fmaak_f64 v[64:65], v[58:59], v[64:65], 0x3f2a01a014761f6e
	s_delay_alu instid0(VALU_DEP_1) | instskip(SKIP_1) | instid1(VALU_DEP_2)
	v_fmaak_f64 v[64:65], v[58:59], v[64:65], 0x3f56c16c1852b7b0
	v_add_f64_e32 v[66:67], v[62:63], v[60:61]
	v_fmaak_f64 v[64:65], v[58:59], v[64:65], 0x3f81111111122322
	s_delay_alu instid0(VALU_DEP_1) | instskip(NEXT) | instid1(VALU_DEP_1)
	v_fmaak_f64 v[64:65], v[58:59], v[64:65], 0x3fa55555555502a1
	v_fmaak_f64 v[64:65], v[58:59], v[64:65], 0x3fc5555555555511
	s_delay_alu instid0(VALU_DEP_1) | instskip(SKIP_1) | instid1(VALU_DEP_2)
	v_fmaak_f64 v[64:65], v[58:59], v[64:65], 0x3fe000000000000b
	v_add_f64_e64 v[62:63], v[66:67], -v[62:63]
	v_mul_f64_e32 v[68:69], v[66:67], v[64:65]
	s_delay_alu instid0(VALU_DEP_2) | instskip(NEXT) | instid1(VALU_DEP_2)
	v_add_f64_e64 v[60:61], v[60:61], -v[62:63]
	v_fma_f64 v[62:63], v[66:67], v[64:65], -v[68:69]
	s_delay_alu instid0(VALU_DEP_1) | instskip(NEXT) | instid1(VALU_DEP_1)
	v_fmac_f64_e32 v[62:63], v[60:61], v[64:65]
	v_add_f64_e32 v[60:61], v[68:69], v[62:63]
	s_delay_alu instid0(VALU_DEP_1) | instskip(SKIP_1) | instid1(VALU_DEP_2)
	v_add_f64_e32 v[64:65], v[58:59], v[60:61]
	v_add_f64_e64 v[66:67], v[60:61], -v[68:69]
	v_add_f64_e64 v[58:59], v[64:65], -v[58:59]
	s_delay_alu instid0(VALU_DEP_2) | instskip(NEXT) | instid1(VALU_DEP_2)
	v_add_f64_e64 v[62:63], v[62:63], -v[66:67]
	v_add_f64_e64 v[58:59], v[60:61], -v[58:59]
	s_delay_alu instid0(VALU_DEP_2) | instskip(NEXT) | instid1(VALU_DEP_1)
	v_add_f64_e32 v[56:57], v[56:57], v[62:63]
	v_add_f64_e32 v[56:57], v[56:57], v[58:59]
	s_delay_alu instid0(VALU_DEP_1) | instskip(NEXT) | instid1(VALU_DEP_1)
	v_add_f64_e32 v[58:59], v[64:65], v[56:57]
	v_add_f64_e32 v[60:61], 1.0, v[58:59]
	v_add_f64_e64 v[62:63], v[58:59], -v[64:65]
	s_delay_alu instid0(VALU_DEP_2) | instskip(NEXT) | instid1(VALU_DEP_2)
	v_add_f64_e32 v[64:65], -1.0, v[60:61]
	v_add_f64_e64 v[56:57], v[56:57], -v[62:63]
	s_delay_alu instid0(VALU_DEP_2) | instskip(NEXT) | instid1(VALU_DEP_1)
	v_add_f64_e64 v[58:59], v[58:59], -v[64:65]
	v_add_f64_e32 v[56:57], v[56:57], v[58:59]
	s_delay_alu instid0(VALU_DEP_1) | instskip(NEXT) | instid1(VALU_DEP_1)
	v_add_f64_e32 v[38:39], v[60:61], v[56:57]
	v_ldexp_f64 v[58:59], v[38:39], v3
	v_add_f64_e64 v[38:39], v[38:39], -v[60:61]
	s_delay_alu instid0(VALU_DEP_2) | instskip(NEXT) | instid1(VALU_DEP_1)
	v_rcp_f64_e32 v[62:63], v[58:59]
	v_add_f64_e64 v[38:39], v[56:57], -v[38:39]
	s_delay_alu instid0(VALU_DEP_1) | instskip(SKIP_1) | instid1(TRANS32_DEP_1)
	v_ldexp_f64 v[38:39], v[38:39], v3
	v_cvt_i32_f64_e32 v3, v[48:49]
	v_fma_f64 v[64:65], -v[58:59], v[62:63], 1.0
	s_delay_alu instid0(VALU_DEP_1) | instskip(NEXT) | instid1(VALU_DEP_1)
	v_fmac_f64_e32 v[62:63], v[64:65], v[62:63]
	v_fma_f64 v[64:65], -v[58:59], v[62:63], 1.0
	s_delay_alu instid0(VALU_DEP_1) | instskip(NEXT) | instid1(VALU_DEP_1)
	v_fmac_f64_e32 v[62:63], v[64:65], v[62:63]
	v_mul_f64_e32 v[56:57], v[58:59], v[62:63]
	s_delay_alu instid0(VALU_DEP_1) | instskip(NEXT) | instid1(VALU_DEP_1)
	v_fma_f64 v[60:61], v[62:63], v[58:59], -v[56:57]
	v_fmac_f64_e32 v[60:61], v[62:63], v[38:39]
	s_delay_alu instid0(VALU_DEP_1) | instskip(NEXT) | instid1(VALU_DEP_1)
	v_add_f64_e32 v[64:65], v[56:57], v[60:61]
	v_add_f64_e64 v[66:67], -v[64:65], 1.0
	v_add_f64_e64 v[56:57], v[64:65], -v[56:57]
	s_delay_alu instid0(VALU_DEP_2) | instskip(NEXT) | instid1(VALU_DEP_2)
	v_add_f64_e64 v[68:69], -v[66:67], 1.0
	v_add_f64_e64 v[56:57], v[56:57], -v[60:61]
	s_delay_alu instid0(VALU_DEP_2) | instskip(NEXT) | instid1(VALU_DEP_1)
	v_add_f64_e64 v[60:61], v[68:69], -v[64:65]
	v_add_f64_e32 v[56:57], v[56:57], v[60:61]
	s_delay_alu instid0(VALU_DEP_1) | instskip(NEXT) | instid1(VALU_DEP_1)
	v_add_f64_e32 v[60:61], v[66:67], v[56:57]
	v_mul_f64_e32 v[64:65], v[62:63], v[60:61]
	v_add_f64_e64 v[66:67], v[66:67], -v[60:61]
	s_delay_alu instid0(VALU_DEP_2) | instskip(NEXT) | instid1(VALU_DEP_2)
	v_mul_f64_e32 v[68:69], v[58:59], v[64:65]
	v_add_f64_e32 v[56:57], v[56:57], v[66:67]
	s_delay_alu instid0(VALU_DEP_2) | instskip(NEXT) | instid1(VALU_DEP_1)
	v_fma_f64 v[70:71], v[64:65], v[58:59], -v[68:69]
	v_fmac_f64_e32 v[70:71], v[64:65], v[38:39]
	s_delay_alu instid0(VALU_DEP_1) | instskip(NEXT) | instid1(VALU_DEP_1)
	v_add_f64_e32 v[72:73], v[68:69], v[70:71]
	v_add_f64_e64 v[74:75], v[60:61], -v[72:73]
	v_add_f64_e64 v[66:67], v[72:73], -v[68:69]
	s_delay_alu instid0(VALU_DEP_2) | instskip(NEXT) | instid1(VALU_DEP_2)
	v_add_f64_e64 v[60:61], v[60:61], -v[74:75]
	v_add_f64_e64 v[66:67], v[66:67], -v[70:71]
	s_delay_alu instid0(VALU_DEP_2) | instskip(NEXT) | instid1(VALU_DEP_1)
	v_add_f64_e64 v[60:61], v[60:61], -v[72:73]
	v_add_f64_e32 v[56:57], v[56:57], v[60:61]
	v_add_f64_e32 v[60:61], v[62:63], v[64:65]
	s_delay_alu instid0(VALU_DEP_2) | instskip(NEXT) | instid1(VALU_DEP_2)
	v_add_f64_e32 v[56:57], v[66:67], v[56:57]
	v_add_f64_e64 v[66:67], v[60:61], -v[62:63]
	s_delay_alu instid0(VALU_DEP_2) | instskip(NEXT) | instid1(VALU_DEP_2)
	v_add_f64_e32 v[56:57], v[74:75], v[56:57]
	v_add_f64_e64 v[64:65], v[64:65], -v[66:67]
	s_delay_alu instid0(VALU_DEP_2) | instskip(NEXT) | instid1(VALU_DEP_1)
	v_mul_f64_e32 v[56:57], v[62:63], v[56:57]
	v_add_f64_e32 v[56:57], v[64:65], v[56:57]
	s_delay_alu instid0(VALU_DEP_1) | instskip(NEXT) | instid1(VALU_DEP_1)
	v_add_f64_e32 v[62:63], v[60:61], v[56:57]
	v_add_f64_e32 v[26:27], v[58:59], v[62:63]
	v_add_f64_e64 v[60:61], v[62:63], -v[60:61]
	s_delay_alu instid0(VALU_DEP_2) | instskip(NEXT) | instid1(VALU_DEP_2)
	v_add_f64_e64 v[28:29], v[26:27], -v[58:59]
	v_add_f64_e64 v[54:55], v[56:57], -v[60:61]
	;; [unrolled: 1-line block ×3, first 2 shown]
	v_fma_f64 v[60:61], v[48:49], s[74:75], -v[14:15]
	s_delay_alu instid0(VALU_DEP_4) | instskip(NEXT) | instid1(VALU_DEP_4)
	v_add_f64_e64 v[28:29], v[62:63], -v[28:29]
	v_add_f64_e32 v[50:51], v[38:39], v[54:55]
	s_delay_alu instid0(VALU_DEP_4) | instskip(NEXT) | instid1(VALU_DEP_4)
	v_add_f64_e64 v[58:59], v[58:59], -v[56:57]
	v_fmac_f64_e32 v[60:61], 0xbc7abc9e3b39803f, v[48:49]
	s_delay_alu instid0(VALU_DEP_3) | instskip(SKIP_1) | instid1(VALU_DEP_4)
	v_add_f64_e32 v[28:29], v[50:51], v[28:29]
	v_mul_f64_e32 v[50:51], 0xbff71547652b82fe, v[18:19]
	v_add_f64_e64 v[58:59], v[58:59], -v[62:63]
	s_delay_alu instid0(VALU_DEP_4) | instskip(NEXT) | instid1(VALU_DEP_1)
	v_fmamk_f64 v[68:69], v[60:61], 0x3e5ade156a5dcb37, v[4:5]
	v_fmaak_f64 v[68:69], v[60:61], v[68:69], 0x3ec71dee623fde64
	v_add_f64_e32 v[52:53], v[26:27], v[28:29]
	v_rndne_f64_e32 v[50:51], v[50:51]
	v_add_f64_e32 v[38:39], v[38:39], v[58:59]
	s_delay_alu instid0(VALU_DEP_4) | instskip(NEXT) | instid1(VALU_DEP_1)
	v_fmaak_f64 v[58:59], v[60:61], v[68:69], 0x3efa01997c89e6b0
	v_fmaak_f64 v[58:59], v[60:61], v[58:59], 0x3f2a01a014761f6e
	s_delay_alu instid0(VALU_DEP_1) | instskip(NEXT) | instid1(VALU_DEP_1)
	v_fmaak_f64 v[58:59], v[60:61], v[58:59], 0x3f56c16c1852b7b0
	v_fmaak_f64 v[58:59], v[60:61], v[58:59], 0x3f81111111122322
	s_delay_alu instid0(VALU_DEP_1) | instskip(SKIP_4) | instid1(VALU_DEP_4)
	v_fmaak_f64 v[58:59], v[60:61], v[58:59], 0x3fa55555555502a1
	v_rcp_f64_e32 v[64:65], v[52:53]
	v_fma_f64 v[66:67], v[50:51], s[74:75], -v[18:19]
	v_add_f64_e64 v[38:39], v[38:39], -v[54:55]
	v_add_f64_e64 v[26:27], v[52:53], -v[26:27]
	v_fmaak_f64 v[58:59], v[60:61], v[58:59], 0x3fc5555555555511
	s_delay_alu instid0(VALU_DEP_1) | instskip(NEXT) | instid1(VALU_DEP_1)
	v_fmaak_f64 v[58:59], v[60:61], v[58:59], 0x3fe000000000000b
	v_fma_f64 v[58:59], v[60:61], v[58:59], 1.0
	v_fmac_f64_e32 v[66:67], 0xbc7abc9e3b39803f, v[50:51]
	v_add_f64_e32 v[68:69], v[56:57], v[38:39]
	v_add_f64_e64 v[26:27], v[28:29], -v[26:27]
	s_delay_alu instid0(TRANS32_DEP_1) | instskip(SKIP_3) | instid1(VALU_DEP_4)
	v_fma_f64 v[62:63], -v[52:53], v[64:65], 1.0
	v_fma_f64 v[48:49], v[60:61], v[58:59], 1.0
	v_cvt_i32_f64_e32 v60, v[50:51]
	v_add_f64_e64 v[56:57], v[68:69], -v[56:57]
	v_fmac_f64_e32 v[64:65], v[62:63], v[64:65]
	v_fmamk_f64 v[62:63], v[66:67], 0x3e5ade156a5dcb37, v[4:5]
	s_delay_alu instid0(VALU_DEP_1) | instskip(SKIP_1) | instid1(VALU_DEP_2)
	v_fmaak_f64 v[62:63], v[66:67], v[62:63], 0x3ec71dee623fde64
	v_ldexp_f64 v[48:49], v[48:49], v3
	v_fmaak_f64 v[62:63], v[66:67], v[62:63], 0x3efa01997c89e6b0
	s_delay_alu instid0(VALU_DEP_1) | instskip(SKIP_1) | instid1(VALU_DEP_2)
	v_fmaak_f64 v[62:63], v[66:67], v[62:63], 0x3f2a01a014761f6e
	v_add_f64_e64 v[38:39], v[38:39], -v[56:57]
	v_fmaak_f64 v[62:63], v[66:67], v[62:63], 0x3f56c16c1852b7b0
	v_fma_f64 v[54:55], -v[52:53], v[64:65], 1.0
	s_delay_alu instid0(VALU_DEP_2) | instskip(NEXT) | instid1(VALU_DEP_1)
	v_fmaak_f64 v[62:63], v[66:67], v[62:63], 0x3f81111111122322
	v_fmaak_f64 v[62:63], v[66:67], v[62:63], 0x3fa55555555502a1
	v_add_f64_e32 v[48:49], 1.0, v[48:49]
	s_delay_alu instid0(VALU_DEP_4) | instskip(NEXT) | instid1(VALU_DEP_3)
	v_fmac_f64_e32 v[64:65], v[54:55], v[64:65]
	v_fmaak_f64 v[54:55], v[66:67], v[62:63], 0x3fc5555555555511
	s_delay_alu instid0(VALU_DEP_1) | instskip(NEXT) | instid1(VALU_DEP_1)
	v_fmaak_f64 v[54:55], v[66:67], v[54:55], 0x3fe000000000000b
	v_fma_f64 v[54:55], v[66:67], v[54:55], 1.0
	s_delay_alu instid0(VALU_DEP_4) | instskip(NEXT) | instid1(VALU_DEP_2)
	v_mul_f64_e32 v[58:59], v[68:69], v[64:65]
	v_fma_f64 v[50:51], v[66:67], v[54:55], 1.0
	s_delay_alu instid0(VALU_DEP_2) | instskip(NEXT) | instid1(VALU_DEP_2)
	v_mul_f64_e32 v[54:55], v[52:53], v[58:59]
	v_ldexp_f64 v[50:51], v[50:51], v60
	s_delay_alu instid0(VALU_DEP_2) | instskip(SKIP_1) | instid1(VALU_DEP_3)
	v_fma_f64 v[28:29], v[58:59], v[52:53], -v[54:55]
	v_div_scale_f64 v[52:53], null, v[48:49], v[48:49], 1.0
	v_add_f64_e32 v[50:51], 1.0, v[50:51]
	s_delay_alu instid0(VALU_DEP_3) | instskip(NEXT) | instid1(VALU_DEP_3)
	v_fmac_f64_e32 v[28:29], v[58:59], v[26:27]
	v_rcp_f64_e32 v[60:61], v[52:53]
	s_delay_alu instid0(VALU_DEP_2) | instskip(NEXT) | instid1(VALU_DEP_2)
	v_div_scale_f64 v[26:27], null, v[50:51], v[50:51], 1.0
	v_add_f64_e32 v[62:63], v[54:55], v[28:29]
	s_delay_alu instid0(TRANS32_DEP_1) | instskip(NEXT) | instid1(VALU_DEP_3)
	v_fma_f64 v[70:71], -v[52:53], v[60:61], 1.0
	v_rcp_f64_e32 v[66:67], v[26:27]
	s_delay_alu instid0(VALU_DEP_2) | instskip(SKIP_1) | instid1(VALU_DEP_3)
	v_add_f64_e64 v[72:73], v[68:69], -v[62:63]
	v_add_f64_e64 v[54:55], v[62:63], -v[54:55]
	v_fmac_f64_e32 v[60:61], v[60:61], v[70:71]
	s_delay_alu instid0(TRANS32_DEP_1) | instskip(NEXT) | instid1(VALU_DEP_4)
	v_fma_f64 v[74:75], -v[26:27], v[66:67], 1.0
	v_add_f64_e64 v[70:71], v[68:69], -v[72:73]
	s_delay_alu instid0(VALU_DEP_4) | instskip(SKIP_1) | instid1(VALU_DEP_4)
	v_add_f64_e64 v[28:29], v[28:29], -v[54:55]
	v_div_scale_f64 v[68:69], vcc_lo, 1.0, v[48:49], 1.0
	v_fmac_f64_e32 v[66:67], v[66:67], v[74:75]
	v_fma_f64 v[74:75], -v[52:53], v[60:61], 1.0
	v_add_f64_e64 v[54:55], v[70:71], -v[62:63]
	s_delay_alu instid0(VALU_DEP_3) | instskip(NEXT) | instid1(VALU_DEP_3)
	v_fma_f64 v[62:63], -v[26:27], v[66:67], 1.0
	v_fmac_f64_e32 v[60:61], v[60:61], v[74:75]
	s_delay_alu instid0(VALU_DEP_3) | instskip(SKIP_1) | instid1(VALU_DEP_4)
	v_add_f64_e64 v[28:29], v[54:55], -v[28:29]
	v_div_scale_f64 v[54:55], s0, 1.0, v[50:51], 1.0
	v_fmac_f64_e32 v[66:67], v[66:67], v[62:63]
	s_delay_alu instid0(VALU_DEP_4) | instskip(NEXT) | instid1(VALU_DEP_4)
	v_mul_f64_e32 v[56:57], v[68:69], v[60:61]
	v_add_f64_e32 v[28:29], v[38:39], v[28:29]
	s_delay_alu instid0(VALU_DEP_3) | instskip(NEXT) | instid1(VALU_DEP_3)
	v_mul_f64_e32 v[38:39], v[54:55], v[66:67]
	v_fma_f64 v[52:53], -v[52:53], v[56:57], v[68:69]
	s_delay_alu instid0(VALU_DEP_3) | instskip(NEXT) | instid1(VALU_DEP_3)
	v_add_f64_e32 v[28:29], v[72:73], v[28:29]
	v_fma_f64 v[26:27], -v[26:27], v[38:39], v[54:55]
	s_delay_alu instid0(VALU_DEP_3) | instskip(SKIP_2) | instid1(VALU_DEP_4)
	v_div_fmas_f64 v[52:53], v[52:53], v[60:61], v[56:57]
	s_mov_b32 vcc_lo, s0
	v_cmp_ngt_f64_e64 s0, 0xc0900000, v[14:15]
	v_mul_f64_e32 v[28:29], v[64:65], v[28:29]
	s_delay_alu instid0(VALU_DEP_4) | instskip(NEXT) | instid1(VALU_DEP_4)
	v_div_fmas_f64 v[26:27], v[26:27], v[66:67], v[38:39]
	v_div_fixup_f64 v[38:39], v[52:53], v[48:49], 1.0
	s_delay_alu instid0(VALU_DEP_3) | instskip(NEXT) | instid1(VALU_DEP_3)
	v_add_f64_e32 v[28:29], v[58:59], v[28:29]
	v_div_fixup_f64 v[26:27], v[26:27], v[50:51], 1.0
	s_delay_alu instid0(VALU_DEP_3)
	v_cndmask_b32_e64 v3, 0, v39, s0
	v_cmp_nlt_f64_e64 vcc_lo, 0x40331000, |v[24:25]|
	v_cmp_gt_f64_e64 s2, 0x3e400000, |v[24:25]|
	v_and_b32_e32 v14, 0x7fffffff, v25
	v_cndmask_b32_e64 v27, 0, v27, s3
	v_cndmask_b32_e32 v15, 0x3ff00000, v29, vcc_lo
	v_cndmask_b32_e32 v28, 0, v28, vcc_lo
	s_and_b32 vcc_lo, s1, s0
	s_delay_alu instid0(VALU_DEP_3)
	v_cndmask_b32_e64 v27, 0x3ff00000, v27, s4
	v_cmp_ngt_f64_e64 s0, 0xc0900000, v[16:17]
	v_cndmask_b32_e64 v18, v15, v14, s2
	v_cndmask_b32_e64 v15, 0x3ff00000, v3, s1
	v_cndmask_b32_e32 v14, 0, v38, vcc_lo
	s_and_b32 vcc_lo, s4, s3
	v_cmp_nlt_f64_e64 s1, 0x4090cc00, v[16:17]
	v_bfi_b32 v19, 0x7fffffff, v18, v25
	v_dual_cndmask_b32 v18, v28, v24, s2 :: v_dual_cndmask_b32 v26, 0, v26, vcc_lo
	s_delay_alu instid0(VALU_DEP_1) | instskip(NEXT) | instid1(VALU_DEP_1)
	v_mul_f64_e32 v[24:25], v[14:15], v[18:19]
	v_fmac_f64_e32 v[24:25], v[44:45], v[26:27]
	s_delay_alu instid0(VALU_DEP_1) | instskip(SKIP_1) | instid1(VALU_DEP_2)
	v_mul_f64_e64 v[28:29], |v[24:25]|, s[76:77]
	v_cmp_gt_f64_e64 s2, 0x3e400000, |v[24:25]|
	v_rndne_f64_e32 v[28:29], v[28:29]
	s_delay_alu instid0(VALU_DEP_1) | instskip(SKIP_2) | instid1(VALU_DEP_3)
	v_fma_f64 v[38:39], v[28:29], s[78:79], |v[24:25]|
	v_mul_f64_e32 v[44:45], 0x3d53de6af278e000, v[28:29]
	v_cvt_i32_f64_e32 v3, v[28:29]
	v_add_f64_e32 v[48:49], 0, v[38:39]
	s_delay_alu instid0(VALU_DEP_1) | instskip(SKIP_1) | instid1(VALU_DEP_2)
	v_add_f64_e64 v[50:51], v[48:49], -v[44:45]
	v_add_f64_e64 v[38:39], v[38:39], -v[48:49]
	;; [unrolled: 1-line block ×3, first 2 shown]
	s_delay_alu instid0(VALU_DEP_2) | instskip(NEXT) | instid1(VALU_DEP_2)
	v_add_f64_e32 v[38:39], 0, v[38:39]
	v_add_f64_e64 v[44:45], v[48:49], -v[44:45]
	s_delay_alu instid0(VALU_DEP_1) | instskip(SKIP_1) | instid1(VALU_DEP_2)
	v_add_f64_e32 v[38:39], v[38:39], v[44:45]
	v_mul_f64_e32 v[44:45], 0x3ac9cc01f97b57a0, v[28:29]
	v_add_f64_e32 v[48:49], v[50:51], v[38:39]
	s_delay_alu instid0(VALU_DEP_1) | instskip(SKIP_1) | instid1(VALU_DEP_2)
	v_add_f64_e64 v[52:53], v[48:49], -v[44:45]
	v_add_f64_e64 v[50:51], v[50:51], -v[48:49]
	;; [unrolled: 1-line block ×3, first 2 shown]
	s_delay_alu instid0(VALU_DEP_2) | instskip(NEXT) | instid1(VALU_DEP_2)
	v_add_f64_e32 v[38:39], v[38:39], v[50:51]
	v_add_f64_e64 v[44:45], v[48:49], -v[44:45]
	s_delay_alu instid0(VALU_DEP_1) | instskip(NEXT) | instid1(VALU_DEP_1)
	v_add_f64_e32 v[38:39], v[38:39], v[44:45]
	v_add_f64_e32 v[44:45], v[52:53], v[38:39]
	s_delay_alu instid0(VALU_DEP_1) | instskip(SKIP_1) | instid1(VALU_DEP_2)
	v_add_f64_e64 v[48:49], v[52:53], -v[44:45]
	v_mul_f64_e32 v[50:51], v[44:45], v[44:45]
	v_add_f64_e32 v[38:39], v[38:39], v[48:49]
	s_delay_alu instid0(VALU_DEP_2) | instskip(NEXT) | instid1(VALU_DEP_2)
	v_fma_f64 v[48:49], v[44:45], v[44:45], -v[50:51]
	v_add_f64_e32 v[52:53], v[38:39], v[38:39]
	s_delay_alu instid0(VALU_DEP_1) | instskip(SKIP_1) | instid1(VALU_DEP_1)
	v_fmac_f64_e32 v[48:49], v[44:45], v[52:53]
	v_fmamk_f64 v[52:53], v[44:45], 0x3e5ade156a5dcb37, v[4:5]
	v_fmaak_f64 v[52:53], v[44:45], v[52:53], 0x3ec71dee623fde64
	s_delay_alu instid0(VALU_DEP_1) | instskip(NEXT) | instid1(VALU_DEP_1)
	v_fmaak_f64 v[52:53], v[44:45], v[52:53], 0x3efa01997c89e6b0
	v_fmaak_f64 v[52:53], v[44:45], v[52:53], 0x3f2a01a014761f6e
	s_delay_alu instid0(VALU_DEP_1) | instskip(SKIP_1) | instid1(VALU_DEP_2)
	v_fmaak_f64 v[52:53], v[44:45], v[52:53], 0x3f56c16c1852b7b0
	v_add_f64_e32 v[54:55], v[50:51], v[48:49]
	v_fmaak_f64 v[52:53], v[44:45], v[52:53], 0x3f81111111122322
	s_delay_alu instid0(VALU_DEP_1) | instskip(NEXT) | instid1(VALU_DEP_1)
	v_fmaak_f64 v[52:53], v[44:45], v[52:53], 0x3fa55555555502a1
	v_fmaak_f64 v[52:53], v[44:45], v[52:53], 0x3fc5555555555511
	s_delay_alu instid0(VALU_DEP_1) | instskip(SKIP_1) | instid1(VALU_DEP_2)
	v_fmaak_f64 v[52:53], v[44:45], v[52:53], 0x3fe000000000000b
	v_add_f64_e64 v[50:51], v[54:55], -v[50:51]
	v_mul_f64_e32 v[56:57], v[54:55], v[52:53]
	s_delay_alu instid0(VALU_DEP_2) | instskip(NEXT) | instid1(VALU_DEP_2)
	v_add_f64_e64 v[48:49], v[48:49], -v[50:51]
	v_fma_f64 v[50:51], v[54:55], v[52:53], -v[56:57]
	s_delay_alu instid0(VALU_DEP_1) | instskip(NEXT) | instid1(VALU_DEP_1)
	v_fmac_f64_e32 v[50:51], v[48:49], v[52:53]
	v_add_f64_e32 v[48:49], v[56:57], v[50:51]
	s_delay_alu instid0(VALU_DEP_1) | instskip(SKIP_1) | instid1(VALU_DEP_2)
	v_add_f64_e32 v[52:53], v[44:45], v[48:49]
	v_add_f64_e64 v[54:55], v[48:49], -v[56:57]
	v_add_f64_e64 v[44:45], v[52:53], -v[44:45]
	s_delay_alu instid0(VALU_DEP_2) | instskip(NEXT) | instid1(VALU_DEP_2)
	v_add_f64_e64 v[50:51], v[50:51], -v[54:55]
	v_add_f64_e64 v[44:45], v[48:49], -v[44:45]
	s_delay_alu instid0(VALU_DEP_2) | instskip(NEXT) | instid1(VALU_DEP_1)
	v_add_f64_e32 v[38:39], v[38:39], v[50:51]
	v_add_f64_e32 v[38:39], v[38:39], v[44:45]
	s_delay_alu instid0(VALU_DEP_1) | instskip(NEXT) | instid1(VALU_DEP_1)
	v_add_f64_e32 v[44:45], v[52:53], v[38:39]
	v_add_f64_e32 v[48:49], 1.0, v[44:45]
	v_add_f64_e64 v[50:51], v[44:45], -v[52:53]
	s_delay_alu instid0(VALU_DEP_2) | instskip(NEXT) | instid1(VALU_DEP_2)
	v_add_f64_e32 v[52:53], -1.0, v[48:49]
	v_add_f64_e64 v[38:39], v[38:39], -v[50:51]
	s_delay_alu instid0(VALU_DEP_2) | instskip(NEXT) | instid1(VALU_DEP_1)
	v_add_f64_e64 v[44:45], v[44:45], -v[52:53]
	v_add_f64_e32 v[38:39], v[38:39], v[44:45]
	s_delay_alu instid0(VALU_DEP_1) | instskip(NEXT) | instid1(VALU_DEP_1)
	v_add_f64_e32 v[28:29], v[48:49], v[38:39]
	v_ldexp_f64 v[44:45], v[28:29], v3
	v_add_f64_e64 v[28:29], v[28:29], -v[48:49]
	s_delay_alu instid0(VALU_DEP_2) | instskip(NEXT) | instid1(VALU_DEP_1)
	v_rcp_f64_e32 v[50:51], v[44:45]
	v_add_f64_e64 v[28:29], v[38:39], -v[28:29]
	s_delay_alu instid0(VALU_DEP_1) | instskip(NEXT) | instid1(TRANS32_DEP_1)
	v_ldexp_f64 v[28:29], v[28:29], v3
	v_fma_f64 v[52:53], -v[44:45], v[50:51], 1.0
	s_delay_alu instid0(VALU_DEP_1) | instskip(NEXT) | instid1(VALU_DEP_1)
	v_fmac_f64_e32 v[50:51], v[52:53], v[50:51]
	v_fma_f64 v[52:53], -v[44:45], v[50:51], 1.0
	s_delay_alu instid0(VALU_DEP_1) | instskip(NEXT) | instid1(VALU_DEP_1)
	v_fmac_f64_e32 v[50:51], v[52:53], v[50:51]
	v_mul_f64_e32 v[38:39], v[44:45], v[50:51]
	s_delay_alu instid0(VALU_DEP_1) | instskip(NEXT) | instid1(VALU_DEP_1)
	v_fma_f64 v[48:49], v[50:51], v[44:45], -v[38:39]
	v_fmac_f64_e32 v[48:49], v[50:51], v[28:29]
	s_delay_alu instid0(VALU_DEP_1) | instskip(NEXT) | instid1(VALU_DEP_1)
	v_add_f64_e32 v[52:53], v[38:39], v[48:49]
	v_add_f64_e64 v[54:55], -v[52:53], 1.0
	v_add_f64_e64 v[38:39], v[52:53], -v[38:39]
	s_delay_alu instid0(VALU_DEP_2) | instskip(NEXT) | instid1(VALU_DEP_2)
	v_add_f64_e64 v[56:57], -v[54:55], 1.0
	v_add_f64_e64 v[38:39], v[38:39], -v[48:49]
	s_delay_alu instid0(VALU_DEP_2) | instskip(NEXT) | instid1(VALU_DEP_1)
	v_add_f64_e64 v[48:49], v[56:57], -v[52:53]
	v_add_f64_e32 v[38:39], v[38:39], v[48:49]
	s_delay_alu instid0(VALU_DEP_1) | instskip(NEXT) | instid1(VALU_DEP_1)
	v_add_f64_e32 v[48:49], v[54:55], v[38:39]
	v_mul_f64_e32 v[52:53], v[50:51], v[48:49]
	v_add_f64_e64 v[54:55], v[54:55], -v[48:49]
	s_delay_alu instid0(VALU_DEP_2) | instskip(NEXT) | instid1(VALU_DEP_2)
	v_mul_f64_e32 v[56:57], v[44:45], v[52:53]
	v_add_f64_e32 v[38:39], v[38:39], v[54:55]
	s_delay_alu instid0(VALU_DEP_2) | instskip(NEXT) | instid1(VALU_DEP_1)
	v_fma_f64 v[58:59], v[52:53], v[44:45], -v[56:57]
	v_fmac_f64_e32 v[58:59], v[52:53], v[28:29]
	s_delay_alu instid0(VALU_DEP_1) | instskip(NEXT) | instid1(VALU_DEP_1)
	v_add_f64_e32 v[60:61], v[56:57], v[58:59]
	v_add_f64_e64 v[62:63], v[48:49], -v[60:61]
	v_add_f64_e64 v[54:55], v[60:61], -v[56:57]
	s_delay_alu instid0(VALU_DEP_2) | instskip(NEXT) | instid1(VALU_DEP_2)
	v_add_f64_e64 v[48:49], v[48:49], -v[62:63]
	v_add_f64_e64 v[54:55], v[54:55], -v[58:59]
	s_delay_alu instid0(VALU_DEP_2) | instskip(NEXT) | instid1(VALU_DEP_1)
	v_add_f64_e64 v[48:49], v[48:49], -v[60:61]
	v_add_f64_e32 v[38:39], v[38:39], v[48:49]
	v_add_f64_e32 v[48:49], v[50:51], v[52:53]
	s_delay_alu instid0(VALU_DEP_2) | instskip(NEXT) | instid1(VALU_DEP_2)
	v_add_f64_e32 v[38:39], v[54:55], v[38:39]
	v_add_f64_e64 v[54:55], v[48:49], -v[50:51]
	s_delay_alu instid0(VALU_DEP_2) | instskip(NEXT) | instid1(VALU_DEP_2)
	v_add_f64_e32 v[38:39], v[62:63], v[38:39]
	v_add_f64_e64 v[52:53], v[52:53], -v[54:55]
	s_delay_alu instid0(VALU_DEP_2) | instskip(NEXT) | instid1(VALU_DEP_1)
	v_mul_f64_e32 v[38:39], v[50:51], v[38:39]
	v_add_f64_e32 v[38:39], v[52:53], v[38:39]
	s_delay_alu instid0(VALU_DEP_1) | instskip(NEXT) | instid1(VALU_DEP_1)
	v_add_f64_e32 v[50:51], v[48:49], v[38:39]
	v_add_f64_e32 v[32:33], v[44:45], v[50:51]
	v_add_f64_e64 v[48:49], v[50:51], -v[48:49]
	v_add_f64_e64 v[52:53], v[44:45], -v[50:51]
	s_delay_alu instid0(VALU_DEP_3) | instskip(NEXT) | instid1(VALU_DEP_3)
	v_add_f64_e64 v[22:23], v[32:33], -v[44:45]
	v_add_f64_e64 v[38:39], v[38:39], -v[48:49]
	v_mul_f64_e32 v[48:49], 0xbff71547652b82fe, v[16:17]
	s_delay_alu instid0(VALU_DEP_4) | instskip(NEXT) | instid1(VALU_DEP_4)
	v_add_f64_e64 v[44:45], v[44:45], -v[52:53]
	v_add_f64_e64 v[20:21], v[50:51], -v[22:23]
	s_delay_alu instid0(VALU_DEP_4) | instskip(NEXT) | instid1(VALU_DEP_3)
	v_add_f64_e32 v[22:23], v[28:29], v[38:39]
	v_add_f64_e64 v[44:45], v[44:45], -v[50:51]
	s_delay_alu instid0(VALU_DEP_2) | instskip(SKIP_1) | instid1(VALU_DEP_3)
	v_add_f64_e32 v[20:21], v[22:23], v[20:21]
	v_rndne_f64_e32 v[22:23], v[48:49]
	v_add_f64_e32 v[28:29], v[28:29], v[44:45]
	s_delay_alu instid0(VALU_DEP_3) | instskip(NEXT) | instid1(VALU_DEP_3)
	v_add_f64_e32 v[48:49], v[32:33], v[20:21]
	v_fma_f64 v[54:55], v[22:23], s[74:75], -v[16:17]
	s_delay_alu instid0(VALU_DEP_3) | instskip(SKIP_3) | instid1(VALU_DEP_4)
	v_add_f64_e64 v[28:29], v[28:29], -v[38:39]
	v_cvt_i32_f64_e32 v3, v[22:23]
	v_mul_u64_e32 v[16:17], s[28:29], v[46:47]
	v_rcp_f64_e32 v[56:57], v[48:49]
	v_fmac_f64_e32 v[54:55], 0xbc7abc9e3b39803f, v[22:23]
	v_add_f64_e64 v[32:33], v[48:49], -v[32:33]
	s_delay_alu instid0(VALU_DEP_3) | instskip(NEXT) | instid1(VALU_DEP_3)
	v_lshl_add_u64 v[16:17], v[16:17], 3, s[60:61]
	v_fmamk_f64 v[58:59], v[54:55], 0x3e5ade156a5dcb37, v[4:5]
	s_delay_alu instid0(VALU_DEP_3) | instskip(NEXT) | instid1(TRANS32_DEP_1)
	v_add_f64_e64 v[20:21], v[20:21], -v[32:33]
	v_fma_f64 v[50:51], -v[48:49], v[56:57], 1.0
	s_delay_alu instid0(VALU_DEP_3) | instskip(NEXT) | instid1(VALU_DEP_1)
	v_fmaak_f64 v[58:59], v[54:55], v[58:59], 0x3ec71dee623fde64
	v_fmaak_f64 v[44:45], v[54:55], v[58:59], 0x3efa01997c89e6b0
	s_delay_alu instid0(VALU_DEP_1) | instskip(NEXT) | instid1(VALU_DEP_1)
	v_fmaak_f64 v[44:45], v[54:55], v[44:45], 0x3f2a01a014761f6e
	v_fmaak_f64 v[44:45], v[54:55], v[44:45], 0x3f56c16c1852b7b0
	s_delay_alu instid0(VALU_DEP_1) | instskip(SKIP_2) | instid1(VALU_DEP_3)
	v_fmaak_f64 v[44:45], v[54:55], v[44:45], 0x3f81111111122322
	v_fmac_f64_e32 v[56:57], v[50:51], v[56:57]
	v_add_f64_e32 v[50:51], v[52:53], v[28:29]
	v_fmaak_f64 v[44:45], v[54:55], v[44:45], 0x3fa55555555502a1
	s_delay_alu instid0(VALU_DEP_1) | instskip(NEXT) | instid1(VALU_DEP_1)
	v_fmaak_f64 v[44:45], v[54:55], v[44:45], 0x3fc5555555555511
	v_fmaak_f64 v[44:45], v[54:55], v[44:45], 0x3fe000000000000b
	s_delay_alu instid0(VALU_DEP_1) | instskip(SKIP_1) | instid1(VALU_DEP_2)
	v_fma_f64 v[44:45], v[54:55], v[44:45], 1.0
	v_fma_f64 v[38:39], -v[48:49], v[56:57], 1.0
	v_fma_f64 v[22:23], v[54:55], v[44:45], 1.0
	s_delay_alu instid0(VALU_DEP_2) | instskip(NEXT) | instid1(VALU_DEP_2)
	v_fmac_f64_e32 v[56:57], v[38:39], v[56:57]
	v_ldexp_f64 v[22:23], v[22:23], v3
	s_delay_alu instid0(VALU_DEP_2) | instskip(NEXT) | instid1(VALU_DEP_2)
	v_mul_f64_e32 v[38:39], v[50:51], v[56:57]
	v_add_f64_e32 v[22:23], 1.0, v[22:23]
	s_delay_alu instid0(VALU_DEP_2) | instskip(NEXT) | instid1(VALU_DEP_1)
	v_mul_f64_e32 v[44:45], v[48:49], v[38:39]
	v_fma_f64 v[32:33], v[38:39], v[48:49], -v[44:45]
	s_delay_alu instid0(VALU_DEP_3) | instskip(NEXT) | instid1(VALU_DEP_2)
	v_div_scale_f64 v[48:49], null, v[22:23], v[22:23], 1.0
	v_fmac_f64_e32 v[32:33], v[38:39], v[20:21]
	s_delay_alu instid0(VALU_DEP_2) | instskip(NEXT) | instid1(VALU_DEP_1)
	v_rcp_f64_e32 v[20:21], v[48:49]
	v_add_f64_e32 v[54:55], v[44:45], v[32:33]
	s_delay_alu instid0(TRANS32_DEP_1) | instskip(NEXT) | instid1(VALU_DEP_2)
	v_fma_f64 v[58:59], -v[48:49], v[20:21], 1.0
	v_add_f64_e64 v[60:61], v[50:51], -v[54:55]
	v_add_f64_e64 v[44:45], v[54:55], -v[44:45]
	s_delay_alu instid0(VALU_DEP_3) | instskip(NEXT) | instid1(VALU_DEP_3)
	v_fmac_f64_e32 v[20:21], v[20:21], v[58:59]
	v_add_f64_e64 v[58:59], v[50:51], -v[60:61]
	v_add_f64_e64 v[50:51], v[50:51], -v[52:53]
	s_delay_alu instid0(VALU_DEP_4)
	v_add_f64_e64 v[32:33], v[32:33], -v[44:45]
	v_div_scale_f64 v[52:53], vcc_lo, 1.0, v[22:23], 1.0
	v_fma_f64 v[62:63], -v[48:49], v[20:21], 1.0
	v_add_f64_e64 v[44:45], v[58:59], -v[54:55]
	v_add_f64_e64 v[28:29], v[28:29], -v[50:51]
	v_mul_u64_e32 v[50:51], s[66:67], v[30:31]
	v_and_b32_e32 v54, 0x7fffffff, v25
	v_mul_u64_e32 v[30:31], s[36:37], v[30:31]
	v_fmac_f64_e32 v[20:21], v[20:21], v[62:63]
	v_add_f64_e64 v[32:33], v[44:45], -v[32:33]
	v_sub_nc_u64_e32 v[6:7], v[6:7], v[50:51]
	s_delay_alu instid0(VALU_DEP_4) | instskip(NEXT) | instid1(VALU_DEP_4)
	v_lshl_add_u64 v[30:31], v[30:31], 3, s[64:65]
	v_mul_f64_e32 v[44:45], v[52:53], v[20:21]
	s_delay_alu instid0(VALU_DEP_3) | instskip(NEXT) | instid1(VALU_DEP_1)
	v_add_nc_u64_e32 v[6:7], v[0:1], v[6:7]
	v_mul_u64_e32 v[6:7], s[38:39], v[6:7]
	v_add_f64_e32 v[28:29], v[28:29], v[32:33]
	s_delay_alu instid0(VALU_DEP_4)
	v_fma_f64 v[32:33], -v[48:49], v[44:45], v[52:53]
	v_mul_u64_e32 v[48:49], s[66:67], v[34:35]
	v_mul_u64_e32 v[52:53], s[24:25], v[42:43]
	;; [unrolled: 1-line block ×3, first 2 shown]
	v_lshl_add_u64 v[6:7], v[6:7], 3, v[30:31]
	v_add_f64_e32 v[28:29], v[60:61], v[28:29]
	v_div_fmas_f64 v[20:21], v[32:33], v[20:21], v[44:45]
	v_mul_u64_e32 v[44:45], s[66:67], v[36:37]
	v_cmp_nlt_f64_e64 vcc_lo, 0x40331000, |v[24:25]|
	v_mad_nc_u64_u32 v[32:33], s86, v46, v[0:1]
	v_sub_nc_u64_e32 v[8:9], v[8:9], v[48:49]
	v_mul_u64_e32 v[36:37], s[36:37], v[36:37]
	v_lshl_add_u64 v[34:35], v[34:35], 3, s[64:65]
	s_delay_alu instid0(VALU_DEP_3) | instskip(SKIP_1) | instid1(VALU_DEP_2)
	v_add_nc_u64_e32 v[8:9], v[0:1], v[8:9]
	v_mad_u32 v3, s87, v46, v33
	v_mul_u64_e32 v[8:9], s[38:39], v[8:9]
	v_mul_f64_e32 v[28:29], v[56:57], v[28:29]
	s_delay_alu instid0(VALU_DEP_3) | instskip(SKIP_2) | instid1(VALU_DEP_3)
	v_mad_u32 v33, s86, v47, v3
	v_div_fixup_f64 v[20:21], v[20:21], v[22:23], 1.0
	v_sub_nc_u64_e32 v[10:11], v[10:11], v[44:45]
	v_mul_u64_e32 v[32:33], s[30:31], v[32:33]
	v_lshl_add_u64 v[36:37], v[36:37], 3, s[64:65]
	s_delay_alu instid0(VALU_DEP_3) | instskip(NEXT) | instid1(VALU_DEP_1)
	v_add_nc_u64_e32 v[10:11], v[0:1], v[10:11]
	v_mul_u64_e32 v[10:11], s[38:39], v[10:11]
	v_lshl_add_u64 v[8:9], v[8:9], 3, v[34:35]
	v_add_f64_e32 v[22:23], v[38:39], v[28:29]
	v_mul_u64_e32 v[28:29], s[66:67], v[40:41]
	v_mad_nc_u64_u32 v[38:39], s84, v42, v[0:1]
	v_cndmask_b32_e64 v21, 0, v21, s0
	s_delay_alu instid0(VALU_DEP_1) | instskip(NEXT) | instid1(VALU_DEP_3)
	v_cndmask_b32_e64 v21, 0x3ff00000, v21, s1
	v_mad_u32 v39, s85, v42, v39
	v_lshl_add_u64 v[16:17], v[32:33], 3, v[16:17]
	v_lshl_add_u64 v[10:11], v[10:11], 3, v[36:37]
	s_delay_alu instid0(VALU_DEP_3)
	v_mad_u32 v39, s84, v43, v39
	v_cndmask_b32_e32 v23, 0x3ff00000, v23, vcc_lo
	v_sub_nc_u64_e32 v[12:13], v[12:13], v[28:29]
	v_cndmask_b32_e32 v22, 0, v22, vcc_lo
	s_and_b32 vcc_lo, s1, s0
	v_mul_u64_e32 v[28:29], s[36:37], v[40:41]
	v_cndmask_b32_e64 v3, v23, v54, s2
	v_mul_u64_e32 v[38:39], s[26:27], v[38:39]
	v_cndmask_b32_e32 v20, 0, v20, vcc_lo
	v_add_nc_u64_e32 v[12:13], v[0:1], v[12:13]
	v_cndmask_b32_e64 v22, v22, v24, s2
	v_bfi_b32 v23, 0x7fffffff, v3, v25
	v_add_nc_u64_e32 v[0:1], s[68:69], v[0:1]
	v_lshl_add_u64 v[40:41], v[52:53], 3, s[56:57]
	v_mul_u64_e32 v[12:13], s[38:39], v[12:13]
	s_delay_alu instid0(VALU_DEP_4) | instskip(NEXT) | instid1(VALU_DEP_4)
	v_mul_f64_e32 v[22:23], v[20:21], v[22:23]
	v_cmp_le_i64_e32 vcc_lo, s[10:11], v[0:1]
	s_or_b32 s90, vcc_lo, s90
	v_lshl_add_u64 v[28:29], v[28:29], 3, s[64:65]
	v_lshl_add_u64 v[32:33], v[38:39], 3, v[40:41]
	s_delay_alu instid0(VALU_DEP_2)
	v_lshl_add_u64 v[12:13], v[12:13], 3, v[28:29]
	global_store_b64 v[32:33], v[22:23], off
	global_store_b64 v[16:17], v[24:25], off
	s_clause 0x3
	global_store_b64 v[6:7], v[14:15], off
	global_store_b64 v[8:9], v[26:27], off
	;; [unrolled: 1-line block ×4, first 2 shown]
	s_wait_xcnt 0x0
	s_and_not1_b32 exec_lo, exec_lo, s90
	s_cbranch_execz .LBB3_70
.LBB3_5:                                ; =>This Inner Loop Header: Depth=1
	v_dual_ashrrev_i32 v16, 31, v1 :: v_dual_bitop2_b32 v3, s9, v1 bitop3:0x54
                                        ; implicit-def: $vgpr20_vgpr21
	s_mov_b32 s0, exec_lo
	s_delay_alu instid0(VALU_DEP_1)
	v_cmpx_ne_u64_e32 0, v[2:3]
	s_xor_b32 s1, exec_lo, s0
	s_cbranch_execz .LBB3_7
; %bb.6:                                ;   in Loop: Header=BB3_5 Depth=1
	s_ashr_i32 s2, s9, 31
	v_dual_mov_b32 v17, v16 :: v_dual_mov_b32 v9, v2
	s_mov_b32 s3, s2
	v_mov_b32_e32 v19, v2
	s_add_nc_u64 s[88:89], s[8:9], s[2:3]
	s_delay_alu instid0(VALU_DEP_2)
	v_add_nc_u64_e32 v[6:7], v[0:1], v[16:17]
	s_xor_b64 s[88:89], s[88:89], s[2:3]
	v_mov_b32_e32 v13, v2
	s_cvt_f32_u32 s0, s88
	s_cvt_f32_u32 s3, s89
	s_sub_nc_u64 s[94:95], 0, s[88:89]
	s_delay_alu instid0(VALU_DEP_2) | instskip(NEXT) | instid1(SALU_CYCLE_1)
	v_xor_b32_e32 v12, v7, v16
	s_fmamk_f32 s0, s3, 0x4f800000, s0
	v_xor_b32_e32 v8, v6, v16
	s_delay_alu instid0(SALU_CYCLE_2) | instskip(NEXT) | instid1(TRANS32_DEP_1)
	v_s_rcp_f32 s0, s0
	s_mul_f32 s0, s0, 0x5f7ffffc
	s_delay_alu instid0(SALU_CYCLE_3) | instskip(NEXT) | instid1(SALU_CYCLE_3)
	s_mul_f32 s3, s0, 0x2f800000
	s_trunc_f32 s3, s3
	s_delay_alu instid0(SALU_CYCLE_3) | instskip(SKIP_1) | instid1(SALU_CYCLE_2)
	s_fmamk_f32 s0, s3, 0xcf800000, s0
	s_cvt_u32_f32 s93, s3
	s_cvt_u32_f32 s92, s0
	s_delay_alu instid0(SALU_CYCLE_3) | instskip(NEXT) | instid1(SALU_CYCLE_1)
	s_mul_u64 s[96:97], s[94:95], s[92:93]
	s_mul_hi_u32 s99, s92, s97
	s_mul_i32 s98, s92, s97
	s_mul_hi_u32 s4, s92, s96
	s_mul_i32 s3, s93, s96
	s_add_nc_u64 s[98:99], s[4:5], s[98:99]
	s_mul_hi_u32 s0, s93, s96
	s_mul_hi_u32 s91, s93, s97
	s_add_co_u32 s3, s98, s3
	s_add_co_ci_u32 s4, s99, s0
	s_mul_i32 s96, s93, s97
	s_add_co_ci_u32 s97, s91, 0
	s_delay_alu instid0(SALU_CYCLE_1) | instskip(NEXT) | instid1(SALU_CYCLE_1)
	s_add_nc_u64 s[96:97], s[4:5], s[96:97]
	s_add_co_u32 s92, s92, s96
	s_cselect_b32 s0, -1, 0
	s_delay_alu instid0(SALU_CYCLE_1) | instskip(SKIP_1) | instid1(SALU_CYCLE_1)
	s_cmp_lg_u32 s0, 0
	s_add_co_ci_u32 s93, s93, s97
	s_mul_u64 s[94:95], s[94:95], s[92:93]
	s_delay_alu instid0(SALU_CYCLE_1)
	s_mul_hi_u32 s97, s92, s95
	s_mul_i32 s96, s92, s95
	s_mul_hi_u32 s4, s92, s94
	s_mul_i32 s3, s93, s94
	s_add_nc_u64 s[96:97], s[4:5], s[96:97]
	s_mul_hi_u32 s0, s93, s94
	s_mul_hi_u32 s91, s93, s95
	s_add_co_u32 s3, s96, s3
	s_add_co_ci_u32 s4, s97, s0
	s_mul_i32 s94, s93, s95
	s_add_co_ci_u32 s95, s91, 0
	s_delay_alu instid0(SALU_CYCLE_1) | instskip(NEXT) | instid1(SALU_CYCLE_1)
	s_add_nc_u64 s[94:95], s[4:5], s[94:95]
	s_add_co_u32 s0, s92, s94
	s_cselect_b32 s3, -1, 0
	v_nop
	v_mul_hi_u32 v18, v8, s0
	s_cmp_lg_u32 s3, 0
	s_add_co_ci_u32 s4, s93, s95
	s_and_b64 s[92:93], s[0:1], s[72:73]
	v_mul_u64_e32 v[10:11], s[4:5], v[8:9]
	v_mul_u64_e32 v[6:7], s[92:93], v[12:13]
	;; [unrolled: 1-line block ×3, first 2 shown]
	s_delay_alu instid0(VALU_DEP_3) | instskip(NEXT) | instid1(VALU_DEP_1)
	v_add_nc_u64_e32 v[10:11], v[18:19], v[10:11]
	v_add_co_u32 v3, vcc_lo, v10, v6
	s_delay_alu instid0(VALU_DEP_2) | instskip(NEXT) | instid1(VALU_DEP_4)
	v_add_co_ci_u32_e32 v18, vcc_lo, v11, v7, vcc_lo
	v_add_co_ci_u32_e32 v15, vcc_lo, 0, v15, vcc_lo
	s_delay_alu instid0(VALU_DEP_1) | instskip(NEXT) | instid1(VALU_DEP_1)
	v_add_nc_u64_e32 v[6:7], v[18:19], v[14:15]
	v_mul_u64_e32 v[10:11], s[88:89], v[6:7]
	s_delay_alu instid0(VALU_DEP_1) | instskip(NEXT) | instid1(VALU_DEP_2)
	v_sub_nc_u32_e32 v3, v12, v11
	v_sub_co_u32 v8, vcc_lo, v8, v10
	s_delay_alu instid0(VALU_DEP_1) | instskip(NEXT) | instid1(VALU_DEP_3)
	v_sub_co_ci_u32_e64 v12, null, v12, v11, vcc_lo
	v_subrev_co_ci_u32_e64 v3, null, s89, v3, vcc_lo
	s_delay_alu instid0(VALU_DEP_3) | instskip(NEXT) | instid1(VALU_DEP_1)
	v_sub_co_u32 v9, s0, v8, s88
	v_subrev_co_ci_u32_e64 v3, null, 0, v3, s0
	s_delay_alu instid0(VALU_DEP_2) | instskip(SKIP_1) | instid1(VALU_DEP_3)
	v_cmp_le_u32_e32 vcc_lo, s88, v9
	v_cndmask_b32_e64 v9, 0, -1, vcc_lo
	v_cmp_le_u32_e32 vcc_lo, s89, v3
	v_cndmask_b32_e64 v10, 0, -1, vcc_lo
	;; [unrolled: 2-line block ×4, first 2 shown]
	v_cmp_eq_u32_e32 vcc_lo, s89, v3
	v_cndmask_b32_e32 v3, v10, v9, vcc_lo
	v_cmp_eq_u32_e32 vcc_lo, s89, v12
	v_add_nc_u64_e32 v[8:9], 2, v[6:7]
	v_add_nc_u64_e32 v[10:11], 1, v[6:7]
	v_cndmask_b32_e32 v12, v14, v13, vcc_lo
	v_cmp_ne_u32_e32 vcc_lo, 0, v3
	s_delay_alu instid0(VALU_DEP_3) | instskip(SKIP_1) | instid1(VALU_DEP_4)
	v_dual_cndmask_b32 v3, v11, v9, vcc_lo :: v_dual_cndmask_b32 v9, v10, v8, vcc_lo
	v_xor_b32_e32 v8, s2, v16
	v_cmp_ne_u32_e64 s0, 0, v12
	s_delay_alu instid0(VALU_DEP_1) | instskip(NEXT) | instid1(VALU_DEP_1)
	v_dual_cndmask_b32 v3, v7, v3, s0 :: v_dual_cndmask_b32 v6, v6, v9, s0
	v_dual_mov_b32 v9, v8 :: v_dual_bitop2_b32 v7, v3, v8 bitop3:0x14
	s_delay_alu instid0(VALU_DEP_2) | instskip(NEXT) | instid1(VALU_DEP_1)
	v_xor_b32_e32 v6, v6, v8
	v_sub_nc_u64_e32 v[20:21], v[6:7], v[8:9]
.LBB3_7:                                ;   in Loop: Header=BB3_5 Depth=1
	s_and_not1_saveexec_b32 s0, s1
	s_cbranch_execz .LBB3_9
; %bb.8:                                ;   in Loop: Header=BB3_5 Depth=1
	v_cvt_f32_u32_e32 v3, s8
	s_sub_co_i32 s1, 0, s8
	v_mov_b32_e32 v21, v2
	s_delay_alu instid0(VALU_DEP_2) | instskip(SKIP_1) | instid1(TRANS32_DEP_1)
	v_rcp_iflag_f32_e32 v3, v3
	v_nop
	v_mul_f32_e32 v3, 0x4f7ffffe, v3
	s_delay_alu instid0(VALU_DEP_1) | instskip(NEXT) | instid1(VALU_DEP_1)
	v_cvt_u32_f32_e32 v3, v3
	v_mul_lo_u32 v6, s1, v3
	s_delay_alu instid0(VALU_DEP_1) | instskip(NEXT) | instid1(VALU_DEP_1)
	v_mul_hi_u32 v6, v3, v6
	v_add_nc_u32_e32 v3, v3, v6
	s_delay_alu instid0(VALU_DEP_1) | instskip(NEXT) | instid1(VALU_DEP_1)
	v_mul_hi_u32 v3, v0, v3
	v_mul_lo_u32 v6, v3, s8
	s_delay_alu instid0(VALU_DEP_1) | instskip(NEXT) | instid1(VALU_DEP_1)
	v_dual_add_nc_u32 v7, 1, v3 :: v_dual_sub_nc_u32 v6, v0, v6
	v_subrev_nc_u32_e32 v8, s8, v6
	v_cmp_le_u32_e32 vcc_lo, s8, v6
	s_delay_alu instid0(VALU_DEP_2) | instskip(NEXT) | instid1(VALU_DEP_1)
	v_dual_cndmask_b32 v6, v6, v8 :: v_dual_cndmask_b32 v3, v3, v7
	v_cmp_le_u32_e32 vcc_lo, s8, v6
	s_delay_alu instid0(VALU_DEP_2) | instskip(NEXT) | instid1(VALU_DEP_1)
	v_add_nc_u32_e32 v7, 1, v3
	v_cndmask_b32_e32 v20, v3, v7, vcc_lo
.LBB3_9:                                ;   in Loop: Header=BB3_5 Depth=1
	s_or_b32 exec_lo, exec_lo, s0
	s_delay_alu instid0(VALU_DEP_1) | instskip(SKIP_1) | instid1(VALU_DEP_1)
	v_mul_u64_e32 v[6:7], s[70:71], v[20:21]
                                        ; implicit-def: $vgpr8_vgpr9
	s_mov_b32 s0, exec_lo
	v_add_nc_u64_e32 v[44:45], v[0:1], v[6:7]
	s_delay_alu instid0(VALU_DEP_1) | instskip(NEXT) | instid1(VALU_DEP_1)
	v_dual_ashrrev_i32 v34, 31, v45 :: v_dual_bitop2_b32 v3, s41, v45 bitop3:0x54
	v_cmpx_ne_u64_e32 0, v[2:3]
	s_xor_b32 s1, exec_lo, s0
	s_cbranch_execz .LBB3_11
; %bb.10:                               ;   in Loop: Header=BB3_5 Depth=1
	s_ashr_i32 s2, s41, 31
	v_dual_mov_b32 v35, v34 :: v_dual_mov_b32 v11, v2
	s_mov_b32 s3, s2
	v_mov_b32_e32 v15, v2
	s_add_nc_u64 s[88:89], s[40:41], s[2:3]
	s_delay_alu instid0(VALU_DEP_2)
	v_add_nc_u64_e32 v[8:9], v[44:45], v[34:35]
	s_xor_b64 s[88:89], s[88:89], s[2:3]
	v_mov_b32_e32 v23, v2
	s_cvt_f32_u32 s0, s88
	s_cvt_f32_u32 s3, s89
	s_sub_nc_u64 s[94:95], 0, s[88:89]
	s_delay_alu instid0(VALU_DEP_2) | instskip(NEXT) | instid1(SALU_CYCLE_1)
	v_xor_b32_e32 v10, v8, v34
	s_fmamk_f32 s0, s3, 0x4f800000, s0
	v_xor_b32_e32 v14, v9, v34
	s_delay_alu instid0(SALU_CYCLE_2) | instskip(NEXT) | instid1(TRANS32_DEP_1)
	v_s_rcp_f32 s0, s0
	s_mul_f32 s0, s0, 0x5f7ffffc
	s_delay_alu instid0(SALU_CYCLE_3) | instskip(NEXT) | instid1(SALU_CYCLE_3)
	s_mul_f32 s3, s0, 0x2f800000
	s_trunc_f32 s3, s3
	s_delay_alu instid0(SALU_CYCLE_3) | instskip(SKIP_1) | instid1(SALU_CYCLE_2)
	s_fmamk_f32 s0, s3, 0xcf800000, s0
	s_cvt_u32_f32 s93, s3
	s_cvt_u32_f32 s92, s0
	s_delay_alu instid0(SALU_CYCLE_3) | instskip(NEXT) | instid1(SALU_CYCLE_1)
	s_mul_u64 s[96:97], s[94:95], s[92:93]
	s_mul_hi_u32 s99, s92, s97
	s_mul_i32 s98, s92, s97
	s_mul_hi_u32 s4, s92, s96
	s_mul_i32 s3, s93, s96
	s_add_nc_u64 s[98:99], s[4:5], s[98:99]
	s_mul_hi_u32 s0, s93, s96
	s_mul_hi_u32 s91, s93, s97
	s_add_co_u32 s3, s98, s3
	s_add_co_ci_u32 s4, s99, s0
	s_mul_i32 s96, s93, s97
	s_add_co_ci_u32 s97, s91, 0
	s_delay_alu instid0(SALU_CYCLE_1) | instskip(NEXT) | instid1(SALU_CYCLE_1)
	s_add_nc_u64 s[96:97], s[4:5], s[96:97]
	s_add_co_u32 s92, s92, s96
	s_cselect_b32 s0, -1, 0
	s_delay_alu instid0(SALU_CYCLE_1) | instskip(SKIP_1) | instid1(SALU_CYCLE_1)
	s_cmp_lg_u32 s0, 0
	s_add_co_ci_u32 s93, s93, s97
	s_mul_u64 s[94:95], s[94:95], s[92:93]
	s_delay_alu instid0(SALU_CYCLE_1)
	s_mul_hi_u32 s97, s92, s95
	s_mul_i32 s96, s92, s95
	s_mul_hi_u32 s4, s92, s94
	s_mul_i32 s3, s93, s94
	s_add_nc_u64 s[96:97], s[4:5], s[96:97]
	s_mul_hi_u32 s0, s93, s94
	s_mul_hi_u32 s91, s93, s95
	s_add_co_u32 s3, s96, s3
	s_add_co_ci_u32 s4, s97, s0
	s_mul_i32 s94, s93, s95
	s_add_co_ci_u32 s95, s91, 0
	s_delay_alu instid0(SALU_CYCLE_1) | instskip(NEXT) | instid1(SALU_CYCLE_1)
	s_add_nc_u64 s[94:95], s[4:5], s[94:95]
	s_add_co_u32 s0, s92, s94
	s_cselect_b32 s3, -1, 0
	v_nop
	v_mul_hi_u32 v22, v10, s0
	s_cmp_lg_u32 s3, 0
	s_add_co_ci_u32 s4, s93, s95
	s_and_b64 s[92:93], s[0:1], s[72:73]
	v_mul_u64_e32 v[12:13], s[4:5], v[10:11]
	v_mul_u64_e32 v[8:9], s[92:93], v[14:15]
	;; [unrolled: 1-line block ×3, first 2 shown]
	s_delay_alu instid0(VALU_DEP_3) | instskip(NEXT) | instid1(VALU_DEP_1)
	v_add_nc_u64_e32 v[12:13], v[22:23], v[12:13]
	v_add_co_u32 v3, vcc_lo, v12, v8
	s_delay_alu instid0(VALU_DEP_2) | instskip(NEXT) | instid1(VALU_DEP_4)
	v_add_co_ci_u32_e32 v22, vcc_lo, v13, v9, vcc_lo
	v_add_co_ci_u32_e32 v19, vcc_lo, 0, v19, vcc_lo
	s_delay_alu instid0(VALU_DEP_1) | instskip(NEXT) | instid1(VALU_DEP_1)
	v_add_nc_u64_e32 v[8:9], v[22:23], v[18:19]
	v_mul_u64_e32 v[12:13], s[88:89], v[8:9]
	s_delay_alu instid0(VALU_DEP_1) | instskip(NEXT) | instid1(VALU_DEP_2)
	v_sub_nc_u32_e32 v3, v14, v13
	v_sub_co_u32 v10, vcc_lo, v10, v12
	s_delay_alu instid0(VALU_DEP_1) | instskip(NEXT) | instid1(VALU_DEP_3)
	v_sub_co_ci_u32_e64 v14, null, v14, v13, vcc_lo
	v_subrev_co_ci_u32_e64 v3, null, s89, v3, vcc_lo
	s_delay_alu instid0(VALU_DEP_3) | instskip(NEXT) | instid1(VALU_DEP_1)
	v_sub_co_u32 v11, s0, v10, s88
	v_subrev_co_ci_u32_e64 v3, null, 0, v3, s0
	s_delay_alu instid0(VALU_DEP_2) | instskip(SKIP_1) | instid1(VALU_DEP_3)
	v_cmp_le_u32_e32 vcc_lo, s88, v11
	v_cndmask_b32_e64 v11, 0, -1, vcc_lo
	v_cmp_le_u32_e32 vcc_lo, s89, v3
	v_cndmask_b32_e64 v12, 0, -1, vcc_lo
	;; [unrolled: 2-line block ×4, first 2 shown]
	v_cmp_eq_u32_e32 vcc_lo, s89, v3
	v_cndmask_b32_e32 v3, v12, v11, vcc_lo
	v_cmp_eq_u32_e32 vcc_lo, s89, v14
	v_add_nc_u64_e32 v[10:11], 2, v[8:9]
	v_add_nc_u64_e32 v[12:13], 1, v[8:9]
	v_cndmask_b32_e32 v14, v17, v15, vcc_lo
	v_cmp_ne_u32_e32 vcc_lo, 0, v3
	s_delay_alu instid0(VALU_DEP_2) | instskip(NEXT) | instid1(VALU_DEP_4)
	v_cmp_ne_u32_e64 s0, 0, v14
	v_dual_cndmask_b32 v3, v13, v11, vcc_lo :: v_dual_cndmask_b32 v11, v12, v10, vcc_lo
	s_delay_alu instid0(VALU_DEP_1) | instskip(NEXT) | instid1(VALU_DEP_1)
	v_dual_cndmask_b32 v3, v9, v3, s0 :: v_dual_bitop2_b32 v10, s2, v34 bitop3:0x14
	v_dual_cndmask_b32 v8, v8, v11, s0 :: v_dual_mov_b32 v11, v10
	s_delay_alu instid0(VALU_DEP_2) | instskip(NEXT) | instid1(VALU_DEP_2)
	v_xor_b32_e32 v9, v3, v10
	v_xor_b32_e32 v8, v8, v10
	s_delay_alu instid0(VALU_DEP_1)
	v_sub_nc_u64_e32 v[8:9], v[8:9], v[10:11]
.LBB3_11:                               ;   in Loop: Header=BB3_5 Depth=1
	s_or_saveexec_b32 s0, s1
	v_cvt_f32_u32_e32 v17, s40
	s_xor_b32 exec_lo, exec_lo, s0
	s_cbranch_execz .LBB3_13
; %bb.12:                               ;   in Loop: Header=BB3_5 Depth=1
	s_delay_alu instid0(VALU_DEP_1) | instskip(SKIP_2) | instid1(TRANS32_DEP_1)
	v_rcp_iflag_f32_e32 v3, v17
	s_sub_co_i32 s1, 0, s40
	v_nop
	v_mul_f32_e32 v3, 0x4f7ffffe, v3
	s_delay_alu instid0(VALU_DEP_1) | instskip(NEXT) | instid1(VALU_DEP_1)
	v_cvt_u32_f32_e32 v3, v3
	v_mul_lo_u32 v8, s1, v3
	s_delay_alu instid0(VALU_DEP_1) | instskip(NEXT) | instid1(VALU_DEP_1)
	v_mul_hi_u32 v8, v3, v8
	v_add_nc_u32_e32 v3, v3, v8
	s_delay_alu instid0(VALU_DEP_1) | instskip(NEXT) | instid1(VALU_DEP_1)
	v_mul_hi_u32 v3, v44, v3
	v_mul_lo_u32 v8, v3, s40
	s_delay_alu instid0(VALU_DEP_1) | instskip(NEXT) | instid1(VALU_DEP_1)
	v_dual_add_nc_u32 v9, 1, v3 :: v_dual_sub_nc_u32 v8, v44, v8
	v_subrev_nc_u32_e32 v10, s40, v8
	v_cmp_le_u32_e32 vcc_lo, s40, v8
	s_delay_alu instid0(VALU_DEP_2) | instskip(NEXT) | instid1(VALU_DEP_1)
	v_dual_cndmask_b32 v8, v8, v10 :: v_dual_cndmask_b32 v3, v3, v9
	v_cmp_le_u32_e32 vcc_lo, s40, v8
	s_delay_alu instid0(VALU_DEP_2) | instskip(NEXT) | instid1(VALU_DEP_1)
	v_add_nc_u32_e32 v9, 1, v3
	v_dual_cndmask_b32 v8, v3, v9 :: v_dual_mov_b32 v9, v2
.LBB3_13:                               ;   in Loop: Header=BB3_5 Depth=1
	s_or_b32 exec_lo, exec_lo, s0
	s_delay_alu instid0(VALU_DEP_1) | instskip(SKIP_3) | instid1(VALU_DEP_3)
	v_mul_u64_e32 v[10:11], s[40:41], v[8:9]
	v_mul_u64_e32 v[8:9], s[12:13], v[8:9]
	;; [unrolled: 1-line block ×3, first 2 shown]
	s_mov_b32 s0, exec_lo
	v_sub_nc_u64_e32 v[10:11], v[6:7], v[10:11]
	s_delay_alu instid0(VALU_DEP_3) | instskip(NEXT) | instid1(VALU_DEP_2)
	v_lshl_add_u64 v[8:9], v[8:9], 3, s[34:35]
	v_add_nc_u64_e32 v[10:11], v[0:1], v[10:11]
	s_delay_alu instid0(VALU_DEP_1) | instskip(NEXT) | instid1(VALU_DEP_1)
	v_mul_u64_e32 v[10:11], s[14:15], v[10:11]
	v_lshl_add_u64 v[8:9], v[10:11], 3, v[8:9]
                                        ; implicit-def: $vgpr10_vgpr11
	global_load_b64 v[14:15], v[8:9], off
	s_wait_xcnt 0x0
	v_mad_nc_u64_u32 v[8:9], s8, v12, s[8:9]
	s_delay_alu instid0(VALU_DEP_1) | instskip(NEXT) | instid1(VALU_DEP_1)
	v_mad_u32 v3, s9, v12, v9
	v_mad_u32 v9, s8, v13, v3
	s_delay_alu instid0(VALU_DEP_1) | instskip(NEXT) | instid1(VALU_DEP_1)
	v_add_nc_u64_e32 v[46:47], v[0:1], v[8:9]
	v_dual_ashrrev_i32 v36, 31, v47 :: v_dual_bitop2_b32 v3, s41, v47 bitop3:0x54
	s_delay_alu instid0(VALU_DEP_1)
	v_cmpx_ne_u64_e32 0, v[2:3]
	s_xor_b32 s1, exec_lo, s0
	s_cbranch_execz .LBB3_15
; %bb.14:                               ;   in Loop: Header=BB3_5 Depth=1
	s_ashr_i32 s2, s41, 31
	v_dual_mov_b32 v37, v36 :: v_dual_mov_b32 v19, v2
	s_mov_b32 s3, s2
	v_mov_b32_e32 v29, v2
	s_add_nc_u64 s[88:89], s[40:41], s[2:3]
	s_delay_alu instid0(VALU_DEP_2)
	v_add_nc_u64_e32 v[10:11], v[46:47], v[36:37]
	s_xor_b64 s[88:89], s[88:89], s[2:3]
	v_mov_b32_e32 v25, v2
	s_cvt_f32_u32 s0, s88
	s_cvt_f32_u32 s3, s89
	s_sub_nc_u64 s[94:95], 0, s[88:89]
	s_delay_alu instid0(VALU_DEP_2) | instskip(NEXT) | instid1(SALU_CYCLE_1)
	v_xor_b32_e32 v24, v11, v36
	s_fmamk_f32 s0, s3, 0x4f800000, s0
	v_xor_b32_e32 v18, v10, v36
	s_delay_alu instid0(SALU_CYCLE_2) | instskip(NEXT) | instid1(TRANS32_DEP_1)
	v_s_rcp_f32 s0, s0
	s_mul_f32 s0, s0, 0x5f7ffffc
	s_delay_alu instid0(SALU_CYCLE_3) | instskip(NEXT) | instid1(SALU_CYCLE_3)
	s_mul_f32 s3, s0, 0x2f800000
	s_trunc_f32 s3, s3
	s_delay_alu instid0(SALU_CYCLE_3) | instskip(SKIP_1) | instid1(SALU_CYCLE_2)
	s_fmamk_f32 s0, s3, 0xcf800000, s0
	s_cvt_u32_f32 s93, s3
	s_cvt_u32_f32 s92, s0
	s_delay_alu instid0(SALU_CYCLE_3) | instskip(NEXT) | instid1(SALU_CYCLE_1)
	s_mul_u64 s[96:97], s[94:95], s[92:93]
	s_mul_hi_u32 s99, s92, s97
	s_mul_i32 s98, s92, s97
	s_mul_hi_u32 s4, s92, s96
	s_mul_i32 s3, s93, s96
	s_add_nc_u64 s[98:99], s[4:5], s[98:99]
	s_mul_hi_u32 s0, s93, s96
	s_mul_hi_u32 s91, s93, s97
	s_add_co_u32 s3, s98, s3
	s_add_co_ci_u32 s4, s99, s0
	s_mul_i32 s96, s93, s97
	s_add_co_ci_u32 s97, s91, 0
	s_delay_alu instid0(SALU_CYCLE_1) | instskip(NEXT) | instid1(SALU_CYCLE_1)
	s_add_nc_u64 s[96:97], s[4:5], s[96:97]
	s_add_co_u32 s92, s92, s96
	s_cselect_b32 s0, -1, 0
	s_delay_alu instid0(SALU_CYCLE_1) | instskip(SKIP_1) | instid1(SALU_CYCLE_1)
	s_cmp_lg_u32 s0, 0
	s_add_co_ci_u32 s93, s93, s97
	s_mul_u64 s[94:95], s[94:95], s[92:93]
	s_delay_alu instid0(SALU_CYCLE_1)
	s_mul_hi_u32 s97, s92, s95
	s_mul_i32 s96, s92, s95
	s_mul_hi_u32 s4, s92, s94
	s_mul_i32 s3, s93, s94
	s_add_nc_u64 s[96:97], s[4:5], s[96:97]
	s_mul_hi_u32 s0, s93, s94
	s_mul_hi_u32 s91, s93, s95
	s_add_co_u32 s3, s96, s3
	s_add_co_ci_u32 s4, s97, s0
	s_mul_i32 s94, s93, s95
	s_add_co_ci_u32 s95, s91, 0
	s_delay_alu instid0(SALU_CYCLE_1) | instskip(NEXT) | instid1(SALU_CYCLE_1)
	s_add_nc_u64 s[94:95], s[4:5], s[94:95]
	s_add_co_u32 s0, s92, s94
	s_cselect_b32 s3, -1, 0
	v_nop
	v_mul_hi_u32 v28, v18, s0
	s_cmp_lg_u32 s3, 0
	s_add_co_ci_u32 s4, s93, s95
	s_and_b64 s[92:93], s[0:1], s[72:73]
	v_mul_u64_e32 v[22:23], s[4:5], v[18:19]
	v_mul_u64_e32 v[10:11], s[92:93], v[24:25]
	;; [unrolled: 1-line block ×3, first 2 shown]
	s_delay_alu instid0(VALU_DEP_3) | instskip(NEXT) | instid1(VALU_DEP_1)
	v_add_nc_u64_e32 v[22:23], v[28:29], v[22:23]
	v_add_co_u32 v3, vcc_lo, v22, v10
	s_delay_alu instid0(VALU_DEP_2) | instskip(NEXT) | instid1(VALU_DEP_4)
	v_add_co_ci_u32_e32 v28, vcc_lo, v23, v11, vcc_lo
	v_add_co_ci_u32_e32 v27, vcc_lo, 0, v27, vcc_lo
	s_delay_alu instid0(VALU_DEP_1) | instskip(NEXT) | instid1(VALU_DEP_1)
	v_add_nc_u64_e32 v[10:11], v[28:29], v[26:27]
	v_mul_u64_e32 v[22:23], s[88:89], v[10:11]
	s_delay_alu instid0(VALU_DEP_1) | instskip(NEXT) | instid1(VALU_DEP_2)
	v_sub_nc_u32_e32 v3, v24, v23
	v_sub_co_u32 v18, vcc_lo, v18, v22
	s_delay_alu instid0(VALU_DEP_1) | instskip(NEXT) | instid1(VALU_DEP_3)
	v_sub_co_ci_u32_e64 v24, null, v24, v23, vcc_lo
	v_subrev_co_ci_u32_e64 v3, null, s89, v3, vcc_lo
	s_delay_alu instid0(VALU_DEP_3) | instskip(NEXT) | instid1(VALU_DEP_1)
	v_sub_co_u32 v19, s0, v18, s88
	v_subrev_co_ci_u32_e64 v3, null, 0, v3, s0
	s_delay_alu instid0(VALU_DEP_2) | instskip(SKIP_1) | instid1(VALU_DEP_3)
	v_cmp_le_u32_e32 vcc_lo, s88, v19
	v_cndmask_b32_e64 v19, 0, -1, vcc_lo
	v_cmp_le_u32_e32 vcc_lo, s89, v3
	v_cndmask_b32_e64 v22, 0, -1, vcc_lo
	;; [unrolled: 2-line block ×4, first 2 shown]
	v_cmp_eq_u32_e32 vcc_lo, s89, v3
	v_cndmask_b32_e32 v3, v22, v19, vcc_lo
	v_cmp_eq_u32_e32 vcc_lo, s89, v24
	v_add_nc_u64_e32 v[18:19], 2, v[10:11]
	v_add_nc_u64_e32 v[22:23], 1, v[10:11]
	v_cndmask_b32_e32 v24, v26, v25, vcc_lo
	v_cmp_ne_u32_e32 vcc_lo, 0, v3
	s_delay_alu instid0(VALU_DEP_3) | instskip(SKIP_1) | instid1(VALU_DEP_4)
	v_dual_cndmask_b32 v3, v23, v19, vcc_lo :: v_dual_cndmask_b32 v19, v22, v18, vcc_lo
	v_xor_b32_e32 v18, s2, v36
	v_cmp_ne_u32_e64 s0, 0, v24
	s_delay_alu instid0(VALU_DEP_1) | instskip(NEXT) | instid1(VALU_DEP_4)
	v_cndmask_b32_e64 v3, v11, v3, s0
	v_cndmask_b32_e64 v10, v10, v19, s0
	s_delay_alu instid0(VALU_DEP_2) | instskip(NEXT) | instid1(VALU_DEP_2)
	v_dual_mov_b32 v19, v18 :: v_dual_bitop2_b32 v11, v3, v18 bitop3:0x14
	v_xor_b32_e32 v10, v10, v18
	s_delay_alu instid0(VALU_DEP_1)
	v_sub_nc_u64_e32 v[10:11], v[10:11], v[18:19]
.LBB3_15:                               ;   in Loop: Header=BB3_5 Depth=1
	s_and_not1_saveexec_b32 s0, s1
	s_cbranch_execz .LBB3_17
; %bb.16:                               ;   in Loop: Header=BB3_5 Depth=1
	v_rcp_iflag_f32_e32 v3, v17
	s_sub_co_i32 s1, 0, s40
	v_nop
	s_delay_alu instid0(TRANS32_DEP_1) | instskip(NEXT) | instid1(VALU_DEP_1)
	v_mul_f32_e32 v3, 0x4f7ffffe, v3
	v_cvt_u32_f32_e32 v3, v3
	s_delay_alu instid0(VALU_DEP_1) | instskip(NEXT) | instid1(VALU_DEP_1)
	v_mul_lo_u32 v10, s1, v3
	v_mul_hi_u32 v10, v3, v10
	s_delay_alu instid0(VALU_DEP_1) | instskip(NEXT) | instid1(VALU_DEP_1)
	v_add_nc_u32_e32 v3, v3, v10
	v_mul_hi_u32 v3, v46, v3
	s_delay_alu instid0(VALU_DEP_1) | instskip(NEXT) | instid1(VALU_DEP_1)
	v_mul_lo_u32 v10, v3, s40
	v_sub_nc_u32_e32 v10, v46, v10
	s_delay_alu instid0(VALU_DEP_1) | instskip(SKIP_1) | instid1(VALU_DEP_2)
	v_subrev_nc_u32_e32 v18, s40, v10
	v_cmp_le_u32_e32 vcc_lo, s40, v10
	v_dual_cndmask_b32 v10, v10, v18 :: v_dual_add_nc_u32 v11, 1, v3
	s_delay_alu instid0(VALU_DEP_1) | instskip(NEXT) | instid1(VALU_DEP_2)
	v_cndmask_b32_e32 v3, v3, v11, vcc_lo
	v_cmp_le_u32_e32 vcc_lo, s40, v10
	s_delay_alu instid0(VALU_DEP_2) | instskip(NEXT) | instid1(VALU_DEP_1)
	v_add_nc_u32_e32 v11, 1, v3
	v_dual_cndmask_b32 v10, v3, v11 :: v_dual_mov_b32 v11, v2
.LBB3_17:                               ;   in Loop: Header=BB3_5 Depth=1
	s_or_b32 exec_lo, exec_lo, s0
	s_delay_alu instid0(VALU_DEP_1) | instskip(SKIP_2) | instid1(VALU_DEP_2)
	v_mul_u64_e32 v[18:19], s[40:41], v[10:11]
	v_mul_u64_e32 v[10:11], s[12:13], v[10:11]
                                        ; implicit-def: $vgpr22_vgpr23
	s_mov_b32 s0, exec_lo
	v_sub_nc_u64_e32 v[18:19], v[8:9], v[18:19]
	s_delay_alu instid0(VALU_DEP_2) | instskip(NEXT) | instid1(VALU_DEP_2)
	v_lshl_add_u64 v[10:11], v[10:11], 3, s[34:35]
	v_add_nc_u64_e32 v[18:19], v[0:1], v[18:19]
	s_delay_alu instid0(VALU_DEP_1) | instskip(NEXT) | instid1(VALU_DEP_1)
	v_mul_u64_e32 v[18:19], s[14:15], v[18:19]
	v_lshl_add_u64 v[10:11], v[18:19], 3, v[10:11]
	global_load_b64 v[18:19], v[10:11], off
	s_wait_xcnt 0x0
	v_add_nc_u64_e32 v[10:11], 2, v[12:13]
	s_delay_alu instid0(VALU_DEP_1) | instskip(NEXT) | instid1(VALU_DEP_1)
	v_mul_u64_e32 v[10:11], s[8:9], v[10:11]
	v_add_nc_u64_e32 v[48:49], v[0:1], v[10:11]
	s_delay_alu instid0(VALU_DEP_1) | instskip(NEXT) | instid1(VALU_DEP_1)
	v_dual_ashrrev_i32 v40, 31, v49 :: v_dual_bitop2_b32 v3, s41, v49 bitop3:0x54
	v_cmpx_ne_u64_e32 0, v[2:3]
	s_xor_b32 s1, exec_lo, s0
	s_cbranch_execz .LBB3_19
; %bb.18:                               ;   in Loop: Header=BB3_5 Depth=1
	s_ashr_i32 s2, s41, 31
	v_dual_mov_b32 v41, v40 :: v_dual_mov_b32 v25, v2
	s_mov_b32 s3, s2
	v_mov_b32_e32 v33, v2
	s_add_nc_u64 s[88:89], s[40:41], s[2:3]
	s_delay_alu instid0(VALU_DEP_2)
	v_add_nc_u64_e32 v[22:23], v[48:49], v[40:41]
	s_xor_b64 s[88:89], s[88:89], s[2:3]
	v_mov_b32_e32 v29, v2
	s_cvt_f32_u32 s0, s88
	s_cvt_f32_u32 s3, s89
	s_sub_nc_u64 s[94:95], 0, s[88:89]
	s_delay_alu instid0(VALU_DEP_2) | instskip(NEXT) | instid1(SALU_CYCLE_1)
	v_xor_b32_e32 v28, v23, v40
	s_fmamk_f32 s0, s3, 0x4f800000, s0
	v_xor_b32_e32 v24, v22, v40
	s_delay_alu instid0(SALU_CYCLE_2) | instskip(NEXT) | instid1(TRANS32_DEP_1)
	v_s_rcp_f32 s0, s0
	s_mul_f32 s0, s0, 0x5f7ffffc
	s_delay_alu instid0(SALU_CYCLE_3) | instskip(NEXT) | instid1(SALU_CYCLE_3)
	s_mul_f32 s3, s0, 0x2f800000
	s_trunc_f32 s3, s3
	s_delay_alu instid0(SALU_CYCLE_3) | instskip(SKIP_1) | instid1(SALU_CYCLE_2)
	s_fmamk_f32 s0, s3, 0xcf800000, s0
	s_cvt_u32_f32 s93, s3
	s_cvt_u32_f32 s92, s0
	s_delay_alu instid0(SALU_CYCLE_3) | instskip(NEXT) | instid1(SALU_CYCLE_1)
	s_mul_u64 s[96:97], s[94:95], s[92:93]
	s_mul_hi_u32 s99, s92, s97
	s_mul_i32 s98, s92, s97
	s_mul_hi_u32 s4, s92, s96
	s_mul_i32 s3, s93, s96
	s_add_nc_u64 s[98:99], s[4:5], s[98:99]
	s_mul_hi_u32 s0, s93, s96
	s_mul_hi_u32 s91, s93, s97
	s_add_co_u32 s3, s98, s3
	s_add_co_ci_u32 s4, s99, s0
	s_mul_i32 s96, s93, s97
	s_add_co_ci_u32 s97, s91, 0
	s_delay_alu instid0(SALU_CYCLE_1) | instskip(NEXT) | instid1(SALU_CYCLE_1)
	s_add_nc_u64 s[96:97], s[4:5], s[96:97]
	s_add_co_u32 s92, s92, s96
	s_cselect_b32 s0, -1, 0
	s_delay_alu instid0(SALU_CYCLE_1) | instskip(SKIP_1) | instid1(SALU_CYCLE_1)
	s_cmp_lg_u32 s0, 0
	s_add_co_ci_u32 s93, s93, s97
	s_mul_u64 s[94:95], s[94:95], s[92:93]
	s_delay_alu instid0(SALU_CYCLE_1)
	s_mul_hi_u32 s97, s92, s95
	s_mul_i32 s96, s92, s95
	s_mul_hi_u32 s4, s92, s94
	s_mul_i32 s3, s93, s94
	s_add_nc_u64 s[96:97], s[4:5], s[96:97]
	s_mul_hi_u32 s0, s93, s94
	s_mul_hi_u32 s91, s93, s95
	s_add_co_u32 s3, s96, s3
	s_add_co_ci_u32 s4, s97, s0
	s_mul_i32 s94, s93, s95
	s_add_co_ci_u32 s95, s91, 0
	s_delay_alu instid0(SALU_CYCLE_1) | instskip(NEXT) | instid1(SALU_CYCLE_1)
	s_add_nc_u64 s[94:95], s[4:5], s[94:95]
	s_add_co_u32 s0, s92, s94
	s_cselect_b32 s3, -1, 0
	v_nop
	v_mul_hi_u32 v32, v24, s0
	s_cmp_lg_u32 s3, 0
	s_add_co_ci_u32 s4, s93, s95
	s_and_b64 s[92:93], s[0:1], s[72:73]
	v_mul_u64_e32 v[26:27], s[4:5], v[24:25]
	v_mul_u64_e32 v[22:23], s[92:93], v[28:29]
	;; [unrolled: 1-line block ×3, first 2 shown]
	s_delay_alu instid0(VALU_DEP_3) | instskip(NEXT) | instid1(VALU_DEP_1)
	v_add_nc_u64_e32 v[26:27], v[32:33], v[26:27]
	v_add_co_u32 v3, vcc_lo, v26, v22
	s_delay_alu instid0(VALU_DEP_2) | instskip(NEXT) | instid1(VALU_DEP_4)
	v_add_co_ci_u32_e32 v32, vcc_lo, v27, v23, vcc_lo
	v_add_co_ci_u32_e32 v31, vcc_lo, 0, v31, vcc_lo
	s_delay_alu instid0(VALU_DEP_1) | instskip(NEXT) | instid1(VALU_DEP_1)
	v_add_nc_u64_e32 v[22:23], v[32:33], v[30:31]
	v_mul_u64_e32 v[26:27], s[88:89], v[22:23]
	s_delay_alu instid0(VALU_DEP_1) | instskip(NEXT) | instid1(VALU_DEP_2)
	v_sub_nc_u32_e32 v3, v28, v27
	v_sub_co_u32 v24, vcc_lo, v24, v26
	s_delay_alu instid0(VALU_DEP_1) | instskip(NEXT) | instid1(VALU_DEP_3)
	v_sub_co_ci_u32_e64 v28, null, v28, v27, vcc_lo
	v_subrev_co_ci_u32_e64 v3, null, s89, v3, vcc_lo
	s_delay_alu instid0(VALU_DEP_3) | instskip(NEXT) | instid1(VALU_DEP_1)
	v_sub_co_u32 v25, s0, v24, s88
	v_subrev_co_ci_u32_e64 v3, null, 0, v3, s0
	s_delay_alu instid0(VALU_DEP_2) | instskip(SKIP_1) | instid1(VALU_DEP_3)
	v_cmp_le_u32_e32 vcc_lo, s88, v25
	v_cndmask_b32_e64 v25, 0, -1, vcc_lo
	v_cmp_le_u32_e32 vcc_lo, s89, v3
	v_cndmask_b32_e64 v26, 0, -1, vcc_lo
	;; [unrolled: 2-line block ×4, first 2 shown]
	v_cmp_eq_u32_e32 vcc_lo, s89, v3
	v_cndmask_b32_e32 v3, v26, v25, vcc_lo
	v_cmp_eq_u32_e32 vcc_lo, s89, v28
	v_add_nc_u64_e32 v[24:25], 2, v[22:23]
	v_add_nc_u64_e32 v[26:27], 1, v[22:23]
	v_cndmask_b32_e32 v28, v30, v29, vcc_lo
	v_cmp_ne_u32_e32 vcc_lo, 0, v3
	s_delay_alu instid0(VALU_DEP_3) | instskip(SKIP_1) | instid1(VALU_DEP_4)
	v_dual_cndmask_b32 v3, v27, v25, vcc_lo :: v_dual_cndmask_b32 v25, v26, v24, vcc_lo
	v_xor_b32_e32 v24, s2, v40
	v_cmp_ne_u32_e64 s0, 0, v28
	s_delay_alu instid0(VALU_DEP_1) | instskip(NEXT) | instid1(VALU_DEP_1)
	v_dual_cndmask_b32 v3, v23, v3, s0 :: v_dual_cndmask_b32 v22, v22, v25, s0
	v_dual_mov_b32 v25, v24 :: v_dual_bitop2_b32 v23, v3, v24 bitop3:0x14
	s_delay_alu instid0(VALU_DEP_2) | instskip(NEXT) | instid1(VALU_DEP_1)
	v_xor_b32_e32 v22, v22, v24
	v_sub_nc_u64_e32 v[22:23], v[22:23], v[24:25]
.LBB3_19:                               ;   in Loop: Header=BB3_5 Depth=1
	s_and_not1_saveexec_b32 s0, s1
	s_cbranch_execz .LBB3_21
; %bb.20:                               ;   in Loop: Header=BB3_5 Depth=1
	v_rcp_iflag_f32_e32 v3, v17
	s_sub_co_i32 s1, 0, s40
	v_nop
	s_delay_alu instid0(TRANS32_DEP_1) | instskip(NEXT) | instid1(VALU_DEP_1)
	v_mul_f32_e32 v3, 0x4f7ffffe, v3
	v_cvt_u32_f32_e32 v3, v3
	s_delay_alu instid0(VALU_DEP_1) | instskip(NEXT) | instid1(VALU_DEP_1)
	v_mul_lo_u32 v22, s1, v3
	v_mul_hi_u32 v22, v3, v22
	s_delay_alu instid0(VALU_DEP_1) | instskip(NEXT) | instid1(VALU_DEP_1)
	v_add_nc_u32_e32 v3, v3, v22
	v_mul_hi_u32 v3, v48, v3
	s_delay_alu instid0(VALU_DEP_1) | instskip(NEXT) | instid1(VALU_DEP_1)
	v_mul_lo_u32 v22, v3, s40
	v_dual_add_nc_u32 v23, 1, v3 :: v_dual_sub_nc_u32 v22, v48, v22
	s_delay_alu instid0(VALU_DEP_1) | instskip(SKIP_1) | instid1(VALU_DEP_2)
	v_subrev_nc_u32_e32 v24, s40, v22
	v_cmp_le_u32_e32 vcc_lo, s40, v22
	v_dual_cndmask_b32 v22, v22, v24 :: v_dual_cndmask_b32 v3, v3, v23
	s_delay_alu instid0(VALU_DEP_1) | instskip(NEXT) | instid1(VALU_DEP_2)
	v_cmp_le_u32_e32 vcc_lo, s40, v22
	v_add_nc_u32_e32 v23, 1, v3
	s_delay_alu instid0(VALU_DEP_1)
	v_dual_cndmask_b32 v22, v3, v23 :: v_dual_mov_b32 v23, v2
.LBB3_21:                               ;   in Loop: Header=BB3_5 Depth=1
	s_or_b32 exec_lo, exec_lo, s0
	s_delay_alu instid0(VALU_DEP_1) | instskip(SKIP_3) | instid1(VALU_DEP_1)
	v_mul_u64_e32 v[24:25], s[40:41], v[22:23]
	v_mul_u64_e32 v[22:23], s[12:13], v[22:23]
	v_add_nc_u64_e32 v[12:13], 3, v[12:13]
	s_mov_b32 s0, exec_lo
	v_mul_u64_e32 v[12:13], s[8:9], v[12:13]
	s_delay_alu instid0(VALU_DEP_4) | instskip(NEXT) | instid1(VALU_DEP_4)
	v_sub_nc_u64_e32 v[24:25], v[10:11], v[24:25]
	v_lshl_add_u64 v[22:23], v[22:23], 3, s[34:35]
	s_delay_alu instid0(VALU_DEP_2) | instskip(NEXT) | instid1(VALU_DEP_4)
	v_add_nc_u64_e32 v[24:25], v[0:1], v[24:25]
	v_add_nc_u64_e32 v[50:51], v[0:1], v[12:13]
	s_delay_alu instid0(VALU_DEP_2) | instskip(NEXT) | instid1(VALU_DEP_2)
	v_mul_u64_e32 v[24:25], s[14:15], v[24:25]
	v_dual_ashrrev_i32 v42, 31, v51 :: v_dual_bitop2_b32 v3, s41, v51 bitop3:0x54
	s_delay_alu instid0(VALU_DEP_2)
	v_lshl_add_u64 v[22:23], v[24:25], 3, v[22:23]
	global_load_b64 v[24:25], v[22:23], off
                                        ; implicit-def: $vgpr22_vgpr23
	s_wait_xcnt 0x0
	v_cmpx_ne_u64_e32 0, v[2:3]
	s_xor_b32 s1, exec_lo, s0
	s_cbranch_execz .LBB3_23
; %bb.22:                               ;   in Loop: Header=BB3_5 Depth=1
	s_ashr_i32 s2, s41, 31
	v_dual_mov_b32 v43, v42 :: v_dual_mov_b32 v27, v2
	s_mov_b32 s3, s2
	v_mov_b32_e32 v39, v2
	s_add_nc_u64 s[88:89], s[40:41], s[2:3]
	s_delay_alu instid0(VALU_DEP_2)
	v_add_nc_u64_e32 v[22:23], v[50:51], v[42:43]
	s_xor_b64 s[88:89], s[88:89], s[2:3]
	v_mov_b32_e32 v31, v2
	s_cvt_f32_u32 s0, s88
	s_cvt_f32_u32 s3, s89
	s_sub_nc_u64 s[94:95], 0, s[88:89]
	s_delay_alu instid0(VALU_DEP_2) | instskip(NEXT) | instid1(SALU_CYCLE_1)
	v_xor_b32_e32 v26, v22, v42
	s_fmamk_f32 s0, s3, 0x4f800000, s0
	v_xor_b32_e32 v30, v23, v42
	s_delay_alu instid0(SALU_CYCLE_2) | instskip(NEXT) | instid1(TRANS32_DEP_1)
	v_s_rcp_f32 s0, s0
	s_mul_f32 s0, s0, 0x5f7ffffc
	s_delay_alu instid0(SALU_CYCLE_3) | instskip(NEXT) | instid1(SALU_CYCLE_3)
	s_mul_f32 s3, s0, 0x2f800000
	s_trunc_f32 s3, s3
	s_delay_alu instid0(SALU_CYCLE_3) | instskip(SKIP_1) | instid1(SALU_CYCLE_2)
	s_fmamk_f32 s0, s3, 0xcf800000, s0
	s_cvt_u32_f32 s93, s3
	s_cvt_u32_f32 s92, s0
	s_delay_alu instid0(SALU_CYCLE_3) | instskip(NEXT) | instid1(SALU_CYCLE_1)
	s_mul_u64 s[96:97], s[94:95], s[92:93]
	s_mul_hi_u32 s99, s92, s97
	s_mul_i32 s98, s92, s97
	s_mul_hi_u32 s4, s92, s96
	s_mul_i32 s3, s93, s96
	s_add_nc_u64 s[98:99], s[4:5], s[98:99]
	s_mul_hi_u32 s0, s93, s96
	s_mul_hi_u32 s91, s93, s97
	s_add_co_u32 s3, s98, s3
	s_add_co_ci_u32 s4, s99, s0
	s_mul_i32 s96, s93, s97
	s_add_co_ci_u32 s97, s91, 0
	s_delay_alu instid0(SALU_CYCLE_1) | instskip(NEXT) | instid1(SALU_CYCLE_1)
	s_add_nc_u64 s[96:97], s[4:5], s[96:97]
	s_add_co_u32 s92, s92, s96
	s_cselect_b32 s0, -1, 0
	s_delay_alu instid0(SALU_CYCLE_1) | instskip(SKIP_1) | instid1(SALU_CYCLE_1)
	s_cmp_lg_u32 s0, 0
	s_add_co_ci_u32 s93, s93, s97
	s_mul_u64 s[94:95], s[94:95], s[92:93]
	s_delay_alu instid0(SALU_CYCLE_1)
	s_mul_hi_u32 s97, s92, s95
	s_mul_i32 s96, s92, s95
	s_mul_hi_u32 s4, s92, s94
	s_mul_i32 s3, s93, s94
	s_add_nc_u64 s[96:97], s[4:5], s[96:97]
	s_mul_hi_u32 s0, s93, s94
	s_mul_hi_u32 s91, s93, s95
	s_add_co_u32 s3, s96, s3
	s_add_co_ci_u32 s4, s97, s0
	s_mul_i32 s94, s93, s95
	s_add_co_ci_u32 s95, s91, 0
	s_delay_alu instid0(SALU_CYCLE_1) | instskip(NEXT) | instid1(SALU_CYCLE_1)
	s_add_nc_u64 s[94:95], s[4:5], s[94:95]
	s_add_co_u32 s0, s92, s94
	s_cselect_b32 s3, -1, 0
	v_nop
	v_mul_hi_u32 v38, v26, s0
	s_cmp_lg_u32 s3, 0
	s_add_co_ci_u32 s4, s93, s95
	s_and_b64 s[92:93], s[0:1], s[72:73]
	v_mul_u64_e32 v[28:29], s[4:5], v[26:27]
	v_mul_u64_e32 v[22:23], s[92:93], v[30:31]
	;; [unrolled: 1-line block ×3, first 2 shown]
	s_delay_alu instid0(VALU_DEP_3) | instskip(NEXT) | instid1(VALU_DEP_1)
	v_add_nc_u64_e32 v[28:29], v[38:39], v[28:29]
	v_add_co_u32 v3, vcc_lo, v28, v22
	s_delay_alu instid0(VALU_DEP_2) | instskip(NEXT) | instid1(VALU_DEP_4)
	v_add_co_ci_u32_e32 v38, vcc_lo, v29, v23, vcc_lo
	v_add_co_ci_u32_e32 v33, vcc_lo, 0, v33, vcc_lo
	s_delay_alu instid0(VALU_DEP_1) | instskip(NEXT) | instid1(VALU_DEP_1)
	v_add_nc_u64_e32 v[22:23], v[38:39], v[32:33]
	v_mul_u64_e32 v[28:29], s[88:89], v[22:23]
	s_delay_alu instid0(VALU_DEP_1) | instskip(NEXT) | instid1(VALU_DEP_2)
	v_sub_nc_u32_e32 v3, v30, v29
	v_sub_co_u32 v17, vcc_lo, v26, v28
	s_delay_alu instid0(VALU_DEP_1) | instskip(NEXT) | instid1(VALU_DEP_3)
	v_sub_co_ci_u32_e64 v30, null, v30, v29, vcc_lo
	v_subrev_co_ci_u32_e64 v3, null, s89, v3, vcc_lo
	s_delay_alu instid0(VALU_DEP_3) | instskip(SKIP_1) | instid1(VALU_DEP_3)
	v_sub_co_u32 v26, s0, v17, s88
	v_add_nc_u64_e32 v[28:29], 1, v[22:23]
	v_subrev_co_ci_u32_e64 v3, null, 0, v3, s0
	s_delay_alu instid0(VALU_DEP_3) | instskip(SKIP_1) | instid1(VALU_DEP_3)
	v_cmp_le_u32_e32 vcc_lo, s88, v26
	v_cndmask_b32_e64 v26, 0, -1, vcc_lo
	v_cmp_le_u32_e32 vcc_lo, s89, v3
	v_cndmask_b32_e64 v27, 0, -1, vcc_lo
	;; [unrolled: 2-line block ×4, first 2 shown]
	v_cmp_eq_u32_e32 vcc_lo, s89, v3
	v_cndmask_b32_e32 v3, v27, v26, vcc_lo
	v_cmp_eq_u32_e32 vcc_lo, s89, v30
	v_add_nc_u64_e32 v[26:27], 2, v[22:23]
	v_cndmask_b32_e32 v17, v31, v17, vcc_lo
	s_delay_alu instid0(VALU_DEP_4) | instskip(NEXT) | instid1(VALU_DEP_2)
	v_cmp_ne_u32_e32 vcc_lo, 0, v3
	v_cmp_ne_u32_e64 s0, 0, v17
	s_delay_alu instid0(VALU_DEP_4) | instskip(NEXT) | instid1(VALU_DEP_1)
	v_dual_cndmask_b32 v3, v29, v27, vcc_lo :: v_dual_cndmask_b32 v17, v28, v26, vcc_lo
	v_dual_cndmask_b32 v3, v23, v3, s0 :: v_dual_bitop2_b32 v26, s2, v42 bitop3:0x14
	s_delay_alu instid0(VALU_DEP_2) | instskip(NEXT) | instid1(VALU_DEP_2)
	v_cndmask_b32_e64 v17, v22, v17, s0
	v_dual_mov_b32 v27, v26 :: v_dual_bitop2_b32 v23, v3, v26 bitop3:0x14
	s_delay_alu instid0(VALU_DEP_2) | instskip(NEXT) | instid1(VALU_DEP_1)
	v_xor_b32_e32 v22, v17, v26
                                        ; implicit-def: $vgpr17
	v_sub_nc_u64_e32 v[22:23], v[22:23], v[26:27]
.LBB3_23:                               ;   in Loop: Header=BB3_5 Depth=1
	s_and_not1_saveexec_b32 s0, s1
	s_cbranch_execz .LBB3_25
; %bb.24:                               ;   in Loop: Header=BB3_5 Depth=1
	v_rcp_iflag_f32_e32 v3, v17
	s_sub_co_i32 s1, 0, s40
	v_nop
	s_delay_alu instid0(TRANS32_DEP_1) | instskip(NEXT) | instid1(VALU_DEP_1)
	v_mul_f32_e32 v3, 0x4f7ffffe, v3
	v_cvt_u32_f32_e32 v3, v3
	s_delay_alu instid0(VALU_DEP_1) | instskip(NEXT) | instid1(VALU_DEP_1)
	v_mul_lo_u32 v17, s1, v3
	v_mul_hi_u32 v17, v3, v17
	s_delay_alu instid0(VALU_DEP_1) | instskip(NEXT) | instid1(VALU_DEP_1)
	v_add_nc_u32_e32 v3, v3, v17
	v_mul_hi_u32 v3, v50, v3
	s_delay_alu instid0(VALU_DEP_1) | instskip(NEXT) | instid1(VALU_DEP_1)
	v_mul_lo_u32 v17, v3, s40
	v_dual_add_nc_u32 v22, 1, v3 :: v_dual_sub_nc_u32 v17, v50, v17
	s_delay_alu instid0(VALU_DEP_1) | instskip(SKIP_1) | instid1(VALU_DEP_2)
	v_subrev_nc_u32_e32 v23, s40, v17
	v_cmp_le_u32_e32 vcc_lo, s40, v17
	v_dual_cndmask_b32 v17, v17, v23, vcc_lo :: v_dual_mov_b32 v23, v2
	s_delay_alu instid0(VALU_DEP_4) | instskip(NEXT) | instid1(VALU_DEP_2)
	v_cndmask_b32_e32 v3, v3, v22, vcc_lo
	v_cmp_le_u32_e32 vcc_lo, s40, v17
	s_delay_alu instid0(VALU_DEP_2) | instskip(NEXT) | instid1(VALU_DEP_1)
	v_add_nc_u32_e32 v22, 1, v3
	v_cndmask_b32_e32 v22, v3, v22, vcc_lo
.LBB3_25:                               ;   in Loop: Header=BB3_5 Depth=1
	s_or_b32 exec_lo, exec_lo, s0
	s_delay_alu instid0(VALU_DEP_1) | instskip(SKIP_3) | instid1(VALU_DEP_3)
	v_mul_u64_e32 v[26:27], s[40:41], v[22:23]
	v_mul_u64_e32 v[22:23], s[12:13], v[22:23]
	v_or_b32_e32 v3, s45, v45
	s_mov_b32 s0, exec_lo
	v_sub_nc_u64_e32 v[26:27], v[12:13], v[26:27]
	s_delay_alu instid0(VALU_DEP_3) | instskip(NEXT) | instid1(VALU_DEP_2)
	v_lshl_add_u64 v[22:23], v[22:23], 3, s[34:35]
	v_add_nc_u64_e32 v[26:27], v[0:1], v[26:27]
	s_delay_alu instid0(VALU_DEP_1) | instskip(NEXT) | instid1(VALU_DEP_1)
	v_mul_u64_e32 v[26:27], s[14:15], v[26:27]
	v_lshl_add_u64 v[22:23], v[26:27], 3, v[22:23]
                                        ; implicit-def: $vgpr26_vgpr27
	global_load_b64 v[22:23], v[22:23], off
	s_wait_xcnt 0x0
	v_cmpx_ne_u64_e32 0, v[2:3]
	s_xor_b32 s1, exec_lo, s0
	s_cbranch_execz .LBB3_27
; %bb.26:                               ;   in Loop: Header=BB3_5 Depth=1
	s_ashr_i32 s2, s45, 31
	v_dual_mov_b32 v35, v34 :: v_dual_mov_b32 v29, v2
	s_mov_b32 s3, s2
	v_mov_b32_e32 v53, v2
	s_add_nc_u64 s[88:89], s[44:45], s[2:3]
	s_delay_alu instid0(VALU_DEP_2)
	v_add_nc_u64_e32 v[26:27], v[44:45], v[34:35]
	s_xor_b64 s[88:89], s[88:89], s[2:3]
	v_mov_b32_e32 v33, v2
	s_cvt_f32_u32 s0, s88
	s_cvt_f32_u32 s3, s89
	s_sub_nc_u64 s[94:95], 0, s[88:89]
	s_delay_alu instid0(VALU_DEP_2) | instskip(NEXT) | instid1(SALU_CYCLE_1)
	v_xor_b32_e32 v32, v27, v34
	s_fmamk_f32 s0, s3, 0x4f800000, s0
	v_xor_b32_e32 v28, v26, v34
	s_delay_alu instid0(SALU_CYCLE_2) | instskip(NEXT) | instid1(TRANS32_DEP_1)
	v_s_rcp_f32 s0, s0
	s_mul_f32 s0, s0, 0x5f7ffffc
	s_delay_alu instid0(SALU_CYCLE_3) | instskip(NEXT) | instid1(SALU_CYCLE_3)
	s_mul_f32 s3, s0, 0x2f800000
	s_trunc_f32 s3, s3
	s_delay_alu instid0(SALU_CYCLE_3) | instskip(SKIP_1) | instid1(SALU_CYCLE_2)
	s_fmamk_f32 s0, s3, 0xcf800000, s0
	s_cvt_u32_f32 s93, s3
	s_cvt_u32_f32 s92, s0
	s_delay_alu instid0(SALU_CYCLE_3) | instskip(NEXT) | instid1(SALU_CYCLE_1)
	s_mul_u64 s[96:97], s[94:95], s[92:93]
	s_mul_hi_u32 s99, s92, s97
	s_mul_i32 s98, s92, s97
	s_mul_hi_u32 s4, s92, s96
	s_mul_i32 s3, s93, s96
	s_add_nc_u64 s[98:99], s[4:5], s[98:99]
	s_mul_hi_u32 s0, s93, s96
	s_mul_hi_u32 s91, s93, s97
	s_add_co_u32 s3, s98, s3
	s_add_co_ci_u32 s4, s99, s0
	s_mul_i32 s96, s93, s97
	s_add_co_ci_u32 s97, s91, 0
	s_delay_alu instid0(SALU_CYCLE_1) | instskip(NEXT) | instid1(SALU_CYCLE_1)
	s_add_nc_u64 s[96:97], s[4:5], s[96:97]
	s_add_co_u32 s92, s92, s96
	s_cselect_b32 s0, -1, 0
	s_delay_alu instid0(SALU_CYCLE_1) | instskip(SKIP_1) | instid1(SALU_CYCLE_1)
	s_cmp_lg_u32 s0, 0
	s_add_co_ci_u32 s93, s93, s97
	s_mul_u64 s[94:95], s[94:95], s[92:93]
	s_delay_alu instid0(SALU_CYCLE_1)
	s_mul_hi_u32 s97, s92, s95
	s_mul_i32 s96, s92, s95
	s_mul_hi_u32 s4, s92, s94
	s_mul_i32 s3, s93, s94
	s_add_nc_u64 s[96:97], s[4:5], s[96:97]
	s_mul_hi_u32 s0, s93, s94
	s_mul_hi_u32 s91, s93, s95
	s_add_co_u32 s3, s96, s3
	s_add_co_ci_u32 s4, s97, s0
	s_mul_i32 s94, s93, s95
	s_add_co_ci_u32 s95, s91, 0
	s_delay_alu instid0(SALU_CYCLE_1) | instskip(NEXT) | instid1(SALU_CYCLE_1)
	s_add_nc_u64 s[94:95], s[4:5], s[94:95]
	s_add_co_u32 s0, s92, s94
	s_cselect_b32 s3, -1, 0
	v_nop
	v_mul_hi_u32 v52, v28, s0
	s_cmp_lg_u32 s3, 0
	s_add_co_ci_u32 s4, s93, s95
	s_and_b64 s[92:93], s[0:1], s[72:73]
	v_mul_u64_e32 v[30:31], s[4:5], v[28:29]
	v_mul_u64_e32 v[26:27], s[92:93], v[32:33]
	;; [unrolled: 1-line block ×3, first 2 shown]
	s_delay_alu instid0(VALU_DEP_3) | instskip(NEXT) | instid1(VALU_DEP_1)
	v_add_nc_u64_e32 v[30:31], v[52:53], v[30:31]
	v_add_co_u32 v3, vcc_lo, v30, v26
	s_delay_alu instid0(VALU_DEP_2) | instskip(NEXT) | instid1(VALU_DEP_4)
	v_add_co_ci_u32_e32 v52, vcc_lo, v31, v27, vcc_lo
	v_add_co_ci_u32_e32 v39, vcc_lo, 0, v39, vcc_lo
	s_delay_alu instid0(VALU_DEP_1) | instskip(NEXT) | instid1(VALU_DEP_1)
	v_add_nc_u64_e32 v[26:27], v[52:53], v[38:39]
	v_mul_u64_e32 v[30:31], s[88:89], v[26:27]
	s_delay_alu instid0(VALU_DEP_1) | instskip(NEXT) | instid1(VALU_DEP_2)
	v_sub_nc_u32_e32 v3, v32, v31
	v_sub_co_u32 v17, vcc_lo, v28, v30
	s_delay_alu instid0(VALU_DEP_1) | instskip(NEXT) | instid1(VALU_DEP_3)
	v_sub_co_ci_u32_e64 v32, null, v32, v31, vcc_lo
	v_subrev_co_ci_u32_e64 v3, null, s89, v3, vcc_lo
	s_delay_alu instid0(VALU_DEP_3) | instskip(SKIP_1) | instid1(VALU_DEP_3)
	v_sub_co_u32 v28, s0, v17, s88
	v_add_nc_u64_e32 v[30:31], 1, v[26:27]
	v_subrev_co_ci_u32_e64 v3, null, 0, v3, s0
	s_delay_alu instid0(VALU_DEP_3) | instskip(SKIP_1) | instid1(VALU_DEP_3)
	v_cmp_le_u32_e32 vcc_lo, s88, v28
	v_cndmask_b32_e64 v28, 0, -1, vcc_lo
	v_cmp_le_u32_e32 vcc_lo, s89, v3
	v_cndmask_b32_e64 v29, 0, -1, vcc_lo
	;; [unrolled: 2-line block ×4, first 2 shown]
	v_cmp_eq_u32_e32 vcc_lo, s89, v3
	v_cndmask_b32_e32 v3, v29, v28, vcc_lo
	v_cmp_eq_u32_e32 vcc_lo, s89, v32
	v_add_nc_u64_e32 v[28:29], 2, v[26:27]
	v_cndmask_b32_e32 v17, v33, v17, vcc_lo
	s_delay_alu instid0(VALU_DEP_4) | instskip(NEXT) | instid1(VALU_DEP_2)
	v_cmp_ne_u32_e32 vcc_lo, 0, v3
	v_cmp_ne_u32_e64 s0, 0, v17
	s_delay_alu instid0(VALU_DEP_4) | instskip(NEXT) | instid1(VALU_DEP_1)
	v_dual_cndmask_b32 v3, v31, v29, vcc_lo :: v_dual_cndmask_b32 v17, v30, v28, vcc_lo
	v_dual_cndmask_b32 v3, v27, v3, s0 :: v_dual_bitop2_b32 v28, s2, v34 bitop3:0x14
	s_delay_alu instid0(VALU_DEP_1) | instskip(NEXT) | instid1(VALU_DEP_2)
	v_dual_cndmask_b32 v17, v26, v17, s0 :: v_dual_mov_b32 v29, v28
	v_xor_b32_e32 v27, v3, v28
	s_delay_alu instid0(VALU_DEP_2) | instskip(NEXT) | instid1(VALU_DEP_1)
	v_xor_b32_e32 v26, v17, v28
	v_sub_nc_u64_e32 v[26:27], v[26:27], v[28:29]
.LBB3_27:                               ;   in Loop: Header=BB3_5 Depth=1
	s_or_saveexec_b32 s0, s1
	v_cvt_f32_u32_e32 v17, s44
	s_xor_b32 exec_lo, exec_lo, s0
	s_cbranch_execz .LBB3_29
; %bb.28:                               ;   in Loop: Header=BB3_5 Depth=1
	s_delay_alu instid0(VALU_DEP_1) | instskip(SKIP_2) | instid1(TRANS32_DEP_1)
	v_rcp_iflag_f32_e32 v3, v17
	s_sub_co_i32 s1, 0, s44
	v_nop
	v_mul_f32_e32 v3, 0x4f7ffffe, v3
	s_delay_alu instid0(VALU_DEP_1) | instskip(NEXT) | instid1(VALU_DEP_1)
	v_cvt_u32_f32_e32 v3, v3
	v_mul_lo_u32 v26, s1, v3
	s_delay_alu instid0(VALU_DEP_1) | instskip(NEXT) | instid1(VALU_DEP_1)
	v_mul_hi_u32 v26, v3, v26
	v_add_nc_u32_e32 v3, v3, v26
	s_delay_alu instid0(VALU_DEP_1) | instskip(NEXT) | instid1(VALU_DEP_1)
	v_mul_hi_u32 v3, v44, v3
	v_mul_lo_u32 v26, v3, s44
	s_delay_alu instid0(VALU_DEP_1) | instskip(NEXT) | instid1(VALU_DEP_1)
	v_dual_add_nc_u32 v27, 1, v3 :: v_dual_sub_nc_u32 v26, v44, v26
	v_subrev_nc_u32_e32 v28, s44, v26
	v_cmp_le_u32_e32 vcc_lo, s44, v26
	s_delay_alu instid0(VALU_DEP_2) | instskip(NEXT) | instid1(VALU_DEP_1)
	v_dual_cndmask_b32 v26, v26, v28 :: v_dual_cndmask_b32 v3, v3, v27
	v_cmp_le_u32_e32 vcc_lo, s44, v26
	s_delay_alu instid0(VALU_DEP_2) | instskip(NEXT) | instid1(VALU_DEP_1)
	v_add_nc_u32_e32 v27, 1, v3
	v_dual_cndmask_b32 v26, v3, v27 :: v_dual_mov_b32 v27, v2
.LBB3_29:                               ;   in Loop: Header=BB3_5 Depth=1
	s_or_b32 exec_lo, exec_lo, s0
	s_delay_alu instid0(VALU_DEP_1) | instskip(SKIP_3) | instid1(VALU_DEP_3)
	v_mul_u64_e32 v[28:29], s[44:45], v[26:27]
	v_mul_u64_e32 v[26:27], s[16:17], v[26:27]
	v_or_b32_e32 v3, s45, v47
	s_mov_b32 s0, exec_lo
	v_sub_nc_u64_e32 v[28:29], v[6:7], v[28:29]
	s_delay_alu instid0(VALU_DEP_3) | instskip(NEXT) | instid1(VALU_DEP_2)
	v_lshl_add_u64 v[26:27], v[26:27], 3, s[42:43]
	v_add_nc_u64_e32 v[28:29], v[0:1], v[28:29]
	s_delay_alu instid0(VALU_DEP_1) | instskip(NEXT) | instid1(VALU_DEP_1)
	v_mul_u64_e32 v[28:29], s[18:19], v[28:29]
	v_lshl_add_u64 v[26:27], v[28:29], 3, v[26:27]
                                        ; implicit-def: $vgpr28_vgpr29
	global_load_b64 v[26:27], v[26:27], off
	s_wait_xcnt 0x0
	v_cmpx_ne_u64_e32 0, v[2:3]
	s_xor_b32 s1, exec_lo, s0
	s_cbranch_execz .LBB3_31
; %bb.30:                               ;   in Loop: Header=BB3_5 Depth=1
	s_ashr_i32 s2, s45, 31
	v_dual_mov_b32 v37, v36 :: v_dual_mov_b32 v31, v2
	s_mov_b32 s3, s2
	v_mov_b32_e32 v39, v2
	s_add_nc_u64 s[88:89], s[44:45], s[2:3]
	s_delay_alu instid0(VALU_DEP_2)
	v_add_nc_u64_e32 v[28:29], v[46:47], v[36:37]
	s_xor_b64 s[88:89], s[88:89], s[2:3]
	v_mov_b32_e32 v55, v2
	s_cvt_f32_u32 s0, s88
	s_cvt_f32_u32 s3, s89
	s_sub_nc_u64 s[94:95], 0, s[88:89]
	s_delay_alu instid0(VALU_DEP_2) | instskip(NEXT) | instid1(SALU_CYCLE_1)
	v_xor_b32_e32 v30, v28, v36
	s_fmamk_f32 s0, s3, 0x4f800000, s0
	v_xor_b32_e32 v38, v29, v36
	s_delay_alu instid0(SALU_CYCLE_2) | instskip(NEXT) | instid1(TRANS32_DEP_1)
	v_s_rcp_f32 s0, s0
	s_mul_f32 s0, s0, 0x5f7ffffc
	s_delay_alu instid0(SALU_CYCLE_3) | instskip(NEXT) | instid1(SALU_CYCLE_3)
	s_mul_f32 s3, s0, 0x2f800000
	s_trunc_f32 s3, s3
	s_delay_alu instid0(SALU_CYCLE_3) | instskip(SKIP_1) | instid1(SALU_CYCLE_2)
	s_fmamk_f32 s0, s3, 0xcf800000, s0
	s_cvt_u32_f32 s93, s3
	s_cvt_u32_f32 s92, s0
	s_delay_alu instid0(SALU_CYCLE_3) | instskip(NEXT) | instid1(SALU_CYCLE_1)
	s_mul_u64 s[96:97], s[94:95], s[92:93]
	s_mul_hi_u32 s99, s92, s97
	s_mul_i32 s98, s92, s97
	s_mul_hi_u32 s4, s92, s96
	s_mul_i32 s3, s93, s96
	s_add_nc_u64 s[98:99], s[4:5], s[98:99]
	s_mul_hi_u32 s0, s93, s96
	s_mul_hi_u32 s91, s93, s97
	s_add_co_u32 s3, s98, s3
	s_add_co_ci_u32 s4, s99, s0
	s_mul_i32 s96, s93, s97
	s_add_co_ci_u32 s97, s91, 0
	s_delay_alu instid0(SALU_CYCLE_1) | instskip(NEXT) | instid1(SALU_CYCLE_1)
	s_add_nc_u64 s[96:97], s[4:5], s[96:97]
	s_add_co_u32 s92, s92, s96
	s_cselect_b32 s0, -1, 0
	s_delay_alu instid0(SALU_CYCLE_1) | instskip(SKIP_1) | instid1(SALU_CYCLE_1)
	s_cmp_lg_u32 s0, 0
	s_add_co_ci_u32 s93, s93, s97
	s_mul_u64 s[94:95], s[94:95], s[92:93]
	s_delay_alu instid0(SALU_CYCLE_1)
	s_mul_hi_u32 s97, s92, s95
	s_mul_i32 s96, s92, s95
	s_mul_hi_u32 s4, s92, s94
	s_mul_i32 s3, s93, s94
	s_add_nc_u64 s[96:97], s[4:5], s[96:97]
	s_mul_hi_u32 s0, s93, s94
	s_mul_hi_u32 s91, s93, s95
	s_add_co_u32 s3, s96, s3
	s_add_co_ci_u32 s4, s97, s0
	s_mul_i32 s94, s93, s95
	s_add_co_ci_u32 s95, s91, 0
	s_delay_alu instid0(SALU_CYCLE_1) | instskip(NEXT) | instid1(SALU_CYCLE_1)
	s_add_nc_u64 s[94:95], s[4:5], s[94:95]
	s_add_co_u32 s0, s92, s94
	s_cselect_b32 s3, -1, 0
	v_nop
	v_mul_hi_u32 v54, v30, s0
	s_cmp_lg_u32 s3, 0
	s_add_co_ci_u32 s4, s93, s95
	s_and_b64 s[92:93], s[0:1], s[72:73]
	v_mul_u64_e32 v[32:33], s[4:5], v[30:31]
	v_mul_u64_e32 v[28:29], s[92:93], v[38:39]
	;; [unrolled: 1-line block ×3, first 2 shown]
	s_delay_alu instid0(VALU_DEP_3) | instskip(NEXT) | instid1(VALU_DEP_1)
	v_add_nc_u64_e32 v[32:33], v[54:55], v[32:33]
	v_add_co_u32 v3, vcc_lo, v32, v28
	s_delay_alu instid0(VALU_DEP_2) | instskip(NEXT) | instid1(VALU_DEP_4)
	v_add_co_ci_u32_e32 v54, vcc_lo, v33, v29, vcc_lo
	v_add_co_ci_u32_e32 v53, vcc_lo, 0, v53, vcc_lo
	s_delay_alu instid0(VALU_DEP_1) | instskip(NEXT) | instid1(VALU_DEP_1)
	v_add_nc_u64_e32 v[28:29], v[54:55], v[52:53]
	v_mul_u64_e32 v[32:33], s[88:89], v[28:29]
	s_delay_alu instid0(VALU_DEP_1) | instskip(NEXT) | instid1(VALU_DEP_2)
	v_sub_nc_u32_e32 v3, v38, v33
	v_sub_co_u32 v30, vcc_lo, v30, v32
	s_delay_alu instid0(VALU_DEP_1) | instskip(NEXT) | instid1(VALU_DEP_3)
	v_sub_co_ci_u32_e64 v35, null, v38, v33, vcc_lo
	v_subrev_co_ci_u32_e64 v3, null, s89, v3, vcc_lo
	s_delay_alu instid0(VALU_DEP_3) | instskip(NEXT) | instid1(VALU_DEP_1)
	v_sub_co_u32 v31, s0, v30, s88
	v_subrev_co_ci_u32_e64 v3, null, 0, v3, s0
	s_delay_alu instid0(VALU_DEP_2) | instskip(SKIP_1) | instid1(VALU_DEP_3)
	v_cmp_le_u32_e32 vcc_lo, s88, v31
	v_cndmask_b32_e64 v31, 0, -1, vcc_lo
	v_cmp_le_u32_e32 vcc_lo, s89, v3
	v_cndmask_b32_e64 v32, 0, -1, vcc_lo
	;; [unrolled: 2-line block ×4, first 2 shown]
	v_cmp_eq_u32_e32 vcc_lo, s89, v3
	v_cndmask_b32_e32 v3, v32, v31, vcc_lo
	v_cmp_eq_u32_e32 vcc_lo, s89, v35
	v_add_nc_u64_e32 v[30:31], 2, v[28:29]
	v_add_nc_u64_e32 v[32:33], 1, v[28:29]
	v_cndmask_b32_e32 v35, v38, v37, vcc_lo
	v_cmp_ne_u32_e32 vcc_lo, 0, v3
	s_delay_alu instid0(VALU_DEP_2) | instskip(NEXT) | instid1(VALU_DEP_4)
	v_cmp_ne_u32_e64 s0, 0, v35
	v_dual_cndmask_b32 v3, v33, v31, vcc_lo :: v_dual_cndmask_b32 v31, v32, v30, vcc_lo
	s_delay_alu instid0(VALU_DEP_1) | instskip(NEXT) | instid1(VALU_DEP_1)
	v_dual_cndmask_b32 v3, v29, v3, s0 :: v_dual_bitop2_b32 v30, s2, v36 bitop3:0x14
	v_dual_cndmask_b32 v28, v28, v31, s0 :: v_dual_mov_b32 v31, v30
	s_delay_alu instid0(VALU_DEP_2) | instskip(NEXT) | instid1(VALU_DEP_2)
	v_xor_b32_e32 v29, v3, v30
	v_xor_b32_e32 v28, v28, v30
	s_delay_alu instid0(VALU_DEP_1)
	v_sub_nc_u64_e32 v[28:29], v[28:29], v[30:31]
.LBB3_31:                               ;   in Loop: Header=BB3_5 Depth=1
	s_and_not1_saveexec_b32 s0, s1
	s_cbranch_execz .LBB3_33
; %bb.32:                               ;   in Loop: Header=BB3_5 Depth=1
	v_rcp_iflag_f32_e32 v3, v17
	s_sub_co_i32 s1, 0, s44
	v_nop
	s_delay_alu instid0(TRANS32_DEP_1) | instskip(NEXT) | instid1(VALU_DEP_1)
	v_mul_f32_e32 v3, 0x4f7ffffe, v3
	v_cvt_u32_f32_e32 v3, v3
	s_delay_alu instid0(VALU_DEP_1) | instskip(NEXT) | instid1(VALU_DEP_1)
	v_mul_lo_u32 v28, s1, v3
	v_mul_hi_u32 v28, v3, v28
	s_delay_alu instid0(VALU_DEP_1) | instskip(NEXT) | instid1(VALU_DEP_1)
	v_add_nc_u32_e32 v3, v3, v28
	v_mul_hi_u32 v3, v46, v3
	s_delay_alu instid0(VALU_DEP_1) | instskip(NEXT) | instid1(VALU_DEP_1)
	v_mul_lo_u32 v28, v3, s44
	v_dual_add_nc_u32 v29, 1, v3 :: v_dual_sub_nc_u32 v28, v46, v28
	s_delay_alu instid0(VALU_DEP_1) | instskip(SKIP_1) | instid1(VALU_DEP_2)
	v_subrev_nc_u32_e32 v30, s44, v28
	v_cmp_le_u32_e32 vcc_lo, s44, v28
	v_dual_cndmask_b32 v28, v28, v30 :: v_dual_cndmask_b32 v3, v3, v29
	s_delay_alu instid0(VALU_DEP_1) | instskip(NEXT) | instid1(VALU_DEP_2)
	v_cmp_le_u32_e32 vcc_lo, s44, v28
	v_add_nc_u32_e32 v29, 1, v3
	s_delay_alu instid0(VALU_DEP_1)
	v_dual_cndmask_b32 v28, v3, v29 :: v_dual_mov_b32 v29, v2
.LBB3_33:                               ;   in Loop: Header=BB3_5 Depth=1
	s_or_b32 exec_lo, exec_lo, s0
	s_delay_alu instid0(VALU_DEP_1) | instskip(SKIP_3) | instid1(VALU_DEP_3)
	v_mul_u64_e32 v[30:31], s[44:45], v[28:29]
	v_mul_u64_e32 v[28:29], s[16:17], v[28:29]
	v_or_b32_e32 v3, s45, v49
	s_mov_b32 s0, exec_lo
	v_sub_nc_u64_e32 v[30:31], v[8:9], v[30:31]
	s_delay_alu instid0(VALU_DEP_3) | instskip(NEXT) | instid1(VALU_DEP_2)
	v_lshl_add_u64 v[28:29], v[28:29], 3, s[42:43]
	v_add_nc_u64_e32 v[30:31], v[0:1], v[30:31]
	s_delay_alu instid0(VALU_DEP_1) | instskip(NEXT) | instid1(VALU_DEP_1)
	v_mul_u64_e32 v[30:31], s[18:19], v[30:31]
	v_lshl_add_u64 v[28:29], v[30:31], 3, v[28:29]
                                        ; implicit-def: $vgpr30_vgpr31
	global_load_b64 v[28:29], v[28:29], off
	s_wait_xcnt 0x0
	v_cmpx_ne_u64_e32 0, v[2:3]
	s_xor_b32 s1, exec_lo, s0
	s_cbranch_execz .LBB3_35
; %bb.34:                               ;   in Loop: Header=BB3_5 Depth=1
	s_ashr_i32 s2, s45, 31
	v_dual_mov_b32 v41, v40 :: v_dual_mov_b32 v33, v2
	s_mov_b32 s3, s2
	v_mov_b32_e32 v57, v2
	s_add_nc_u64 s[88:89], s[44:45], s[2:3]
	s_delay_alu instid0(VALU_DEP_2)
	v_add_nc_u64_e32 v[30:31], v[48:49], v[40:41]
	s_xor_b64 s[88:89], s[88:89], s[2:3]
	v_mov_b32_e32 v53, v2
	s_cvt_f32_u32 s0, s88
	s_cvt_f32_u32 s3, s89
	s_sub_nc_u64 s[94:95], 0, s[88:89]
	s_delay_alu instid0(VALU_DEP_2) | instskip(NEXT) | instid1(SALU_CYCLE_1)
	v_xor_b32_e32 v52, v31, v40
	s_fmamk_f32 s0, s3, 0x4f800000, s0
	v_xor_b32_e32 v32, v30, v40
	s_delay_alu instid0(SALU_CYCLE_2) | instskip(NEXT) | instid1(TRANS32_DEP_1)
	v_s_rcp_f32 s0, s0
	s_mul_f32 s0, s0, 0x5f7ffffc
	s_delay_alu instid0(SALU_CYCLE_3) | instskip(NEXT) | instid1(SALU_CYCLE_3)
	s_mul_f32 s3, s0, 0x2f800000
	s_trunc_f32 s3, s3
	s_delay_alu instid0(SALU_CYCLE_3) | instskip(SKIP_1) | instid1(SALU_CYCLE_2)
	s_fmamk_f32 s0, s3, 0xcf800000, s0
	s_cvt_u32_f32 s93, s3
	s_cvt_u32_f32 s92, s0
	s_delay_alu instid0(SALU_CYCLE_3) | instskip(NEXT) | instid1(SALU_CYCLE_1)
	s_mul_u64 s[96:97], s[94:95], s[92:93]
	s_mul_hi_u32 s99, s92, s97
	s_mul_i32 s98, s92, s97
	s_mul_hi_u32 s4, s92, s96
	s_mul_i32 s3, s93, s96
	s_add_nc_u64 s[98:99], s[4:5], s[98:99]
	s_mul_hi_u32 s0, s93, s96
	s_mul_hi_u32 s91, s93, s97
	s_add_co_u32 s3, s98, s3
	s_add_co_ci_u32 s4, s99, s0
	s_mul_i32 s96, s93, s97
	s_add_co_ci_u32 s97, s91, 0
	s_delay_alu instid0(SALU_CYCLE_1) | instskip(NEXT) | instid1(SALU_CYCLE_1)
	s_add_nc_u64 s[96:97], s[4:5], s[96:97]
	s_add_co_u32 s92, s92, s96
	s_cselect_b32 s0, -1, 0
	s_delay_alu instid0(SALU_CYCLE_1) | instskip(SKIP_1) | instid1(SALU_CYCLE_1)
	s_cmp_lg_u32 s0, 0
	s_add_co_ci_u32 s93, s93, s97
	s_mul_u64 s[94:95], s[94:95], s[92:93]
	s_delay_alu instid0(SALU_CYCLE_1)
	s_mul_hi_u32 s97, s92, s95
	s_mul_i32 s96, s92, s95
	s_mul_hi_u32 s4, s92, s94
	s_mul_i32 s3, s93, s94
	s_add_nc_u64 s[96:97], s[4:5], s[96:97]
	s_mul_hi_u32 s0, s93, s94
	s_mul_hi_u32 s91, s93, s95
	s_add_co_u32 s3, s96, s3
	s_add_co_ci_u32 s4, s97, s0
	s_mul_i32 s94, s93, s95
	s_add_co_ci_u32 s95, s91, 0
	s_delay_alu instid0(SALU_CYCLE_1) | instskip(NEXT) | instid1(SALU_CYCLE_1)
	s_add_nc_u64 s[94:95], s[4:5], s[94:95]
	s_add_co_u32 s0, s92, s94
	s_cselect_b32 s3, -1, 0
	v_nop
	v_mul_hi_u32 v56, v32, s0
	s_cmp_lg_u32 s3, 0
	s_add_co_ci_u32 s4, s93, s95
	s_and_b64 s[92:93], s[0:1], s[72:73]
	v_mul_u64_e32 v[38:39], s[4:5], v[32:33]
	v_mul_u64_e32 v[30:31], s[92:93], v[52:53]
	;; [unrolled: 1-line block ×3, first 2 shown]
	s_delay_alu instid0(VALU_DEP_3) | instskip(NEXT) | instid1(VALU_DEP_1)
	v_add_nc_u64_e32 v[38:39], v[56:57], v[38:39]
	v_add_co_u32 v3, vcc_lo, v38, v30
	s_delay_alu instid0(VALU_DEP_2) | instskip(NEXT) | instid1(VALU_DEP_4)
	v_add_co_ci_u32_e32 v56, vcc_lo, v39, v31, vcc_lo
	v_add_co_ci_u32_e32 v55, vcc_lo, 0, v55, vcc_lo
	s_delay_alu instid0(VALU_DEP_1) | instskip(NEXT) | instid1(VALU_DEP_1)
	v_add_nc_u64_e32 v[30:31], v[56:57], v[54:55]
	v_mul_u64_e32 v[38:39], s[88:89], v[30:31]
	s_delay_alu instid0(VALU_DEP_1) | instskip(NEXT) | instid1(VALU_DEP_2)
	v_sub_nc_u32_e32 v3, v52, v39
	v_sub_co_u32 v32, vcc_lo, v32, v38
	s_delay_alu instid0(VALU_DEP_1) | instskip(NEXT) | instid1(VALU_DEP_3)
	v_sub_co_ci_u32_e64 v35, null, v52, v39, vcc_lo
	v_subrev_co_ci_u32_e64 v3, null, s89, v3, vcc_lo
	s_delay_alu instid0(VALU_DEP_3) | instskip(SKIP_1) | instid1(VALU_DEP_3)
	v_sub_co_u32 v33, s0, v32, s88
	v_add_nc_u64_e32 v[38:39], 1, v[30:31]
	v_subrev_co_ci_u32_e64 v3, null, 0, v3, s0
	s_delay_alu instid0(VALU_DEP_3) | instskip(SKIP_1) | instid1(VALU_DEP_3)
	v_cmp_le_u32_e32 vcc_lo, s88, v33
	v_cndmask_b32_e64 v33, 0, -1, vcc_lo
	v_cmp_le_u32_e32 vcc_lo, s89, v3
	v_cndmask_b32_e64 v37, 0, -1, vcc_lo
	;; [unrolled: 2-line block ×4, first 2 shown]
	v_cmp_eq_u32_e32 vcc_lo, s89, v3
	v_cndmask_b32_e32 v3, v37, v33, vcc_lo
	v_cmp_eq_u32_e32 vcc_lo, s89, v35
	v_add_nc_u64_e32 v[32:33], 2, v[30:31]
	v_cndmask_b32_e32 v35, v43, v41, vcc_lo
	s_delay_alu instid0(VALU_DEP_4) | instskip(NEXT) | instid1(VALU_DEP_3)
	v_cmp_ne_u32_e32 vcc_lo, 0, v3
	v_dual_cndmask_b32 v3, v39, v33, vcc_lo :: v_dual_cndmask_b32 v33, v38, v32, vcc_lo
	s_delay_alu instid0(VALU_DEP_3) | instskip(NEXT) | instid1(VALU_DEP_1)
	v_cmp_ne_u32_e64 s0, 0, v35
	v_dual_cndmask_b32 v3, v31, v3, s0 :: v_dual_bitop2_b32 v32, s2, v40 bitop3:0x14
	s_delay_alu instid0(VALU_DEP_1) | instskip(NEXT) | instid1(VALU_DEP_2)
	v_dual_cndmask_b32 v30, v30, v33, s0 :: v_dual_mov_b32 v33, v32
	v_xor_b32_e32 v31, v3, v32
	s_delay_alu instid0(VALU_DEP_2) | instskip(NEXT) | instid1(VALU_DEP_1)
	v_xor_b32_e32 v30, v30, v32
	v_sub_nc_u64_e32 v[30:31], v[30:31], v[32:33]
.LBB3_35:                               ;   in Loop: Header=BB3_5 Depth=1
	s_and_not1_saveexec_b32 s0, s1
	s_cbranch_execz .LBB3_37
; %bb.36:                               ;   in Loop: Header=BB3_5 Depth=1
	v_rcp_iflag_f32_e32 v3, v17
	s_sub_co_i32 s1, 0, s44
	v_nop
	s_delay_alu instid0(TRANS32_DEP_1) | instskip(NEXT) | instid1(VALU_DEP_1)
	v_mul_f32_e32 v3, 0x4f7ffffe, v3
	v_cvt_u32_f32_e32 v3, v3
	s_delay_alu instid0(VALU_DEP_1) | instskip(NEXT) | instid1(VALU_DEP_1)
	v_mul_lo_u32 v30, s1, v3
	v_mul_hi_u32 v30, v3, v30
	s_delay_alu instid0(VALU_DEP_1) | instskip(NEXT) | instid1(VALU_DEP_1)
	v_add_nc_u32_e32 v3, v3, v30
	v_mul_hi_u32 v3, v48, v3
	s_delay_alu instid0(VALU_DEP_1) | instskip(NEXT) | instid1(VALU_DEP_1)
	v_mul_lo_u32 v30, v3, s44
	v_dual_add_nc_u32 v31, 1, v3 :: v_dual_sub_nc_u32 v30, v48, v30
	s_delay_alu instid0(VALU_DEP_1) | instskip(SKIP_1) | instid1(VALU_DEP_2)
	v_subrev_nc_u32_e32 v32, s44, v30
	v_cmp_le_u32_e32 vcc_lo, s44, v30
	v_dual_cndmask_b32 v30, v30, v32 :: v_dual_cndmask_b32 v3, v3, v31
	s_delay_alu instid0(VALU_DEP_1) | instskip(NEXT) | instid1(VALU_DEP_2)
	v_cmp_le_u32_e32 vcc_lo, s44, v30
	v_add_nc_u32_e32 v31, 1, v3
	s_delay_alu instid0(VALU_DEP_1)
	v_dual_cndmask_b32 v30, v3, v31 :: v_dual_mov_b32 v31, v2
.LBB3_37:                               ;   in Loop: Header=BB3_5 Depth=1
	s_or_b32 exec_lo, exec_lo, s0
	s_delay_alu instid0(VALU_DEP_1) | instskip(SKIP_3) | instid1(VALU_DEP_3)
	v_mul_u64_e32 v[32:33], s[44:45], v[30:31]
	v_mul_u64_e32 v[30:31], s[16:17], v[30:31]
	v_or_b32_e32 v3, s45, v51
	s_mov_b32 s0, exec_lo
	v_sub_nc_u64_e32 v[32:33], v[10:11], v[32:33]
	s_delay_alu instid0(VALU_DEP_3) | instskip(NEXT) | instid1(VALU_DEP_2)
	v_lshl_add_u64 v[30:31], v[30:31], 3, s[42:43]
	v_add_nc_u64_e32 v[32:33], v[0:1], v[32:33]
	s_delay_alu instid0(VALU_DEP_1) | instskip(NEXT) | instid1(VALU_DEP_1)
	v_mul_u64_e32 v[32:33], s[18:19], v[32:33]
	v_lshl_add_u64 v[30:31], v[32:33], 3, v[30:31]
	global_load_b64 v[38:39], v[30:31], off
                                        ; implicit-def: $vgpr30_vgpr31
	s_wait_xcnt 0x0
	v_cmpx_ne_u64_e32 0, v[2:3]
	s_xor_b32 s1, exec_lo, s0
	s_cbranch_execz .LBB3_39
; %bb.38:                               ;   in Loop: Header=BB3_5 Depth=1
	s_ashr_i32 s2, s45, 31
	v_dual_mov_b32 v43, v42 :: v_dual_mov_b32 v33, v2
	s_mov_b32 s3, s2
	v_mov_b32_e32 v59, v2
	s_add_nc_u64 s[88:89], s[44:45], s[2:3]
	s_delay_alu instid0(VALU_DEP_2)
	v_add_nc_u64_e32 v[30:31], v[50:51], v[42:43]
	s_xor_b64 s[88:89], s[88:89], s[2:3]
	v_mov_b32_e32 v55, v2
	s_cvt_f32_u32 s0, s88
	s_cvt_f32_u32 s3, s89
	s_sub_nc_u64 s[94:95], 0, s[88:89]
	s_delay_alu instid0(VALU_DEP_2) | instskip(NEXT) | instid1(SALU_CYCLE_1)
	v_xor_b32_e32 v32, v30, v42
	s_fmamk_f32 s0, s3, 0x4f800000, s0
	v_xor_b32_e32 v54, v31, v42
	s_delay_alu instid0(SALU_CYCLE_2) | instskip(NEXT) | instid1(TRANS32_DEP_1)
	v_s_rcp_f32 s0, s0
	s_mul_f32 s0, s0, 0x5f7ffffc
	s_delay_alu instid0(SALU_CYCLE_3) | instskip(NEXT) | instid1(SALU_CYCLE_3)
	s_mul_f32 s3, s0, 0x2f800000
	s_trunc_f32 s3, s3
	s_delay_alu instid0(SALU_CYCLE_3) | instskip(SKIP_1) | instid1(SALU_CYCLE_2)
	s_fmamk_f32 s0, s3, 0xcf800000, s0
	s_cvt_u32_f32 s93, s3
	s_cvt_u32_f32 s92, s0
	s_delay_alu instid0(SALU_CYCLE_3) | instskip(NEXT) | instid1(SALU_CYCLE_1)
	s_mul_u64 s[96:97], s[94:95], s[92:93]
	s_mul_hi_u32 s99, s92, s97
	s_mul_i32 s98, s92, s97
	s_mul_hi_u32 s4, s92, s96
	s_mul_i32 s3, s93, s96
	s_add_nc_u64 s[98:99], s[4:5], s[98:99]
	s_mul_hi_u32 s0, s93, s96
	s_mul_hi_u32 s91, s93, s97
	s_add_co_u32 s3, s98, s3
	s_add_co_ci_u32 s4, s99, s0
	s_mul_i32 s96, s93, s97
	s_add_co_ci_u32 s97, s91, 0
	s_delay_alu instid0(SALU_CYCLE_1) | instskip(NEXT) | instid1(SALU_CYCLE_1)
	s_add_nc_u64 s[96:97], s[4:5], s[96:97]
	s_add_co_u32 s92, s92, s96
	s_cselect_b32 s0, -1, 0
	s_delay_alu instid0(SALU_CYCLE_1) | instskip(SKIP_1) | instid1(SALU_CYCLE_1)
	s_cmp_lg_u32 s0, 0
	s_add_co_ci_u32 s93, s93, s97
	s_mul_u64 s[94:95], s[94:95], s[92:93]
	s_delay_alu instid0(SALU_CYCLE_1)
	s_mul_hi_u32 s97, s92, s95
	s_mul_i32 s96, s92, s95
	s_mul_hi_u32 s4, s92, s94
	s_mul_i32 s3, s93, s94
	s_add_nc_u64 s[96:97], s[4:5], s[96:97]
	s_mul_hi_u32 s0, s93, s94
	s_mul_hi_u32 s91, s93, s95
	s_add_co_u32 s3, s96, s3
	s_add_co_ci_u32 s4, s97, s0
	s_mul_i32 s94, s93, s95
	s_add_co_ci_u32 s95, s91, 0
	s_delay_alu instid0(SALU_CYCLE_1) | instskip(NEXT) | instid1(SALU_CYCLE_1)
	s_add_nc_u64 s[94:95], s[4:5], s[94:95]
	s_add_co_u32 s0, s92, s94
	s_cselect_b32 s3, -1, 0
	v_nop
	v_mul_hi_u32 v58, v32, s0
	s_cmp_lg_u32 s3, 0
	s_add_co_ci_u32 s4, s93, s95
	s_and_b64 s[92:93], s[0:1], s[72:73]
	v_mul_u64_e32 v[52:53], s[4:5], v[32:33]
	v_mul_u64_e32 v[30:31], s[92:93], v[54:55]
	;; [unrolled: 1-line block ×3, first 2 shown]
	s_delay_alu instid0(VALU_DEP_3) | instskip(NEXT) | instid1(VALU_DEP_1)
	v_add_nc_u64_e32 v[52:53], v[58:59], v[52:53]
	v_add_co_u32 v3, vcc_lo, v52, v30
	s_delay_alu instid0(VALU_DEP_2) | instskip(NEXT) | instid1(VALU_DEP_4)
	v_add_co_ci_u32_e32 v58, vcc_lo, v53, v31, vcc_lo
	v_add_co_ci_u32_e32 v57, vcc_lo, 0, v57, vcc_lo
	s_delay_alu instid0(VALU_DEP_1) | instskip(NEXT) | instid1(VALU_DEP_1)
	v_add_nc_u64_e32 v[30:31], v[58:59], v[56:57]
	v_mul_u64_e32 v[52:53], s[88:89], v[30:31]
	s_delay_alu instid0(VALU_DEP_1) | instskip(NEXT) | instid1(VALU_DEP_2)
	v_sub_nc_u32_e32 v3, v54, v53
	v_sub_co_u32 v17, vcc_lo, v32, v52
	s_delay_alu instid0(VALU_DEP_1) | instskip(NEXT) | instid1(VALU_DEP_3)
	v_sub_co_ci_u32_e64 v35, null, v54, v53, vcc_lo
	v_subrev_co_ci_u32_e64 v3, null, s89, v3, vcc_lo
	s_delay_alu instid0(VALU_DEP_3) | instskip(SKIP_1) | instid1(VALU_DEP_3)
	v_sub_co_u32 v32, s0, v17, s88
	v_add_nc_u64_e32 v[52:53], 1, v[30:31]
	v_subrev_co_ci_u32_e64 v3, null, 0, v3, s0
	s_delay_alu instid0(VALU_DEP_3) | instskip(SKIP_1) | instid1(VALU_DEP_3)
	v_cmp_le_u32_e32 vcc_lo, s88, v32
	v_cndmask_b32_e64 v32, 0, -1, vcc_lo
	v_cmp_le_u32_e32 vcc_lo, s89, v3
	v_cndmask_b32_e64 v33, 0, -1, vcc_lo
	;; [unrolled: 2-line block ×4, first 2 shown]
	v_cmp_eq_u32_e32 vcc_lo, s89, v3
	v_cndmask_b32_e32 v3, v33, v32, vcc_lo
	v_cmp_eq_u32_e32 vcc_lo, s89, v35
	v_add_nc_u64_e32 v[32:33], 2, v[30:31]
	v_cndmask_b32_e32 v17, v37, v17, vcc_lo
	s_delay_alu instid0(VALU_DEP_4) | instskip(NEXT) | instid1(VALU_DEP_2)
	v_cmp_ne_u32_e32 vcc_lo, 0, v3
	v_cmp_ne_u32_e64 s0, 0, v17
	s_delay_alu instid0(VALU_DEP_4) | instskip(NEXT) | instid1(VALU_DEP_1)
	v_dual_cndmask_b32 v3, v53, v33, vcc_lo :: v_dual_cndmask_b32 v17, v52, v32, vcc_lo
	v_dual_cndmask_b32 v3, v31, v3, s0 :: v_dual_bitop2_b32 v32, s2, v42 bitop3:0x14
	s_delay_alu instid0(VALU_DEP_1) | instskip(NEXT) | instid1(VALU_DEP_2)
	v_dual_cndmask_b32 v17, v30, v17, s0 :: v_dual_mov_b32 v33, v32
	v_xor_b32_e32 v31, v3, v32
	s_delay_alu instid0(VALU_DEP_2) | instskip(NEXT) | instid1(VALU_DEP_1)
	v_xor_b32_e32 v30, v17, v32
                                        ; implicit-def: $vgpr17
	v_sub_nc_u64_e32 v[30:31], v[30:31], v[32:33]
.LBB3_39:                               ;   in Loop: Header=BB3_5 Depth=1
	s_and_not1_saveexec_b32 s0, s1
	s_cbranch_execz .LBB3_41
; %bb.40:                               ;   in Loop: Header=BB3_5 Depth=1
	v_rcp_iflag_f32_e32 v3, v17
	s_sub_co_i32 s1, 0, s44
	v_nop
	s_delay_alu instid0(TRANS32_DEP_1) | instskip(NEXT) | instid1(VALU_DEP_1)
	v_mul_f32_e32 v3, 0x4f7ffffe, v3
	v_cvt_u32_f32_e32 v3, v3
	s_delay_alu instid0(VALU_DEP_1) | instskip(NEXT) | instid1(VALU_DEP_1)
	v_mul_lo_u32 v17, s1, v3
	v_mul_hi_u32 v17, v3, v17
	s_delay_alu instid0(VALU_DEP_1) | instskip(NEXT) | instid1(VALU_DEP_1)
	v_add_nc_u32_e32 v3, v3, v17
	v_mul_hi_u32 v3, v50, v3
	s_delay_alu instid0(VALU_DEP_1) | instskip(NEXT) | instid1(VALU_DEP_1)
	v_mul_lo_u32 v17, v3, s44
	v_dual_add_nc_u32 v30, 1, v3 :: v_dual_sub_nc_u32 v17, v50, v17
	s_delay_alu instid0(VALU_DEP_1) | instskip(SKIP_1) | instid1(VALU_DEP_2)
	v_subrev_nc_u32_e32 v31, s44, v17
	v_cmp_le_u32_e32 vcc_lo, s44, v17
	v_dual_cndmask_b32 v17, v17, v31, vcc_lo :: v_dual_mov_b32 v31, v2
	s_delay_alu instid0(VALU_DEP_4) | instskip(NEXT) | instid1(VALU_DEP_2)
	v_cndmask_b32_e32 v3, v3, v30, vcc_lo
	v_cmp_le_u32_e32 vcc_lo, s44, v17
	s_delay_alu instid0(VALU_DEP_2) | instskip(NEXT) | instid1(VALU_DEP_1)
	v_add_nc_u32_e32 v30, 1, v3
	v_cndmask_b32_e32 v30, v3, v30, vcc_lo
.LBB3_41:                               ;   in Loop: Header=BB3_5 Depth=1
	s_or_b32 exec_lo, exec_lo, s0
	s_delay_alu instid0(VALU_DEP_1) | instskip(SKIP_3) | instid1(VALU_DEP_3)
	v_mul_u64_e32 v[32:33], s[44:45], v[30:31]
	v_mul_u64_e32 v[30:31], s[16:17], v[30:31]
	v_or_b32_e32 v3, s67, v45
	s_mov_b32 s0, exec_lo
	v_sub_nc_u64_e32 v[32:33], v[12:13], v[32:33]
	s_delay_alu instid0(VALU_DEP_3) | instskip(NEXT) | instid1(VALU_DEP_2)
	v_lshl_add_u64 v[30:31], v[30:31], 3, s[42:43]
	v_add_nc_u64_e32 v[32:33], v[0:1], v[32:33]
	s_delay_alu instid0(VALU_DEP_1) | instskip(NEXT) | instid1(VALU_DEP_1)
	v_mul_u64_e32 v[32:33], s[18:19], v[32:33]
	v_lshl_add_u64 v[30:31], v[32:33], 3, v[30:31]
	global_load_b64 v[32:33], v[30:31], off
                                        ; implicit-def: $vgpr30_vgpr31
	s_wait_xcnt 0x0
	v_cmpx_ne_u64_e32 0, v[2:3]
	s_xor_b32 s1, exec_lo, s0
	s_cbranch_execz .LBB3_43
; %bb.42:                               ;   in Loop: Header=BB3_5 Depth=1
	s_ashr_i32 s2, s67, 31
	v_mov_b32_e32 v35, v34
	s_mov_b32 s3, s2
	v_mov_b32_e32 v59, v2
	s_add_nc_u64 s[88:89], s[66:67], s[2:3]
	s_delay_alu instid0(VALU_DEP_2)
	v_add_nc_u64_e32 v[30:31], v[44:45], v[34:35]
	s_xor_b64 s[88:89], s[88:89], s[2:3]
	v_mov_b32_e32 v45, v2
	s_cvt_f32_u32 s0, s88
	s_cvt_f32_u32 s3, s89
	s_sub_nc_u64 s[94:95], 0, s[88:89]
	s_delay_alu instid0(VALU_DEP_2) | instskip(NEXT) | instid1(SALU_CYCLE_1)
	v_dual_mov_b32 v55, v2 :: v_dual_bitop2_b32 v54, v31, v34 bitop3:0x14
	s_fmamk_f32 s0, s3, 0x4f800000, s0
	v_xor_b32_e32 v44, v30, v34
	v_xor_b32_e32 v34, s2, v34
	s_delay_alu instid0(SALU_CYCLE_1) | instskip(NEXT) | instid1(TRANS32_DEP_1)
	v_s_rcp_f32 s0, s0
	s_mul_f32 s0, s0, 0x5f7ffffc
	s_delay_alu instid0(SALU_CYCLE_3) | instskip(NEXT) | instid1(SALU_CYCLE_3)
	s_mul_f32 s3, s0, 0x2f800000
	s_trunc_f32 s3, s3
	s_delay_alu instid0(SALU_CYCLE_3) | instskip(SKIP_1) | instid1(SALU_CYCLE_2)
	s_fmamk_f32 s0, s3, 0xcf800000, s0
	s_cvt_u32_f32 s93, s3
	s_cvt_u32_f32 s92, s0
	s_delay_alu instid0(SALU_CYCLE_3) | instskip(NEXT) | instid1(SALU_CYCLE_1)
	s_mul_u64 s[96:97], s[94:95], s[92:93]
	s_mul_hi_u32 s99, s92, s97
	s_mul_i32 s98, s92, s97
	s_mul_hi_u32 s4, s92, s96
	s_mul_i32 s3, s93, s96
	s_add_nc_u64 s[98:99], s[4:5], s[98:99]
	s_mul_hi_u32 s0, s93, s96
	s_mul_hi_u32 s91, s93, s97
	s_add_co_u32 s3, s98, s3
	s_add_co_ci_u32 s4, s99, s0
	s_mul_i32 s96, s93, s97
	s_add_co_ci_u32 s97, s91, 0
	s_delay_alu instid0(SALU_CYCLE_1) | instskip(NEXT) | instid1(SALU_CYCLE_1)
	s_add_nc_u64 s[96:97], s[4:5], s[96:97]
	s_add_co_u32 s92, s92, s96
	s_cselect_b32 s0, -1, 0
	s_delay_alu instid0(SALU_CYCLE_1) | instskip(SKIP_1) | instid1(SALU_CYCLE_1)
	s_cmp_lg_u32 s0, 0
	s_add_co_ci_u32 s93, s93, s97
	s_mul_u64 s[94:95], s[94:95], s[92:93]
	s_delay_alu instid0(SALU_CYCLE_1)
	s_mul_hi_u32 s97, s92, s95
	s_mul_i32 s96, s92, s95
	s_mul_hi_u32 s4, s92, s94
	s_mul_i32 s3, s93, s94
	s_add_nc_u64 s[96:97], s[4:5], s[96:97]
	s_mul_hi_u32 s0, s93, s94
	s_mul_hi_u32 s91, s93, s95
	s_add_co_u32 s3, s96, s3
	s_add_co_ci_u32 s4, s97, s0
	s_mul_i32 s94, s93, s95
	s_add_co_ci_u32 s95, s91, 0
	s_delay_alu instid0(SALU_CYCLE_1) | instskip(NEXT) | instid1(SALU_CYCLE_1)
	s_add_nc_u64 s[94:95], s[4:5], s[94:95]
	s_add_co_u32 s0, s92, s94
	s_cselect_b32 s3, -1, 0
	v_nop
	v_mul_hi_u32 v58, v44, s0
	s_cmp_lg_u32 s3, 0
	s_add_co_ci_u32 s4, s93, s95
	s_and_b64 s[92:93], s[0:1], s[72:73]
	v_mul_u64_e32 v[52:53], s[4:5], v[44:45]
	v_mul_u64_e32 v[30:31], s[92:93], v[54:55]
	;; [unrolled: 1-line block ×3, first 2 shown]
	s_delay_alu instid0(VALU_DEP_3) | instskip(NEXT) | instid1(VALU_DEP_1)
	v_add_nc_u64_e32 v[52:53], v[58:59], v[52:53]
	v_add_co_u32 v3, vcc_lo, v52, v30
	s_delay_alu instid0(VALU_DEP_2) | instskip(NEXT) | instid1(VALU_DEP_4)
	v_add_co_ci_u32_e32 v58, vcc_lo, v53, v31, vcc_lo
	v_add_co_ci_u32_e32 v57, vcc_lo, 0, v57, vcc_lo
	s_delay_alu instid0(VALU_DEP_1) | instskip(NEXT) | instid1(VALU_DEP_1)
	v_add_nc_u64_e32 v[30:31], v[58:59], v[56:57]
	v_mul_u64_e32 v[52:53], s[88:89], v[30:31]
	s_delay_alu instid0(VALU_DEP_1) | instskip(SKIP_1) | instid1(VALU_DEP_3)
	v_sub_co_u32 v17, vcc_lo, v44, v52
	v_add_nc_u64_e32 v[44:45], 2, v[30:31]
	v_sub_nc_u32_e32 v3, v54, v53
	v_sub_co_ci_u32_e64 v37, null, v54, v53, vcc_lo
	s_delay_alu instid0(VALU_DEP_4) | instskip(NEXT) | instid1(VALU_DEP_3)
	v_sub_co_u32 v35, s0, v17, s88
	v_subrev_co_ci_u32_e64 v3, null, s89, v3, vcc_lo
	v_add_nc_u64_e32 v[52:53], 1, v[30:31]
	s_delay_alu instid0(VALU_DEP_3) | instskip(NEXT) | instid1(VALU_DEP_3)
	v_cmp_le_u32_e32 vcc_lo, s88, v35
	v_subrev_co_ci_u32_e64 v3, null, 0, v3, s0
	v_cndmask_b32_e64 v35, 0, -1, vcc_lo
	s_delay_alu instid0(VALU_DEP_2)
	v_cmp_le_u32_e32 vcc_lo, s89, v3
	v_cndmask_b32_e64 v41, 0, -1, vcc_lo
	v_cmp_le_u32_e32 vcc_lo, s88, v17
	v_cndmask_b32_e64 v17, 0, -1, vcc_lo
	;; [unrolled: 2-line block ×3, first 2 shown]
	v_cmp_eq_u32_e32 vcc_lo, s89, v3
	v_cndmask_b32_e32 v3, v41, v35, vcc_lo
	v_cmp_eq_u32_e32 vcc_lo, s89, v37
	s_delay_alu instid0(VALU_DEP_4) | instskip(NEXT) | instid1(VALU_DEP_3)
	v_cndmask_b32_e32 v17, v43, v17, vcc_lo
	v_cmp_ne_u32_e32 vcc_lo, 0, v3
	s_delay_alu instid0(VALU_DEP_2) | instskip(SKIP_1) | instid1(VALU_DEP_1)
	v_cmp_ne_u32_e64 s0, 0, v17
	v_dual_cndmask_b32 v3, v53, v45, vcc_lo :: v_dual_cndmask_b32 v17, v52, v44, vcc_lo
                                        ; implicit-def: $vgpr44_vgpr45
	v_dual_cndmask_b32 v3, v31, v3, s0 :: v_dual_cndmask_b32 v17, v30, v17, s0
	s_delay_alu instid0(VALU_DEP_1) | instskip(NEXT) | instid1(VALU_DEP_2)
	v_dual_mov_b32 v35, v34 :: v_dual_bitop2_b32 v31, v3, v34 bitop3:0x14
	v_xor_b32_e32 v30, v17, v34
	s_delay_alu instid0(VALU_DEP_1)
	v_sub_nc_u64_e32 v[30:31], v[30:31], v[34:35]
.LBB3_43:                               ;   in Loop: Header=BB3_5 Depth=1
	s_or_saveexec_b32 s0, s1
	v_cvt_f32_u32_e32 v17, s66
	s_xor_b32 exec_lo, exec_lo, s0
	s_cbranch_execz .LBB3_45
; %bb.44:                               ;   in Loop: Header=BB3_5 Depth=1
	s_delay_alu instid0(VALU_DEP_1) | instskip(SKIP_2) | instid1(TRANS32_DEP_1)
	v_rcp_iflag_f32_e32 v3, v17
	s_sub_co_i32 s1, 0, s66
	v_nop
	v_mul_f32_e32 v3, 0x4f7ffffe, v3
	s_delay_alu instid0(VALU_DEP_1) | instskip(NEXT) | instid1(VALU_DEP_1)
	v_cvt_u32_f32_e32 v3, v3
	v_mul_lo_u32 v30, s1, v3
	s_delay_alu instid0(VALU_DEP_1) | instskip(NEXT) | instid1(VALU_DEP_1)
	v_mul_hi_u32 v30, v3, v30
	v_add_nc_u32_e32 v3, v3, v30
	s_delay_alu instid0(VALU_DEP_1) | instskip(NEXT) | instid1(VALU_DEP_1)
	v_mul_hi_u32 v3, v44, v3
	v_mul_lo_u32 v30, v3, s66
	s_delay_alu instid0(VALU_DEP_1) | instskip(NEXT) | instid1(VALU_DEP_1)
	v_sub_nc_u32_e32 v30, v44, v30
	v_subrev_nc_u32_e32 v34, s66, v30
	v_cmp_le_u32_e32 vcc_lo, s66, v30
	s_delay_alu instid0(VALU_DEP_2) | instskip(NEXT) | instid1(VALU_DEP_1)
	v_dual_cndmask_b32 v30, v30, v34 :: v_dual_add_nc_u32 v31, 1, v3
	v_cndmask_b32_e32 v3, v3, v31, vcc_lo
	s_delay_alu instid0(VALU_DEP_2) | instskip(NEXT) | instid1(VALU_DEP_2)
	v_cmp_le_u32_e32 vcc_lo, s66, v30
	v_add_nc_u32_e32 v31, 1, v3
	s_delay_alu instid0(VALU_DEP_1)
	v_dual_cndmask_b32 v30, v3, v31 :: v_dual_mov_b32 v31, v2
.LBB3_45:                               ;   in Loop: Header=BB3_5 Depth=1
	s_or_b32 exec_lo, exec_lo, s0
	v_or_b32_e32 v3, s67, v47
                                        ; implicit-def: $vgpr34_vgpr35
	s_mov_b32 s0, exec_lo
	s_delay_alu instid0(VALU_DEP_1)
	v_cmpx_ne_u64_e32 0, v[2:3]
	s_xor_b32 s1, exec_lo, s0
	s_cbranch_execz .LBB3_47
; %bb.46:                               ;   in Loop: Header=BB3_5 Depth=1
	s_ashr_i32 s2, s67, 31
	v_dual_mov_b32 v37, v36 :: v_dual_mov_b32 v45, v2
	s_mov_b32 s3, s2
	v_mov_b32_e32 v57, v2
	s_add_nc_u64 s[88:89], s[66:67], s[2:3]
	s_delay_alu instid0(VALU_DEP_2)
	v_add_nc_u64_e32 v[34:35], v[46:47], v[36:37]
	s_xor_b64 s[88:89], s[88:89], s[2:3]
	v_mov_b32_e32 v53, v2
	s_cvt_f32_u32 s0, s88
	s_cvt_f32_u32 s3, s89
	s_sub_nc_u64 s[94:95], 0, s[88:89]
	s_delay_alu instid0(VALU_DEP_2) | instskip(NEXT) | instid1(SALU_CYCLE_1)
	v_xor_b32_e32 v52, v35, v36
	s_fmamk_f32 s0, s3, 0x4f800000, s0
	v_xor_b32_e32 v44, v34, v36
	v_xor_b32_e32 v36, s2, v36
	s_delay_alu instid0(SALU_CYCLE_1) | instskip(NEXT) | instid1(TRANS32_DEP_1)
	v_s_rcp_f32 s0, s0
	s_mul_f32 s0, s0, 0x5f7ffffc
	s_delay_alu instid0(SALU_CYCLE_3) | instskip(NEXT) | instid1(SALU_CYCLE_3)
	s_mul_f32 s3, s0, 0x2f800000
	s_trunc_f32 s3, s3
	s_delay_alu instid0(SALU_CYCLE_3) | instskip(SKIP_1) | instid1(SALU_CYCLE_2)
	s_fmamk_f32 s0, s3, 0xcf800000, s0
	s_cvt_u32_f32 s93, s3
	s_cvt_u32_f32 s92, s0
	s_delay_alu instid0(SALU_CYCLE_3) | instskip(NEXT) | instid1(SALU_CYCLE_1)
	s_mul_u64 s[96:97], s[94:95], s[92:93]
	s_mul_hi_u32 s99, s92, s97
	s_mul_i32 s98, s92, s97
	s_mul_hi_u32 s4, s92, s96
	s_mul_i32 s3, s93, s96
	s_add_nc_u64 s[98:99], s[4:5], s[98:99]
	s_mul_hi_u32 s0, s93, s96
	s_mul_hi_u32 s91, s93, s97
	s_add_co_u32 s3, s98, s3
	s_add_co_ci_u32 s4, s99, s0
	s_mul_i32 s96, s93, s97
	s_add_co_ci_u32 s97, s91, 0
	s_delay_alu instid0(SALU_CYCLE_1) | instskip(NEXT) | instid1(SALU_CYCLE_1)
	s_add_nc_u64 s[96:97], s[4:5], s[96:97]
	s_add_co_u32 s92, s92, s96
	s_cselect_b32 s0, -1, 0
	s_delay_alu instid0(SALU_CYCLE_1) | instskip(SKIP_1) | instid1(SALU_CYCLE_1)
	s_cmp_lg_u32 s0, 0
	s_add_co_ci_u32 s93, s93, s97
	s_mul_u64 s[94:95], s[94:95], s[92:93]
	s_delay_alu instid0(SALU_CYCLE_1)
	s_mul_hi_u32 s97, s92, s95
	s_mul_i32 s96, s92, s95
	s_mul_hi_u32 s4, s92, s94
	s_mul_i32 s3, s93, s94
	s_add_nc_u64 s[96:97], s[4:5], s[96:97]
	s_mul_hi_u32 s0, s93, s94
	s_mul_hi_u32 s91, s93, s95
	s_add_co_u32 s3, s96, s3
	s_add_co_ci_u32 s4, s97, s0
	s_mul_i32 s94, s93, s95
	s_add_co_ci_u32 s95, s91, 0
	s_delay_alu instid0(SALU_CYCLE_1) | instskip(NEXT) | instid1(SALU_CYCLE_1)
	s_add_nc_u64 s[94:95], s[4:5], s[94:95]
	s_add_co_u32 s0, s92, s94
	s_cselect_b32 s3, -1, 0
	v_nop
	v_mul_hi_u32 v56, v44, s0
	s_cmp_lg_u32 s3, 0
	s_add_co_ci_u32 s4, s93, s95
	s_and_b64 s[92:93], s[0:1], s[72:73]
	v_mul_u64_e32 v[46:47], s[4:5], v[44:45]
	v_mul_u64_e32 v[34:35], s[92:93], v[52:53]
	;; [unrolled: 1-line block ×3, first 2 shown]
	s_delay_alu instid0(VALU_DEP_3) | instskip(NEXT) | instid1(VALU_DEP_1)
	v_add_nc_u64_e32 v[46:47], v[56:57], v[46:47]
	v_add_co_u32 v3, vcc_lo, v46, v34
	s_delay_alu instid0(VALU_DEP_2) | instskip(NEXT) | instid1(VALU_DEP_4)
	v_add_co_ci_u32_e32 v56, vcc_lo, v47, v35, vcc_lo
	v_add_co_ci_u32_e32 v55, vcc_lo, 0, v55, vcc_lo
	s_delay_alu instid0(VALU_DEP_1) | instskip(NEXT) | instid1(VALU_DEP_1)
	v_add_nc_u64_e32 v[34:35], v[56:57], v[54:55]
	v_mul_u64_e32 v[46:47], s[88:89], v[34:35]
	s_delay_alu instid0(VALU_DEP_1) | instskip(NEXT) | instid1(VALU_DEP_2)
	v_sub_nc_u32_e32 v3, v52, v47
	v_sub_co_u32 v37, vcc_lo, v44, v46
	s_delay_alu instid0(VALU_DEP_1) | instskip(NEXT) | instid1(VALU_DEP_3)
	v_sub_co_ci_u32_e64 v43, null, v52, v47, vcc_lo
	v_subrev_co_ci_u32_e64 v3, null, s89, v3, vcc_lo
	s_delay_alu instid0(VALU_DEP_3) | instskip(SKIP_1) | instid1(VALU_DEP_3)
	v_sub_co_u32 v41, s0, v37, s88
	v_add_nc_u64_e32 v[46:47], 1, v[34:35]
	v_subrev_co_ci_u32_e64 v3, null, 0, v3, s0
	s_delay_alu instid0(VALU_DEP_3) | instskip(SKIP_1) | instid1(VALU_DEP_3)
	v_cmp_le_u32_e32 vcc_lo, s88, v41
	v_cndmask_b32_e64 v41, 0, -1, vcc_lo
	v_cmp_le_u32_e32 vcc_lo, s89, v3
	v_cndmask_b32_e64 v44, 0, -1, vcc_lo
	;; [unrolled: 2-line block ×4, first 2 shown]
	v_cmp_eq_u32_e32 vcc_lo, s89, v3
	v_cndmask_b32_e32 v3, v44, v41, vcc_lo
	v_cmp_eq_u32_e32 vcc_lo, s89, v43
	v_add_nc_u64_e32 v[44:45], 2, v[34:35]
	v_cndmask_b32_e32 v37, v52, v37, vcc_lo
	s_delay_alu instid0(VALU_DEP_4) | instskip(NEXT) | instid1(VALU_DEP_2)
	v_cmp_ne_u32_e32 vcc_lo, 0, v3
	v_cmp_ne_u32_e64 s0, 0, v37
	s_delay_alu instid0(VALU_DEP_4) | instskip(NEXT) | instid1(VALU_DEP_1)
	v_dual_cndmask_b32 v3, v47, v45, vcc_lo :: v_dual_cndmask_b32 v37, v46, v44, vcc_lo
                                        ; implicit-def: $vgpr46_vgpr47
	v_dual_cndmask_b32 v3, v35, v3, s0 :: v_dual_cndmask_b32 v34, v34, v37, s0
	s_delay_alu instid0(VALU_DEP_1) | instskip(NEXT) | instid1(VALU_DEP_2)
	v_dual_mov_b32 v37, v36 :: v_dual_bitop2_b32 v35, v3, v36 bitop3:0x14
	v_xor_b32_e32 v34, v34, v36
	s_delay_alu instid0(VALU_DEP_1)
	v_sub_nc_u64_e32 v[34:35], v[34:35], v[36:37]
.LBB3_47:                               ;   in Loop: Header=BB3_5 Depth=1
	s_and_not1_saveexec_b32 s0, s1
	s_cbranch_execz .LBB3_49
; %bb.48:                               ;   in Loop: Header=BB3_5 Depth=1
	v_rcp_iflag_f32_e32 v3, v17
	s_sub_co_i32 s1, 0, s66
	v_nop
	s_delay_alu instid0(TRANS32_DEP_1) | instskip(NEXT) | instid1(VALU_DEP_1)
	v_mul_f32_e32 v3, 0x4f7ffffe, v3
	v_cvt_u32_f32_e32 v3, v3
	s_delay_alu instid0(VALU_DEP_1) | instskip(NEXT) | instid1(VALU_DEP_1)
	v_mul_lo_u32 v34, s1, v3
	v_mul_hi_u32 v34, v3, v34
	s_delay_alu instid0(VALU_DEP_1) | instskip(NEXT) | instid1(VALU_DEP_1)
	v_add_nc_u32_e32 v3, v3, v34
	v_mul_hi_u32 v3, v46, v3
	s_delay_alu instid0(VALU_DEP_1) | instskip(NEXT) | instid1(VALU_DEP_1)
	v_mul_lo_u32 v34, v3, s66
	v_dual_add_nc_u32 v35, 1, v3 :: v_dual_sub_nc_u32 v34, v46, v34
	s_delay_alu instid0(VALU_DEP_1) | instskip(SKIP_1) | instid1(VALU_DEP_2)
	v_subrev_nc_u32_e32 v36, s66, v34
	v_cmp_le_u32_e32 vcc_lo, s66, v34
	v_dual_cndmask_b32 v34, v34, v36 :: v_dual_cndmask_b32 v3, v3, v35
	s_delay_alu instid0(VALU_DEP_1) | instskip(NEXT) | instid1(VALU_DEP_2)
	v_cmp_le_u32_e32 vcc_lo, s66, v34
	v_add_nc_u32_e32 v35, 1, v3
	s_delay_alu instid0(VALU_DEP_1)
	v_dual_cndmask_b32 v34, v3, v35 :: v_dual_mov_b32 v35, v2
.LBB3_49:                               ;   in Loop: Header=BB3_5 Depth=1
	s_or_b32 exec_lo, exec_lo, s0
	v_or_b32_e32 v3, s67, v49
                                        ; implicit-def: $vgpr36_vgpr37
	s_mov_b32 s0, exec_lo
	s_delay_alu instid0(VALU_DEP_1)
	v_cmpx_ne_u64_e32 0, v[2:3]
	s_xor_b32 s1, exec_lo, s0
	s_cbranch_execz .LBB3_51
; %bb.50:                               ;   in Loop: Header=BB3_5 Depth=1
	s_ashr_i32 s2, s67, 31
	v_dual_mov_b32 v41, v40 :: v_dual_mov_b32 v45, v2
	s_mov_b32 s3, s2
	v_mov_b32_e32 v55, v2
	s_add_nc_u64 s[88:89], s[66:67], s[2:3]
	s_delay_alu instid0(VALU_DEP_2)
	v_add_nc_u64_e32 v[36:37], v[48:49], v[40:41]
	s_xor_b64 s[88:89], s[88:89], s[2:3]
	v_mov_b32_e32 v49, v2
	s_cvt_f32_u32 s0, s88
	s_cvt_f32_u32 s3, s89
	s_sub_nc_u64 s[94:95], 0, s[88:89]
	s_delay_alu instid0(VALU_DEP_2) | instskip(NEXT) | instid1(SALU_CYCLE_1)
	v_xor_b32_e32 v44, v36, v40
	s_fmamk_f32 s0, s3, 0x4f800000, s0
	v_xor_b32_e32 v48, v37, v40
	v_xor_b32_e32 v40, s2, v40
	s_delay_alu instid0(SALU_CYCLE_1) | instskip(NEXT) | instid1(TRANS32_DEP_1)
	v_s_rcp_f32 s0, s0
	s_mul_f32 s0, s0, 0x5f7ffffc
	s_delay_alu instid0(SALU_CYCLE_3) | instskip(NEXT) | instid1(SALU_CYCLE_3)
	s_mul_f32 s3, s0, 0x2f800000
	s_trunc_f32 s3, s3
	s_delay_alu instid0(SALU_CYCLE_3) | instskip(SKIP_1) | instid1(SALU_CYCLE_2)
	s_fmamk_f32 s0, s3, 0xcf800000, s0
	s_cvt_u32_f32 s93, s3
	s_cvt_u32_f32 s92, s0
	s_delay_alu instid0(SALU_CYCLE_3) | instskip(NEXT) | instid1(SALU_CYCLE_1)
	s_mul_u64 s[96:97], s[94:95], s[92:93]
	s_mul_hi_u32 s99, s92, s97
	s_mul_i32 s98, s92, s97
	s_mul_hi_u32 s4, s92, s96
	s_mul_i32 s3, s93, s96
	s_add_nc_u64 s[98:99], s[4:5], s[98:99]
	s_mul_hi_u32 s0, s93, s96
	s_mul_hi_u32 s91, s93, s97
	s_add_co_u32 s3, s98, s3
	s_add_co_ci_u32 s4, s99, s0
	s_mul_i32 s96, s93, s97
	s_add_co_ci_u32 s97, s91, 0
	s_delay_alu instid0(SALU_CYCLE_1) | instskip(NEXT) | instid1(SALU_CYCLE_1)
	s_add_nc_u64 s[96:97], s[4:5], s[96:97]
	s_add_co_u32 s92, s92, s96
	s_cselect_b32 s0, -1, 0
	s_delay_alu instid0(SALU_CYCLE_1) | instskip(SKIP_1) | instid1(SALU_CYCLE_1)
	s_cmp_lg_u32 s0, 0
	s_add_co_ci_u32 s93, s93, s97
	s_mul_u64 s[94:95], s[94:95], s[92:93]
	s_delay_alu instid0(SALU_CYCLE_1)
	s_mul_hi_u32 s97, s92, s95
	s_mul_i32 s96, s92, s95
	s_mul_hi_u32 s4, s92, s94
	s_mul_i32 s3, s93, s94
	s_add_nc_u64 s[96:97], s[4:5], s[96:97]
	s_mul_hi_u32 s0, s93, s94
	s_mul_hi_u32 s91, s93, s95
	s_add_co_u32 s3, s96, s3
	s_add_co_ci_u32 s4, s97, s0
	s_mul_i32 s94, s93, s95
	s_add_co_ci_u32 s95, s91, 0
	s_delay_alu instid0(SALU_CYCLE_1) | instskip(NEXT) | instid1(SALU_CYCLE_1)
	s_add_nc_u64 s[94:95], s[4:5], s[94:95]
	s_add_co_u32 s0, s92, s94
	s_cselect_b32 s3, -1, 0
	v_nop
	v_mul_hi_u32 v54, v44, s0
	s_cmp_lg_u32 s3, 0
	s_add_co_ci_u32 s4, s93, s95
	s_and_b64 s[92:93], s[0:1], s[72:73]
	v_mul_u64_e32 v[46:47], s[4:5], v[44:45]
	v_mul_u64_e32 v[36:37], s[92:93], v[48:49]
	;; [unrolled: 1-line block ×3, first 2 shown]
	s_delay_alu instid0(VALU_DEP_3) | instskip(NEXT) | instid1(VALU_DEP_1)
	v_add_nc_u64_e32 v[46:47], v[54:55], v[46:47]
	v_add_co_u32 v3, vcc_lo, v46, v36
	s_delay_alu instid0(VALU_DEP_2) | instskip(NEXT) | instid1(VALU_DEP_4)
	v_add_co_ci_u32_e32 v54, vcc_lo, v47, v37, vcc_lo
	v_add_co_ci_u32_e32 v53, vcc_lo, 0, v53, vcc_lo
	s_delay_alu instid0(VALU_DEP_1) | instskip(NEXT) | instid1(VALU_DEP_1)
	v_add_nc_u64_e32 v[36:37], v[54:55], v[52:53]
	v_mul_u64_e32 v[46:47], s[88:89], v[36:37]
	s_delay_alu instid0(VALU_DEP_1) | instskip(NEXT) | instid1(VALU_DEP_2)
	v_sub_nc_u32_e32 v3, v48, v47
	v_sub_co_u32 v41, vcc_lo, v44, v46
	s_delay_alu instid0(VALU_DEP_1) | instskip(NEXT) | instid1(VALU_DEP_3)
	v_sub_co_ci_u32_e64 v48, null, v48, v47, vcc_lo
	v_subrev_co_ci_u32_e64 v3, null, s89, v3, vcc_lo
	s_delay_alu instid0(VALU_DEP_3) | instskip(SKIP_1) | instid1(VALU_DEP_3)
	v_sub_co_u32 v43, s0, v41, s88
	v_add_nc_u64_e32 v[46:47], 1, v[36:37]
	v_subrev_co_ci_u32_e64 v3, null, 0, v3, s0
	s_delay_alu instid0(VALU_DEP_3) | instskip(SKIP_1) | instid1(VALU_DEP_3)
	v_cmp_le_u32_e32 vcc_lo, s88, v43
	v_cndmask_b32_e64 v43, 0, -1, vcc_lo
	v_cmp_le_u32_e32 vcc_lo, s89, v3
	v_cndmask_b32_e64 v44, 0, -1, vcc_lo
	;; [unrolled: 2-line block ×4, first 2 shown]
	v_cmp_eq_u32_e32 vcc_lo, s89, v3
	v_cndmask_b32_e32 v3, v44, v43, vcc_lo
	v_cmp_eq_u32_e32 vcc_lo, s89, v48
	v_add_nc_u64_e32 v[44:45], 2, v[36:37]
	v_cndmask_b32_e32 v41, v49, v41, vcc_lo
	s_delay_alu instid0(VALU_DEP_4) | instskip(NEXT) | instid1(VALU_DEP_2)
	v_cmp_ne_u32_e32 vcc_lo, 0, v3
                                        ; implicit-def: $vgpr48_vgpr49
	v_cmp_ne_u32_e64 s0, 0, v41
	s_delay_alu instid0(VALU_DEP_4) | instskip(NEXT) | instid1(VALU_DEP_1)
	v_dual_cndmask_b32 v3, v47, v45, vcc_lo :: v_dual_cndmask_b32 v41, v46, v44, vcc_lo
	v_dual_cndmask_b32 v3, v37, v3, s0 :: v_dual_cndmask_b32 v36, v36, v41, s0
	s_delay_alu instid0(VALU_DEP_1) | instskip(NEXT) | instid1(VALU_DEP_2)
	v_dual_mov_b32 v41, v40 :: v_dual_bitop2_b32 v37, v3, v40 bitop3:0x14
	v_xor_b32_e32 v36, v36, v40
	s_delay_alu instid0(VALU_DEP_1)
	v_sub_nc_u64_e32 v[36:37], v[36:37], v[40:41]
.LBB3_51:                               ;   in Loop: Header=BB3_5 Depth=1
	s_and_not1_saveexec_b32 s0, s1
	s_cbranch_execz .LBB3_53
; %bb.52:                               ;   in Loop: Header=BB3_5 Depth=1
	v_rcp_iflag_f32_e32 v3, v17
	s_sub_co_i32 s1, 0, s66
	v_nop
	s_delay_alu instid0(TRANS32_DEP_1) | instskip(NEXT) | instid1(VALU_DEP_1)
	v_mul_f32_e32 v3, 0x4f7ffffe, v3
	v_cvt_u32_f32_e32 v3, v3
	s_delay_alu instid0(VALU_DEP_1) | instskip(NEXT) | instid1(VALU_DEP_1)
	v_mul_lo_u32 v36, s1, v3
	v_mul_hi_u32 v36, v3, v36
	s_delay_alu instid0(VALU_DEP_1) | instskip(NEXT) | instid1(VALU_DEP_1)
	v_add_nc_u32_e32 v3, v3, v36
	v_mul_hi_u32 v3, v48, v3
	s_delay_alu instid0(VALU_DEP_1) | instskip(NEXT) | instid1(VALU_DEP_1)
	v_mul_lo_u32 v36, v3, s66
	v_sub_nc_u32_e32 v36, v48, v36
	s_delay_alu instid0(VALU_DEP_1) | instskip(SKIP_1) | instid1(VALU_DEP_2)
	v_subrev_nc_u32_e32 v40, s66, v36
	v_cmp_le_u32_e32 vcc_lo, s66, v36
	v_dual_cndmask_b32 v36, v36, v40 :: v_dual_add_nc_u32 v37, 1, v3
	s_delay_alu instid0(VALU_DEP_1) | instskip(NEXT) | instid1(VALU_DEP_2)
	v_cndmask_b32_e32 v3, v3, v37, vcc_lo
	v_cmp_le_u32_e32 vcc_lo, s66, v36
	s_delay_alu instid0(VALU_DEP_2) | instskip(NEXT) | instid1(VALU_DEP_1)
	v_add_nc_u32_e32 v37, 1, v3
	v_dual_cndmask_b32 v36, v3, v37 :: v_dual_mov_b32 v37, v2
.LBB3_53:                               ;   in Loop: Header=BB3_5 Depth=1
	s_or_b32 exec_lo, exec_lo, s0
	v_or_b32_e32 v3, s67, v51
                                        ; implicit-def: $vgpr40_vgpr41
	s_mov_b32 s0, exec_lo
	s_delay_alu instid0(VALU_DEP_1)
	v_cmpx_ne_u64_e32 0, v[2:3]
	s_xor_b32 s1, exec_lo, s0
	s_cbranch_execz .LBB3_55
; %bb.54:                               ;   in Loop: Header=BB3_5 Depth=1
	s_ashr_i32 s2, s67, 31
	v_dual_mov_b32 v43, v42 :: v_dual_mov_b32 v45, v2
	s_mov_b32 s3, s2
	v_mov_b32_e32 v49, v2
	s_add_nc_u64 s[88:89], s[66:67], s[2:3]
	s_delay_alu instid0(VALU_DEP_2)
	v_add_nc_u64_e32 v[40:41], v[50:51], v[42:43]
	s_xor_b64 s[88:89], s[88:89], s[2:3]
	v_mov_b32_e32 v53, v2
	s_cvt_f32_u32 s0, s88
	s_cvt_f32_u32 s3, s89
	s_sub_nc_u64 s[94:95], 0, s[88:89]
	s_delay_alu instid0(VALU_DEP_2) | instskip(NEXT) | instid1(SALU_CYCLE_1)
	v_xor_b32_e32 v44, v40, v42
	s_fmamk_f32 s0, s3, 0x4f800000, s0
	v_xor_b32_e32 v48, v41, v42
	v_xor_b32_e32 v42, s2, v42
	s_delay_alu instid0(SALU_CYCLE_1) | instskip(NEXT) | instid1(TRANS32_DEP_1)
	v_s_rcp_f32 s0, s0
	s_mul_f32 s0, s0, 0x5f7ffffc
	s_delay_alu instid0(SALU_CYCLE_3) | instskip(NEXT) | instid1(SALU_CYCLE_3)
	s_mul_f32 s3, s0, 0x2f800000
	s_trunc_f32 s3, s3
	s_delay_alu instid0(SALU_CYCLE_3) | instskip(SKIP_1) | instid1(SALU_CYCLE_2)
	s_fmamk_f32 s0, s3, 0xcf800000, s0
	s_cvt_u32_f32 s93, s3
	s_cvt_u32_f32 s92, s0
	s_delay_alu instid0(SALU_CYCLE_3) | instskip(NEXT) | instid1(SALU_CYCLE_1)
	s_mul_u64 s[96:97], s[94:95], s[92:93]
	s_mul_hi_u32 s99, s92, s97
	s_mul_i32 s98, s92, s97
	s_mul_hi_u32 s4, s92, s96
	s_mul_i32 s3, s93, s96
	s_add_nc_u64 s[98:99], s[4:5], s[98:99]
	s_mul_hi_u32 s0, s93, s96
	s_mul_hi_u32 s91, s93, s97
	s_add_co_u32 s3, s98, s3
	s_add_co_ci_u32 s4, s99, s0
	s_mul_i32 s96, s93, s97
	s_add_co_ci_u32 s97, s91, 0
	s_delay_alu instid0(SALU_CYCLE_1) | instskip(NEXT) | instid1(SALU_CYCLE_1)
	s_add_nc_u64 s[96:97], s[4:5], s[96:97]
	s_add_co_u32 s92, s92, s96
	s_cselect_b32 s0, -1, 0
	s_delay_alu instid0(SALU_CYCLE_1) | instskip(SKIP_1) | instid1(SALU_CYCLE_1)
	s_cmp_lg_u32 s0, 0
	s_add_co_ci_u32 s93, s93, s97
	s_mul_u64 s[94:95], s[94:95], s[92:93]
	s_delay_alu instid0(SALU_CYCLE_1)
	s_mul_hi_u32 s97, s92, s95
	s_mul_i32 s96, s92, s95
	s_mul_hi_u32 s4, s92, s94
	s_mul_i32 s3, s93, s94
	s_add_nc_u64 s[96:97], s[4:5], s[96:97]
	s_mul_hi_u32 s0, s93, s94
	s_mul_hi_u32 s91, s93, s95
	s_add_co_u32 s3, s96, s3
	s_add_co_ci_u32 s4, s97, s0
	s_mul_i32 s94, s93, s95
	s_add_co_ci_u32 s95, s91, 0
	s_delay_alu instid0(SALU_CYCLE_1) | instskip(NEXT) | instid1(SALU_CYCLE_1)
	s_add_nc_u64 s[94:95], s[4:5], s[94:95]
	s_add_co_u32 s0, s92, s94
	s_cselect_b32 s3, -1, 0
	v_nop
	v_mul_hi_u32 v52, v44, s0
	s_cmp_lg_u32 s3, 0
	s_add_co_ci_u32 s4, s93, s95
	s_and_b64 s[92:93], s[0:1], s[72:73]
	v_mul_u64_e32 v[46:47], s[4:5], v[44:45]
	v_mul_u64_e32 v[40:41], s[92:93], v[48:49]
	;; [unrolled: 1-line block ×3, first 2 shown]
	s_delay_alu instid0(VALU_DEP_3) | instskip(NEXT) | instid1(VALU_DEP_1)
	v_add_nc_u64_e32 v[46:47], v[52:53], v[46:47]
	v_add_co_u32 v3, vcc_lo, v46, v40
	s_delay_alu instid0(VALU_DEP_2) | instskip(NEXT) | instid1(VALU_DEP_4)
	v_add_co_ci_u32_e32 v52, vcc_lo, v47, v41, vcc_lo
	v_add_co_ci_u32_e32 v51, vcc_lo, 0, v51, vcc_lo
	s_delay_alu instid0(VALU_DEP_1) | instskip(NEXT) | instid1(VALU_DEP_1)
	v_add_nc_u64_e32 v[40:41], v[52:53], v[50:51]
                                        ; implicit-def: $vgpr50_vgpr51
	v_mul_u64_e32 v[46:47], s[88:89], v[40:41]
	s_delay_alu instid0(VALU_DEP_1) | instskip(NEXT) | instid1(VALU_DEP_2)
	v_sub_nc_u32_e32 v3, v48, v47
	v_sub_co_u32 v17, vcc_lo, v44, v46
	s_delay_alu instid0(VALU_DEP_1) | instskip(NEXT) | instid1(VALU_DEP_3)
	v_sub_co_ci_u32_e64 v48, null, v48, v47, vcc_lo
	v_subrev_co_ci_u32_e64 v3, null, s89, v3, vcc_lo
	s_delay_alu instid0(VALU_DEP_3) | instskip(SKIP_1) | instid1(VALU_DEP_3)
	v_sub_co_u32 v43, s0, v17, s88
	v_add_nc_u64_e32 v[46:47], 1, v[40:41]
	v_subrev_co_ci_u32_e64 v3, null, 0, v3, s0
	s_delay_alu instid0(VALU_DEP_3) | instskip(SKIP_1) | instid1(VALU_DEP_3)
	v_cmp_le_u32_e32 vcc_lo, s88, v43
	v_cndmask_b32_e64 v43, 0, -1, vcc_lo
	v_cmp_le_u32_e32 vcc_lo, s89, v3
	v_cndmask_b32_e64 v44, 0, -1, vcc_lo
	v_cmp_le_u32_e32 vcc_lo, s88, v17
	v_cndmask_b32_e64 v17, 0, -1, vcc_lo
	v_cmp_le_u32_e32 vcc_lo, s89, v48
	v_cndmask_b32_e64 v49, 0, -1, vcc_lo
	v_cmp_eq_u32_e32 vcc_lo, s89, v3
	v_cndmask_b32_e32 v3, v44, v43, vcc_lo
	v_cmp_eq_u32_e32 vcc_lo, s89, v48
	v_add_nc_u64_e32 v[44:45], 2, v[40:41]
	v_cndmask_b32_e32 v17, v49, v17, vcc_lo
	s_delay_alu instid0(VALU_DEP_4) | instskip(NEXT) | instid1(VALU_DEP_2)
	v_cmp_ne_u32_e32 vcc_lo, 0, v3
	v_cmp_ne_u32_e64 s0, 0, v17
	s_delay_alu instid0(VALU_DEP_4) | instskip(NEXT) | instid1(VALU_DEP_1)
	v_dual_cndmask_b32 v3, v47, v45, vcc_lo :: v_dual_cndmask_b32 v17, v46, v44, vcc_lo
	v_dual_cndmask_b32 v3, v41, v3, s0 :: v_dual_cndmask_b32 v17, v40, v17, s0
	s_delay_alu instid0(VALU_DEP_1) | instskip(NEXT) | instid1(VALU_DEP_2)
	v_dual_mov_b32 v43, v42 :: v_dual_bitop2_b32 v41, v3, v42 bitop3:0x14
	v_xor_b32_e32 v40, v17, v42
                                        ; implicit-def: $vgpr17
	s_delay_alu instid0(VALU_DEP_1)
	v_sub_nc_u64_e32 v[40:41], v[40:41], v[42:43]
.LBB3_55:                               ;   in Loop: Header=BB3_5 Depth=1
	s_and_not1_saveexec_b32 s0, s1
	s_cbranch_execz .LBB3_57
; %bb.56:                               ;   in Loop: Header=BB3_5 Depth=1
	v_rcp_iflag_f32_e32 v3, v17
	s_sub_co_i32 s1, 0, s66
	v_nop
	s_delay_alu instid0(TRANS32_DEP_1) | instskip(NEXT) | instid1(VALU_DEP_1)
	v_mul_f32_e32 v3, 0x4f7ffffe, v3
	v_cvt_u32_f32_e32 v3, v3
	s_delay_alu instid0(VALU_DEP_1) | instskip(NEXT) | instid1(VALU_DEP_1)
	v_mul_lo_u32 v17, s1, v3
	v_mul_hi_u32 v17, v3, v17
	s_delay_alu instid0(VALU_DEP_1) | instskip(NEXT) | instid1(VALU_DEP_1)
	v_add_nc_u32_e32 v3, v3, v17
	v_mul_hi_u32 v3, v50, v3
	s_delay_alu instid0(VALU_DEP_1) | instskip(NEXT) | instid1(VALU_DEP_1)
	v_mul_lo_u32 v17, v3, s66
	v_sub_nc_u32_e32 v17, v50, v17
	s_delay_alu instid0(VALU_DEP_1) | instskip(SKIP_1) | instid1(VALU_DEP_2)
	v_subrev_nc_u32_e32 v41, s66, v17
	v_cmp_le_u32_e32 vcc_lo, s66, v17
	v_dual_cndmask_b32 v17, v17, v41 :: v_dual_add_nc_u32 v40, 1, v3
	s_delay_alu instid0(VALU_DEP_1) | instskip(NEXT) | instid1(VALU_DEP_2)
	v_dual_cndmask_b32 v3, v3, v40, vcc_lo :: v_dual_mov_b32 v41, v2
	v_cmp_le_u32_e32 vcc_lo, s66, v17
	s_delay_alu instid0(VALU_DEP_2) | instskip(NEXT) | instid1(VALU_DEP_1)
	v_add_nc_u32_e32 v40, 1, v3
	v_cndmask_b32_e32 v40, v3, v40, vcc_lo
.LBB3_57:                               ;   in Loop: Header=BB3_5 Depth=1
	s_or_b32 exec_lo, exec_lo, s0
	v_or_b32_e32 v3, s55, v1
                                        ; implicit-def: $vgpr42_vgpr43
	s_mov_b32 s0, exec_lo
	s_delay_alu instid0(VALU_DEP_1)
	v_cmpx_ne_u64_e32 0, v[2:3]
	s_xor_b32 s1, exec_lo, s0
	s_cbranch_execz .LBB3_59
; %bb.58:                               ;   in Loop: Header=BB3_5 Depth=1
	s_ashr_i32 s2, s55, 31
	v_dual_mov_b32 v17, v16 :: v_dual_mov_b32 v45, v2
	s_mov_b32 s3, s2
	v_mov_b32_e32 v53, v2
	s_add_nc_u64 s[88:89], s[54:55], s[2:3]
	s_delay_alu instid0(VALU_DEP_2)
	v_add_nc_u64_e32 v[42:43], v[0:1], v[16:17]
	s_xor_b64 s[88:89], s[88:89], s[2:3]
	v_mov_b32_e32 v49, v2
	s_cvt_f32_u32 s0, s88
	s_cvt_f32_u32 s3, s89
	s_sub_nc_u64 s[94:95], 0, s[88:89]
	s_delay_alu instid0(VALU_DEP_2) | instskip(NEXT) | instid1(SALU_CYCLE_1)
	v_xor_b32_e32 v48, v43, v16
	s_fmamk_f32 s0, s3, 0x4f800000, s0
	v_xor_b32_e32 v44, v42, v16
	s_delay_alu instid0(SALU_CYCLE_2) | instskip(NEXT) | instid1(TRANS32_DEP_1)
	v_s_rcp_f32 s0, s0
	s_mul_f32 s0, s0, 0x5f7ffffc
	s_delay_alu instid0(SALU_CYCLE_3) | instskip(NEXT) | instid1(SALU_CYCLE_3)
	s_mul_f32 s3, s0, 0x2f800000
	s_trunc_f32 s3, s3
	s_delay_alu instid0(SALU_CYCLE_3) | instskip(SKIP_1) | instid1(SALU_CYCLE_2)
	s_fmamk_f32 s0, s3, 0xcf800000, s0
	s_cvt_u32_f32 s93, s3
	s_cvt_u32_f32 s92, s0
	s_delay_alu instid0(SALU_CYCLE_3) | instskip(NEXT) | instid1(SALU_CYCLE_1)
	s_mul_u64 s[96:97], s[94:95], s[92:93]
	s_mul_hi_u32 s99, s92, s97
	s_mul_i32 s98, s92, s97
	s_mul_hi_u32 s4, s92, s96
	s_mul_i32 s3, s93, s96
	s_add_nc_u64 s[98:99], s[4:5], s[98:99]
	s_mul_hi_u32 s0, s93, s96
	s_mul_hi_u32 s91, s93, s97
	s_add_co_u32 s3, s98, s3
	s_add_co_ci_u32 s4, s99, s0
	s_mul_i32 s96, s93, s97
	s_add_co_ci_u32 s97, s91, 0
	s_delay_alu instid0(SALU_CYCLE_1) | instskip(NEXT) | instid1(SALU_CYCLE_1)
	s_add_nc_u64 s[96:97], s[4:5], s[96:97]
	s_add_co_u32 s92, s92, s96
	s_cselect_b32 s0, -1, 0
	s_delay_alu instid0(SALU_CYCLE_1) | instskip(SKIP_1) | instid1(SALU_CYCLE_1)
	s_cmp_lg_u32 s0, 0
	s_add_co_ci_u32 s93, s93, s97
	s_mul_u64 s[94:95], s[94:95], s[92:93]
	s_delay_alu instid0(SALU_CYCLE_1)
	s_mul_hi_u32 s97, s92, s95
	s_mul_i32 s96, s92, s95
	s_mul_hi_u32 s4, s92, s94
	s_mul_i32 s3, s93, s94
	s_add_nc_u64 s[96:97], s[4:5], s[96:97]
	s_mul_hi_u32 s0, s93, s94
	s_mul_hi_u32 s91, s93, s95
	s_add_co_u32 s3, s96, s3
	s_add_co_ci_u32 s4, s97, s0
	s_mul_i32 s94, s93, s95
	s_add_co_ci_u32 s95, s91, 0
	s_delay_alu instid0(SALU_CYCLE_1) | instskip(NEXT) | instid1(SALU_CYCLE_1)
	s_add_nc_u64 s[94:95], s[4:5], s[94:95]
	s_add_co_u32 s0, s92, s94
	s_cselect_b32 s3, -1, 0
	v_nop
	v_mul_hi_u32 v52, v44, s0
	s_cmp_lg_u32 s3, 0
	s_add_co_ci_u32 s4, s93, s95
	s_and_b64 s[92:93], s[0:1], s[72:73]
	v_mul_u64_e32 v[46:47], s[4:5], v[44:45]
	v_mul_u64_e32 v[42:43], s[92:93], v[48:49]
	;; [unrolled: 1-line block ×3, first 2 shown]
	s_delay_alu instid0(VALU_DEP_3) | instskip(NEXT) | instid1(VALU_DEP_1)
	v_add_nc_u64_e32 v[46:47], v[52:53], v[46:47]
	v_add_co_u32 v3, vcc_lo, v46, v42
	s_delay_alu instid0(VALU_DEP_2) | instskip(NEXT) | instid1(VALU_DEP_4)
	v_add_co_ci_u32_e32 v52, vcc_lo, v47, v43, vcc_lo
	v_add_co_ci_u32_e32 v51, vcc_lo, 0, v51, vcc_lo
	s_delay_alu instid0(VALU_DEP_1) | instskip(NEXT) | instid1(VALU_DEP_1)
	v_add_nc_u64_e32 v[42:43], v[52:53], v[50:51]
	v_mul_u64_e32 v[46:47], s[88:89], v[42:43]
	s_delay_alu instid0(VALU_DEP_1) | instskip(NEXT) | instid1(VALU_DEP_2)
	v_sub_nc_u32_e32 v3, v48, v47
	v_sub_co_u32 v17, vcc_lo, v44, v46
	s_delay_alu instid0(VALU_DEP_1) | instskip(NEXT) | instid1(VALU_DEP_3)
	v_sub_co_ci_u32_e64 v48, null, v48, v47, vcc_lo
	v_subrev_co_ci_u32_e64 v3, null, s89, v3, vcc_lo
	s_delay_alu instid0(VALU_DEP_3) | instskip(SKIP_1) | instid1(VALU_DEP_3)
	v_sub_co_u32 v44, s0, v17, s88
	v_add_nc_u64_e32 v[46:47], 1, v[42:43]
	v_subrev_co_ci_u32_e64 v3, null, 0, v3, s0
	s_delay_alu instid0(VALU_DEP_3) | instskip(SKIP_1) | instid1(VALU_DEP_3)
	v_cmp_le_u32_e32 vcc_lo, s88, v44
	v_cndmask_b32_e64 v44, 0, -1, vcc_lo
	v_cmp_le_u32_e32 vcc_lo, s89, v3
	v_cndmask_b32_e64 v45, 0, -1, vcc_lo
	;; [unrolled: 2-line block ×4, first 2 shown]
	v_cmp_eq_u32_e32 vcc_lo, s89, v3
	v_cndmask_b32_e32 v3, v45, v44, vcc_lo
	v_cmp_eq_u32_e32 vcc_lo, s89, v48
	v_add_nc_u64_e32 v[44:45], 2, v[42:43]
	v_cndmask_b32_e32 v17, v49, v17, vcc_lo
	s_delay_alu instid0(VALU_DEP_4) | instskip(NEXT) | instid1(VALU_DEP_2)
	v_cmp_ne_u32_e32 vcc_lo, 0, v3
	v_cmp_ne_u32_e64 s0, 0, v17
	s_delay_alu instid0(VALU_DEP_4) | instskip(NEXT) | instid1(VALU_DEP_1)
	v_dual_cndmask_b32 v3, v47, v45, vcc_lo :: v_dual_cndmask_b32 v17, v46, v44, vcc_lo
	v_dual_cndmask_b32 v3, v43, v3, s0 :: v_dual_bitop2_b32 v44, s2, v16 bitop3:0x14
	s_delay_alu instid0(VALU_DEP_1) | instskip(NEXT) | instid1(VALU_DEP_2)
	v_dual_cndmask_b32 v17, v42, v17, s0 :: v_dual_mov_b32 v45, v44
	v_xor_b32_e32 v43, v3, v44
	s_delay_alu instid0(VALU_DEP_2) | instskip(NEXT) | instid1(VALU_DEP_1)
	v_xor_b32_e32 v42, v17, v44
	v_sub_nc_u64_e32 v[42:43], v[42:43], v[44:45]
.LBB3_59:                               ;   in Loop: Header=BB3_5 Depth=1
	s_and_not1_saveexec_b32 s0, s1
	s_cbranch_execz .LBB3_61
; %bb.60:                               ;   in Loop: Header=BB3_5 Depth=1
	v_cvt_f32_u32_e32 v3, s54
	s_sub_co_i32 s1, 0, s54
	s_delay_alu instid0(VALU_DEP_1) | instskip(SKIP_1) | instid1(TRANS32_DEP_1)
	v_rcp_iflag_f32_e32 v3, v3
	v_nop
	v_mul_f32_e32 v3, 0x4f7ffffe, v3
	s_delay_alu instid0(VALU_DEP_1) | instskip(NEXT) | instid1(VALU_DEP_1)
	v_cvt_u32_f32_e32 v3, v3
	v_mul_lo_u32 v17, s1, v3
	s_delay_alu instid0(VALU_DEP_1) | instskip(NEXT) | instid1(VALU_DEP_1)
	v_mul_hi_u32 v17, v3, v17
	v_add_nc_u32_e32 v3, v3, v17
	s_delay_alu instid0(VALU_DEP_1) | instskip(NEXT) | instid1(VALU_DEP_1)
	v_mul_hi_u32 v3, v0, v3
	v_mul_lo_u32 v17, v3, s54
	s_delay_alu instid0(VALU_DEP_1) | instskip(NEXT) | instid1(VALU_DEP_1)
	v_dual_add_nc_u32 v42, 1, v3 :: v_dual_sub_nc_u32 v17, v0, v17
	v_subrev_nc_u32_e32 v43, s54, v17
	v_cmp_le_u32_e32 vcc_lo, s54, v17
	s_delay_alu instid0(VALU_DEP_2) | instskip(NEXT) | instid1(VALU_DEP_4)
	v_dual_cndmask_b32 v17, v17, v43, vcc_lo :: v_dual_mov_b32 v43, v2
	v_cndmask_b32_e32 v3, v3, v42, vcc_lo
	s_delay_alu instid0(VALU_DEP_2) | instskip(NEXT) | instid1(VALU_DEP_2)
	v_cmp_le_u32_e32 vcc_lo, s54, v17
	v_add_nc_u32_e32 v42, 1, v3
	s_delay_alu instid0(VALU_DEP_1)
	v_cndmask_b32_e32 v42, v3, v42, vcc_lo
.LBB3_61:                               ;   in Loop: Header=BB3_5 Depth=1
	s_or_b32 exec_lo, exec_lo, s0
	s_delay_alu instid0(VALU_DEP_1) | instskip(SKIP_1) | instid1(VALU_DEP_1)
	v_mad_nc_u64_u32 v[44:45], s82, v42, v[0:1]
	s_mov_b32 s0, exec_lo
	v_mad_u32 v3, s83, v42, v45
	s_delay_alu instid0(VALU_DEP_1) | instskip(SKIP_2) | instid1(VALU_DEP_3)
	v_mad_u32 v45, s82, v43, v3
	v_mul_u64_e32 v[42:43], s[20:21], v[42:43]
	v_or_b32_e32 v3, s59, v1
	v_mul_u64_e32 v[44:45], s[22:23], v[44:45]
	s_delay_alu instid0(VALU_DEP_3) | instskip(NEXT) | instid1(VALU_DEP_1)
	v_lshl_add_u64 v[42:43], v[42:43], 3, s[52:53]
	v_lshl_add_u64 v[42:43], v[44:45], 3, v[42:43]
	global_load_b64 v[44:45], v[42:43], off
                                        ; implicit-def: $vgpr42_vgpr43
	s_wait_xcnt 0x0
	v_cmpx_ne_u64_e32 0, v[2:3]
	s_xor_b32 s1, exec_lo, s0
	s_cbranch_execz .LBB3_63
; %bb.62:                               ;   in Loop: Header=BB3_5 Depth=1
	s_ashr_i32 s2, s59, 31
	v_dual_mov_b32 v17, v16 :: v_dual_mov_b32 v47, v2
	s_mov_b32 s3, s2
	v_mov_b32_e32 v55, v2
	s_add_nc_u64 s[88:89], s[58:59], s[2:3]
	s_delay_alu instid0(VALU_DEP_2)
	v_add_nc_u64_e32 v[42:43], v[0:1], v[16:17]
	s_xor_b64 s[88:89], s[88:89], s[2:3]
	v_mov_b32_e32 v51, v2
	s_cvt_f32_u32 s0, s88
	s_cvt_f32_u32 s3, s89
	s_sub_nc_u64 s[94:95], 0, s[88:89]
	s_delay_alu instid0(VALU_DEP_2) | instskip(NEXT) | instid1(SALU_CYCLE_1)
	v_xor_b32_e32 v46, v42, v16
	s_fmamk_f32 s0, s3, 0x4f800000, s0
	v_xor_b32_e32 v50, v43, v16
	s_delay_alu instid0(SALU_CYCLE_2) | instskip(NEXT) | instid1(TRANS32_DEP_1)
	v_s_rcp_f32 s0, s0
	s_mul_f32 s0, s0, 0x5f7ffffc
	s_delay_alu instid0(SALU_CYCLE_3) | instskip(NEXT) | instid1(SALU_CYCLE_3)
	s_mul_f32 s3, s0, 0x2f800000
	s_trunc_f32 s3, s3
	s_delay_alu instid0(SALU_CYCLE_3) | instskip(SKIP_1) | instid1(SALU_CYCLE_2)
	s_fmamk_f32 s0, s3, 0xcf800000, s0
	s_cvt_u32_f32 s93, s3
	s_cvt_u32_f32 s92, s0
	s_delay_alu instid0(SALU_CYCLE_3) | instskip(NEXT) | instid1(SALU_CYCLE_1)
	s_mul_u64 s[96:97], s[94:95], s[92:93]
	s_mul_hi_u32 s99, s92, s97
	s_mul_i32 s98, s92, s97
	s_mul_hi_u32 s4, s92, s96
	s_mul_i32 s3, s93, s96
	s_add_nc_u64 s[98:99], s[4:5], s[98:99]
	s_mul_hi_u32 s0, s93, s96
	s_mul_hi_u32 s91, s93, s97
	s_add_co_u32 s3, s98, s3
	s_add_co_ci_u32 s4, s99, s0
	s_mul_i32 s96, s93, s97
	s_add_co_ci_u32 s97, s91, 0
	s_delay_alu instid0(SALU_CYCLE_1) | instskip(NEXT) | instid1(SALU_CYCLE_1)
	s_add_nc_u64 s[96:97], s[4:5], s[96:97]
	s_add_co_u32 s92, s92, s96
	s_cselect_b32 s0, -1, 0
	s_delay_alu instid0(SALU_CYCLE_1) | instskip(SKIP_1) | instid1(SALU_CYCLE_1)
	s_cmp_lg_u32 s0, 0
	s_add_co_ci_u32 s93, s93, s97
	s_mul_u64 s[94:95], s[94:95], s[92:93]
	s_delay_alu instid0(SALU_CYCLE_1)
	s_mul_hi_u32 s97, s92, s95
	s_mul_i32 s96, s92, s95
	s_mul_hi_u32 s4, s92, s94
	s_mul_i32 s3, s93, s94
	s_add_nc_u64 s[96:97], s[4:5], s[96:97]
	s_mul_hi_u32 s0, s93, s94
	s_mul_hi_u32 s91, s93, s95
	s_add_co_u32 s3, s96, s3
	s_add_co_ci_u32 s4, s97, s0
	s_mul_i32 s94, s93, s95
	s_add_co_ci_u32 s95, s91, 0
	s_delay_alu instid0(SALU_CYCLE_1) | instskip(NEXT) | instid1(SALU_CYCLE_1)
	s_add_nc_u64 s[94:95], s[4:5], s[94:95]
	s_add_co_u32 s0, s92, s94
	s_cselect_b32 s3, -1, 0
	v_nop
	v_mul_hi_u32 v54, v46, s0
	s_cmp_lg_u32 s3, 0
	s_add_co_ci_u32 s4, s93, s95
	s_and_b64 s[92:93], s[0:1], s[72:73]
	v_mul_u64_e32 v[48:49], s[4:5], v[46:47]
	v_mul_u64_e32 v[42:43], s[92:93], v[50:51]
	;; [unrolled: 1-line block ×3, first 2 shown]
	s_delay_alu instid0(VALU_DEP_3) | instskip(NEXT) | instid1(VALU_DEP_1)
	v_add_nc_u64_e32 v[48:49], v[54:55], v[48:49]
	v_add_co_u32 v3, vcc_lo, v48, v42
	s_delay_alu instid0(VALU_DEP_2) | instskip(NEXT) | instid1(VALU_DEP_4)
	v_add_co_ci_u32_e32 v54, vcc_lo, v49, v43, vcc_lo
	v_add_co_ci_u32_e32 v53, vcc_lo, 0, v53, vcc_lo
	s_delay_alu instid0(VALU_DEP_1) | instskip(NEXT) | instid1(VALU_DEP_1)
	v_add_nc_u64_e32 v[42:43], v[54:55], v[52:53]
	v_mul_u64_e32 v[48:49], s[88:89], v[42:43]
	s_delay_alu instid0(VALU_DEP_1) | instskip(NEXT) | instid1(VALU_DEP_2)
	v_sub_nc_u32_e32 v3, v50, v49
	v_sub_co_u32 v17, vcc_lo, v46, v48
	s_delay_alu instid0(VALU_DEP_1) | instskip(NEXT) | instid1(VALU_DEP_3)
	v_sub_co_ci_u32_e64 v50, null, v50, v49, vcc_lo
	v_subrev_co_ci_u32_e64 v3, null, s89, v3, vcc_lo
	s_delay_alu instid0(VALU_DEP_3) | instskip(SKIP_1) | instid1(VALU_DEP_3)
	v_sub_co_u32 v46, s0, v17, s88
	v_add_nc_u64_e32 v[48:49], 1, v[42:43]
	v_subrev_co_ci_u32_e64 v3, null, 0, v3, s0
	s_delay_alu instid0(VALU_DEP_3) | instskip(SKIP_1) | instid1(VALU_DEP_3)
	v_cmp_le_u32_e32 vcc_lo, s88, v46
	v_cndmask_b32_e64 v46, 0, -1, vcc_lo
	v_cmp_le_u32_e32 vcc_lo, s89, v3
	v_cndmask_b32_e64 v47, 0, -1, vcc_lo
	;; [unrolled: 2-line block ×4, first 2 shown]
	v_cmp_eq_u32_e32 vcc_lo, s89, v3
	v_cndmask_b32_e32 v3, v47, v46, vcc_lo
	v_cmp_eq_u32_e32 vcc_lo, s89, v50
	v_add_nc_u64_e32 v[46:47], 2, v[42:43]
	v_cndmask_b32_e32 v17, v51, v17, vcc_lo
	s_delay_alu instid0(VALU_DEP_4) | instskip(NEXT) | instid1(VALU_DEP_2)
	v_cmp_ne_u32_e32 vcc_lo, 0, v3
	v_cmp_ne_u32_e64 s0, 0, v17
	s_delay_alu instid0(VALU_DEP_4) | instskip(NEXT) | instid1(VALU_DEP_1)
	v_dual_cndmask_b32 v3, v49, v47, vcc_lo :: v_dual_cndmask_b32 v17, v48, v46, vcc_lo
	v_dual_cndmask_b32 v3, v43, v3, s0 :: v_dual_bitop2_b32 v46, s2, v16 bitop3:0x14
	s_delay_alu instid0(VALU_DEP_2) | instskip(NEXT) | instid1(VALU_DEP_2)
	v_cndmask_b32_e64 v17, v42, v17, s0
	v_dual_mov_b32 v47, v46 :: v_dual_bitop2_b32 v43, v3, v46 bitop3:0x14
	s_delay_alu instid0(VALU_DEP_2) | instskip(NEXT) | instid1(VALU_DEP_1)
	v_xor_b32_e32 v42, v17, v46
	v_sub_nc_u64_e32 v[42:43], v[42:43], v[46:47]
.LBB3_63:                               ;   in Loop: Header=BB3_5 Depth=1
	s_and_not1_saveexec_b32 s0, s1
	s_cbranch_execz .LBB3_65
; %bb.64:                               ;   in Loop: Header=BB3_5 Depth=1
	v_cvt_f32_u32_e32 v3, s58
	s_sub_co_i32 s1, 0, s58
	s_delay_alu instid0(VALU_DEP_1) | instskip(SKIP_1) | instid1(TRANS32_DEP_1)
	v_rcp_iflag_f32_e32 v3, v3
	v_nop
	v_mul_f32_e32 v3, 0x4f7ffffe, v3
	s_delay_alu instid0(VALU_DEP_1) | instskip(NEXT) | instid1(VALU_DEP_1)
	v_cvt_u32_f32_e32 v3, v3
	v_mul_lo_u32 v17, s1, v3
	s_delay_alu instid0(VALU_DEP_1) | instskip(NEXT) | instid1(VALU_DEP_1)
	v_mul_hi_u32 v17, v3, v17
	v_add_nc_u32_e32 v3, v3, v17
	s_delay_alu instid0(VALU_DEP_1) | instskip(NEXT) | instid1(VALU_DEP_1)
	v_mul_hi_u32 v3, v0, v3
	v_mul_lo_u32 v17, v3, s58
	s_delay_alu instid0(VALU_DEP_1) | instskip(NEXT) | instid1(VALU_DEP_1)
	v_dual_add_nc_u32 v42, 1, v3 :: v_dual_sub_nc_u32 v17, v0, v17
	v_subrev_nc_u32_e32 v43, s58, v17
	v_cmp_le_u32_e32 vcc_lo, s58, v17
	s_delay_alu instid0(VALU_DEP_2) | instskip(NEXT) | instid1(VALU_DEP_4)
	v_dual_cndmask_b32 v17, v17, v43, vcc_lo :: v_dual_mov_b32 v43, v2
	v_cndmask_b32_e32 v3, v3, v42, vcc_lo
	s_delay_alu instid0(VALU_DEP_2) | instskip(NEXT) | instid1(VALU_DEP_2)
	v_cmp_le_u32_e32 vcc_lo, s58, v17
	v_add_nc_u32_e32 v42, 1, v3
	s_delay_alu instid0(VALU_DEP_1)
	v_cndmask_b32_e32 v42, v3, v42, vcc_lo
.LBB3_65:                               ;   in Loop: Header=BB3_5 Depth=1
	s_or_b32 exec_lo, exec_lo, s0
	v_or_b32_e32 v3, s63, v1
                                        ; implicit-def: $vgpr46_vgpr47
	s_mov_b32 s0, exec_lo
	s_delay_alu instid0(VALU_DEP_1)
	v_cmpx_ne_u64_e32 0, v[2:3]
	s_xor_b32 s1, exec_lo, s0
	s_cbranch_execnz .LBB3_67
; %bb.66:                               ;   in Loop: Header=BB3_5 Depth=1
	s_and_not1_saveexec_b32 s0, s1
	s_cbranch_execz .LBB3_2
	s_branch .LBB3_68
.LBB3_67:                               ;   in Loop: Header=BB3_5 Depth=1
	s_ashr_i32 s2, s63, 31
	v_dual_mov_b32 v17, v16 :: v_dual_mov_b32 v49, v2
	s_mov_b32 s3, s2
	v_mov_b32_e32 v57, v2
	s_add_nc_u64 s[88:89], s[62:63], s[2:3]
	s_delay_alu instid0(VALU_DEP_2)
	v_add_nc_u64_e32 v[46:47], v[0:1], v[16:17]
	s_xor_b64 s[88:89], s[88:89], s[2:3]
	v_mov_b32_e32 v53, v2
	s_cvt_f32_u32 s0, s88
	s_cvt_f32_u32 s3, s89
	s_sub_nc_u64 s[94:95], 0, s[88:89]
	s_delay_alu instid0(VALU_DEP_2) | instskip(NEXT) | instid1(SALU_CYCLE_1)
	v_xor_b32_e32 v52, v47, v16
	s_fmamk_f32 s0, s3, 0x4f800000, s0
	v_xor_b32_e32 v48, v46, v16
	v_xor_b32_e32 v16, s2, v16
	s_delay_alu instid0(SALU_CYCLE_1) | instskip(NEXT) | instid1(TRANS32_DEP_1)
	v_s_rcp_f32 s0, s0
	s_mul_f32 s0, s0, 0x5f7ffffc
	s_delay_alu instid0(SALU_CYCLE_3) | instskip(NEXT) | instid1(SALU_CYCLE_3)
	s_mul_f32 s3, s0, 0x2f800000
	s_trunc_f32 s3, s3
	s_delay_alu instid0(SALU_CYCLE_3) | instskip(SKIP_1) | instid1(SALU_CYCLE_2)
	s_fmamk_f32 s0, s3, 0xcf800000, s0
	s_cvt_u32_f32 s93, s3
	s_cvt_u32_f32 s92, s0
	s_delay_alu instid0(SALU_CYCLE_3) | instskip(NEXT) | instid1(SALU_CYCLE_1)
	s_mul_u64 s[96:97], s[94:95], s[92:93]
	s_mul_hi_u32 s99, s92, s97
	s_mul_i32 s98, s92, s97
	s_mul_hi_u32 s4, s92, s96
	s_mul_i32 s3, s93, s96
	s_add_nc_u64 s[98:99], s[4:5], s[98:99]
	s_mul_hi_u32 s0, s93, s96
	s_mul_hi_u32 s91, s93, s97
	s_add_co_u32 s3, s98, s3
	s_add_co_ci_u32 s4, s99, s0
	s_mul_i32 s96, s93, s97
	s_add_co_ci_u32 s97, s91, 0
	s_delay_alu instid0(SALU_CYCLE_1) | instskip(NEXT) | instid1(SALU_CYCLE_1)
	s_add_nc_u64 s[96:97], s[4:5], s[96:97]
	s_add_co_u32 s92, s92, s96
	s_cselect_b32 s0, -1, 0
	s_delay_alu instid0(SALU_CYCLE_1) | instskip(SKIP_1) | instid1(SALU_CYCLE_1)
	s_cmp_lg_u32 s0, 0
	s_add_co_ci_u32 s93, s93, s97
	s_mul_u64 s[94:95], s[94:95], s[92:93]
	s_delay_alu instid0(SALU_CYCLE_1)
	s_mul_hi_u32 s97, s92, s95
	s_mul_i32 s96, s92, s95
	s_mul_hi_u32 s4, s92, s94
	s_mul_i32 s3, s93, s94
	s_add_nc_u64 s[96:97], s[4:5], s[96:97]
	s_mul_hi_u32 s0, s93, s94
	s_mul_hi_u32 s91, s93, s95
	s_add_co_u32 s3, s96, s3
	s_add_co_ci_u32 s4, s97, s0
	s_mul_i32 s94, s93, s95
	s_add_co_ci_u32 s95, s91, 0
	s_delay_alu instid0(SALU_CYCLE_1) | instskip(NEXT) | instid1(SALU_CYCLE_1)
	s_add_nc_u64 s[94:95], s[4:5], s[94:95]
	s_add_co_u32 s0, s92, s94
	s_cselect_b32 s3, -1, 0
	v_nop
	v_mul_hi_u32 v56, v48, s0
	s_cmp_lg_u32 s3, 0
	s_add_co_ci_u32 s4, s93, s95
	s_and_b64 s[92:93], s[0:1], s[72:73]
	v_mul_u64_e32 v[50:51], s[4:5], v[48:49]
	v_mul_u64_e32 v[46:47], s[92:93], v[52:53]
	;; [unrolled: 1-line block ×3, first 2 shown]
	s_delay_alu instid0(VALU_DEP_3) | instskip(NEXT) | instid1(VALU_DEP_1)
	v_add_nc_u64_e32 v[50:51], v[56:57], v[50:51]
	v_add_co_u32 v3, vcc_lo, v50, v46
	s_delay_alu instid0(VALU_DEP_2) | instskip(NEXT) | instid1(VALU_DEP_4)
	v_add_co_ci_u32_e32 v56, vcc_lo, v51, v47, vcc_lo
	v_add_co_ci_u32_e32 v55, vcc_lo, 0, v55, vcc_lo
	s_delay_alu instid0(VALU_DEP_1) | instskip(NEXT) | instid1(VALU_DEP_1)
	v_add_nc_u64_e32 v[46:47], v[56:57], v[54:55]
	v_mul_u64_e32 v[50:51], s[88:89], v[46:47]
	s_delay_alu instid0(VALU_DEP_1) | instskip(NEXT) | instid1(VALU_DEP_2)
	v_sub_nc_u32_e32 v3, v52, v51
	v_sub_co_u32 v17, vcc_lo, v48, v50
	s_delay_alu instid0(VALU_DEP_1) | instskip(NEXT) | instid1(VALU_DEP_3)
	v_sub_co_ci_u32_e64 v52, null, v52, v51, vcc_lo
	v_subrev_co_ci_u32_e64 v3, null, s89, v3, vcc_lo
	s_delay_alu instid0(VALU_DEP_3) | instskip(SKIP_1) | instid1(VALU_DEP_3)
	v_sub_co_u32 v48, s0, v17, s88
	v_add_nc_u64_e32 v[50:51], 1, v[46:47]
	v_subrev_co_ci_u32_e64 v3, null, 0, v3, s0
	s_delay_alu instid0(VALU_DEP_3) | instskip(SKIP_1) | instid1(VALU_DEP_3)
	v_cmp_le_u32_e32 vcc_lo, s88, v48
	v_cndmask_b32_e64 v48, 0, -1, vcc_lo
	v_cmp_le_u32_e32 vcc_lo, s89, v3
	v_cndmask_b32_e64 v49, 0, -1, vcc_lo
	;; [unrolled: 2-line block ×4, first 2 shown]
	v_cmp_eq_u32_e32 vcc_lo, s89, v3
	v_cndmask_b32_e32 v3, v49, v48, vcc_lo
	v_cmp_eq_u32_e32 vcc_lo, s89, v52
	v_add_nc_u64_e32 v[48:49], 2, v[46:47]
	v_cndmask_b32_e32 v17, v53, v17, vcc_lo
	s_delay_alu instid0(VALU_DEP_4) | instskip(NEXT) | instid1(VALU_DEP_2)
	v_cmp_ne_u32_e32 vcc_lo, 0, v3
	v_cmp_ne_u32_e64 s0, 0, v17
	s_delay_alu instid0(VALU_DEP_4) | instskip(NEXT) | instid1(VALU_DEP_1)
	v_dual_cndmask_b32 v3, v51, v49, vcc_lo :: v_dual_cndmask_b32 v17, v50, v48, vcc_lo
	v_dual_cndmask_b32 v3, v47, v3, s0 :: v_dual_cndmask_b32 v46, v46, v17, s0
	s_delay_alu instid0(VALU_DEP_1) | instskip(NEXT) | instid1(VALU_DEP_2)
	v_dual_mov_b32 v17, v16 :: v_dual_bitop2_b32 v47, v3, v16 bitop3:0x14
	v_xor_b32_e32 v46, v46, v16
	s_delay_alu instid0(VALU_DEP_1)
	v_sub_nc_u64_e32 v[46:47], v[46:47], v[16:17]
	s_and_not1_saveexec_b32 s0, s1
	s_cbranch_execz .LBB3_2
.LBB3_68:                               ;   in Loop: Header=BB3_5 Depth=1
	v_cvt_f32_u32_e32 v3, s62
	s_sub_co_i32 s1, 0, s62
	v_mov_b32_e32 v47, v2
	s_delay_alu instid0(VALU_DEP_2) | instskip(SKIP_1) | instid1(TRANS32_DEP_1)
	v_rcp_iflag_f32_e32 v3, v3
	v_nop
	v_mul_f32_e32 v3, 0x4f7ffffe, v3
	s_delay_alu instid0(VALU_DEP_1) | instskip(NEXT) | instid1(VALU_DEP_1)
	v_cvt_u32_f32_e32 v3, v3
	v_mul_lo_u32 v16, s1, v3
	s_delay_alu instid0(VALU_DEP_1) | instskip(NEXT) | instid1(VALU_DEP_1)
	v_mul_hi_u32 v16, v3, v16
	v_add_nc_u32_e32 v3, v3, v16
	s_delay_alu instid0(VALU_DEP_1) | instskip(NEXT) | instid1(VALU_DEP_1)
	v_mul_hi_u32 v3, v0, v3
	v_mul_lo_u32 v16, v3, s62
	s_delay_alu instid0(VALU_DEP_1) | instskip(NEXT) | instid1(VALU_DEP_1)
	v_dual_add_nc_u32 v17, 1, v3 :: v_dual_sub_nc_u32 v16, v0, v16
	v_subrev_nc_u32_e32 v46, s62, v16
	v_cmp_le_u32_e32 vcc_lo, s62, v16
	s_delay_alu instid0(VALU_DEP_2) | instskip(NEXT) | instid1(VALU_DEP_1)
	v_dual_cndmask_b32 v16, v16, v46 :: v_dual_cndmask_b32 v3, v3, v17
	v_cmp_le_u32_e32 vcc_lo, s62, v16
	s_delay_alu instid0(VALU_DEP_2) | instskip(NEXT) | instid1(VALU_DEP_1)
	v_add_nc_u32_e32 v17, 1, v3
	v_cndmask_b32_e32 v46, v3, v17, vcc_lo
	s_branch .LBB3_2
.LBB3_69:                               ;   in Loop: Header=BB3_5 Depth=1
	v_mov_b64_e32 v[48:49], 0
	v_mov_b64_e32 v[56:57], 0
	;; [unrolled: 1-line block ×8, first 2 shown]
	s_branch .LBB3_4
.LBB3_70:
	s_sendmsg sendmsg(MSG_DEALLOC_VGPRS)
	s_endpgm
	.section	.rodata,"a",@progbits
	.p2align	6, 0x0
	.amdhsa_kernel _ZN2at6native12_GLOBAL__N_16kernel17lstm_cell_forwardIddlLi2EEEvNS_4cuda6detail10TensorInfoIT_T1_EES9_S9_S9_S9_S9_S9_S9_S8_S8_
		.amdhsa_group_segment_fixed_size 0
		.amdhsa_private_segment_fixed_size 0
		.amdhsa_kernarg_size 3600
		.amdhsa_user_sgpr_count 2
		.amdhsa_user_sgpr_dispatch_ptr 0
		.amdhsa_user_sgpr_queue_ptr 0
		.amdhsa_user_sgpr_kernarg_segment_ptr 1
		.amdhsa_user_sgpr_dispatch_id 0
		.amdhsa_user_sgpr_kernarg_preload_length 0
		.amdhsa_user_sgpr_kernarg_preload_offset 0
		.amdhsa_user_sgpr_private_segment_size 0
		.amdhsa_wavefront_size32 1
		.amdhsa_uses_dynamic_stack 0
		.amdhsa_enable_private_segment 0
		.amdhsa_system_sgpr_workgroup_id_x 1
		.amdhsa_system_sgpr_workgroup_id_y 0
		.amdhsa_system_sgpr_workgroup_id_z 0
		.amdhsa_system_sgpr_workgroup_info 0
		.amdhsa_system_vgpr_workitem_id 0
		.amdhsa_next_free_vgpr 76
		.amdhsa_next_free_sgpr 100
		.amdhsa_named_barrier_count 0
		.amdhsa_reserve_vcc 1
		.amdhsa_float_round_mode_32 0
		.amdhsa_float_round_mode_16_64 0
		.amdhsa_float_denorm_mode_32 3
		.amdhsa_float_denorm_mode_16_64 3
		.amdhsa_fp16_overflow 0
		.amdhsa_memory_ordered 1
		.amdhsa_forward_progress 1
		.amdhsa_inst_pref_size 135
		.amdhsa_round_robin_scheduling 0
		.amdhsa_exception_fp_ieee_invalid_op 0
		.amdhsa_exception_fp_denorm_src 0
		.amdhsa_exception_fp_ieee_div_zero 0
		.amdhsa_exception_fp_ieee_overflow 0
		.amdhsa_exception_fp_ieee_underflow 0
		.amdhsa_exception_fp_ieee_inexact 0
		.amdhsa_exception_int_div_zero 0
	.end_amdhsa_kernel
	.section	.text._ZN2at6native12_GLOBAL__N_16kernel17lstm_cell_forwardIddlLi2EEEvNS_4cuda6detail10TensorInfoIT_T1_EES9_S9_S9_S9_S9_S9_S9_S8_S8_,"axG",@progbits,_ZN2at6native12_GLOBAL__N_16kernel17lstm_cell_forwardIddlLi2EEEvNS_4cuda6detail10TensorInfoIT_T1_EES9_S9_S9_S9_S9_S9_S9_S8_S8_,comdat
.Lfunc_end3:
	.size	_ZN2at6native12_GLOBAL__N_16kernel17lstm_cell_forwardIddlLi2EEEvNS_4cuda6detail10TensorInfoIT_T1_EES9_S9_S9_S9_S9_S9_S9_S8_S8_, .Lfunc_end3-_ZN2at6native12_GLOBAL__N_16kernel17lstm_cell_forwardIddlLi2EEEvNS_4cuda6detail10TensorInfoIT_T1_EES9_S9_S9_S9_S9_S9_S9_S8_S8_
                                        ; -- End function
	.set _ZN2at6native12_GLOBAL__N_16kernel17lstm_cell_forwardIddlLi2EEEvNS_4cuda6detail10TensorInfoIT_T1_EES9_S9_S9_S9_S9_S9_S9_S8_S8_.num_vgpr, 76
	.set _ZN2at6native12_GLOBAL__N_16kernel17lstm_cell_forwardIddlLi2EEEvNS_4cuda6detail10TensorInfoIT_T1_EES9_S9_S9_S9_S9_S9_S9_S8_S8_.num_agpr, 0
	.set _ZN2at6native12_GLOBAL__N_16kernel17lstm_cell_forwardIddlLi2EEEvNS_4cuda6detail10TensorInfoIT_T1_EES9_S9_S9_S9_S9_S9_S9_S8_S8_.numbered_sgpr, 100
	.set _ZN2at6native12_GLOBAL__N_16kernel17lstm_cell_forwardIddlLi2EEEvNS_4cuda6detail10TensorInfoIT_T1_EES9_S9_S9_S9_S9_S9_S9_S8_S8_.num_named_barrier, 0
	.set _ZN2at6native12_GLOBAL__N_16kernel17lstm_cell_forwardIddlLi2EEEvNS_4cuda6detail10TensorInfoIT_T1_EES9_S9_S9_S9_S9_S9_S9_S8_S8_.private_seg_size, 0
	.set _ZN2at6native12_GLOBAL__N_16kernel17lstm_cell_forwardIddlLi2EEEvNS_4cuda6detail10TensorInfoIT_T1_EES9_S9_S9_S9_S9_S9_S9_S8_S8_.uses_vcc, 1
	.set _ZN2at6native12_GLOBAL__N_16kernel17lstm_cell_forwardIddlLi2EEEvNS_4cuda6detail10TensorInfoIT_T1_EES9_S9_S9_S9_S9_S9_S9_S8_S8_.uses_flat_scratch, 0
	.set _ZN2at6native12_GLOBAL__N_16kernel17lstm_cell_forwardIddlLi2EEEvNS_4cuda6detail10TensorInfoIT_T1_EES9_S9_S9_S9_S9_S9_S9_S8_S8_.has_dyn_sized_stack, 0
	.set _ZN2at6native12_GLOBAL__N_16kernel17lstm_cell_forwardIddlLi2EEEvNS_4cuda6detail10TensorInfoIT_T1_EES9_S9_S9_S9_S9_S9_S9_S8_S8_.has_recursion, 0
	.set _ZN2at6native12_GLOBAL__N_16kernel17lstm_cell_forwardIddlLi2EEEvNS_4cuda6detail10TensorInfoIT_T1_EES9_S9_S9_S9_S9_S9_S9_S8_S8_.has_indirect_call, 0
	.section	.AMDGPU.csdata,"",@progbits
; Kernel info:
; codeLenInByte = 17160
; TotalNumSgprs: 102
; NumVgprs: 76
; ScratchSize: 0
; MemoryBound: 0
; FloatMode: 240
; IeeeMode: 1
; LDSByteSize: 0 bytes/workgroup (compile time only)
; SGPRBlocks: 0
; VGPRBlocks: 4
; NumSGPRsForWavesPerEU: 102
; NumVGPRsForWavesPerEU: 76
; NamedBarCnt: 0
; Occupancy: 12
; WaveLimiterHint : 1
; COMPUTE_PGM_RSRC2:SCRATCH_EN: 0
; COMPUTE_PGM_RSRC2:USER_SGPR: 2
; COMPUTE_PGM_RSRC2:TRAP_HANDLER: 0
; COMPUTE_PGM_RSRC2:TGID_X_EN: 1
; COMPUTE_PGM_RSRC2:TGID_Y_EN: 0
; COMPUTE_PGM_RSRC2:TGID_Z_EN: 0
; COMPUTE_PGM_RSRC2:TIDIG_COMP_CNT: 0
	.section	.text._ZN2at6native12_GLOBAL__N_16kernel17lstm_cell_forwardIffiLi1EEEvNS_4cuda6detail10TensorInfoIT_T1_EES9_S9_S9_S9_S9_S9_S9_S8_S8_,"axG",@progbits,_ZN2at6native12_GLOBAL__N_16kernel17lstm_cell_forwardIffiLi1EEEvNS_4cuda6detail10TensorInfoIT_T1_EES9_S9_S9_S9_S9_S9_S9_S8_S8_,comdat
	.globl	_ZN2at6native12_GLOBAL__N_16kernel17lstm_cell_forwardIffiLi1EEEvNS_4cuda6detail10TensorInfoIT_T1_EES9_S9_S9_S9_S9_S9_S9_S8_S8_ ; -- Begin function _ZN2at6native12_GLOBAL__N_16kernel17lstm_cell_forwardIffiLi1EEEvNS_4cuda6detail10TensorInfoIT_T1_EES9_S9_S9_S9_S9_S9_S9_S8_S8_
	.p2align	8
	.type	_ZN2at6native12_GLOBAL__N_16kernel17lstm_cell_forwardIffiLi1EEEvNS_4cuda6detail10TensorInfoIT_T1_EES9_S9_S9_S9_S9_S9_S9_S8_S8_,@function
_ZN2at6native12_GLOBAL__N_16kernel17lstm_cell_forwardIffiLi1EEEvNS_4cuda6detail10TensorInfoIT_T1_EES9_S9_S9_S9_S9_S9_S9_S8_S8_: ; @_ZN2at6native12_GLOBAL__N_16kernel17lstm_cell_forwardIffiLi1EEEvNS_4cuda6detail10TensorInfoIT_T1_EES9_S9_S9_S9_S9_S9_S9_S8_S8_
; %bb.0:
	s_clause 0x1
	s_load_b32 s4, s[0:1], 0x6d4
	s_load_b64 s[2:3], s[0:1], 0x6c0
	s_bfe_u32 s5, ttmp6, 0x4000c
	s_and_b32 s6, ttmp6, 15
	s_add_co_i32 s5, s5, 1
	s_getreg_b32 s7, hwreg(HW_REG_IB_STS2, 6, 4)
	s_mul_i32 s5, ttmp9, s5
	s_delay_alu instid0(SALU_CYCLE_1)
	s_add_co_i32 s6, s6, s5
	s_wait_kmcnt 0x0
	s_and_b32 s4, s4, 0xffff
	s_cmp_eq_u32 s7, 0
	s_cselect_b32 s5, ttmp9, s6
	s_mov_b32 s6, exec_lo
	v_mad_u32 v8, s5, s4, v0
	s_mov_b32 s5, 0
	s_delay_alu instid0(VALU_DEP_1)
	v_cmpx_gt_i32_e64 s3, v8
	s_cbranch_execz .LBB4_13
; %bb.1:
	s_clause 0x6
	s_load_b64 s[6:7], s[0:1], 0x1b0
	s_load_b32 s36, s[0:1], 0x57c
	s_load_b32 s22, s[0:1], 0x21c
	s_load_b64 s[8:9], s[0:1], 0x288
	s_load_b32 s23, s[0:1], 0x2f4
	s_load_b32 s34, s[0:1], 0x3cc
	;; [unrolled: 1-line block ×3, first 2 shown]
	s_add_nc_u64 s[10:11], s[0:1], 0x6c8
	v_mov_b32_e32 v1, 0
	s_load_b32 s30, s[10:11], 0x0
	s_wait_xcnt 0x0
	s_clause 0x1
	s_load_b64 s[10:11], s[0:1], 0x360
	s_load_b64 s[12:13], s[0:1], 0x438
	s_mov_b32 s29, 0xbbbac73d
	s_mov_b32 s37, s5
	s_wait_kmcnt 0x0
	s_cmp_lg_u64 s[6:7], 0
	v_mul_lo_u32 v9, v8, s34
	s_cselect_b32 s24, -1, 0
	s_abs_i32 s25, s2
	v_mul_lo_u32 v10, v8, s35
	s_cvt_f32_u32 s14, s25
	v_mul_lo_u32 v11, v8, s36
	s_mul_i32 s30, s30, s4
	s_sub_co_i32 s4, 0, s25
	v_rcp_iflag_f32_e32 v0, s14
	s_clause 0x6
	s_load_b64 s[14:15], s[0:1], 0x0
	s_load_b32 s26, s[0:1], 0x6c
	s_load_b64 s[16:17], s[0:1], 0xd8
	s_load_b32 s27, s[0:1], 0x144
	s_load_b64 s[18:19], s[0:1], 0x510
	s_load_b64 s[20:21], s[0:1], 0x5e8
	s_load_b32 s28, s[0:1], 0x654
	s_wait_xcnt 0x0
	s_mul_i32 s1, s2, 3
	s_ashr_i32 s31, s2, 31
	s_sub_co_i32 s33, 0, s2
	s_mul_i32 s34, s30, s34
	s_mul_i32 s35, s30, s35
	v_nop
	v_readfirstlane_b32 s0, v0
	s_mul_i32 s36, s30, s36
	s_mul_f32 s0, s0, 0x4f7ffffe
	s_delay_alu instid0(SALU_CYCLE_3) | instskip(NEXT) | instid1(SALU_CYCLE_3)
	s_cvt_u32_f32 s0, s0
	s_mul_i32 s4, s4, s0
	s_delay_alu instid0(SALU_CYCLE_1) | instskip(NEXT) | instid1(SALU_CYCLE_1)
	s_mul_hi_u32 s4, s0, s4
	s_add_co_i32 s4, s0, s4
	s_branch .LBB4_3
.LBB4_2:                                ;   in Loop: Header=BB4_3 Depth=1
	s_or_b32 exec_lo, exec_lo, s0
	v_add_f32_e32 v7, v15, v16
	s_delay_alu instid0(VALU_DEP_2)
	v_bfi_b32 v2, 0x7fffffff, v2, v6
	v_mul_lo_u32 v13, v13, s28
	v_add_nc_u32_e32 v8, s30, v8
	v_mul_lo_u32 v14, v14, s28
	v_add_f32_e32 v7, v7, v17
	v_mul_lo_u32 v0, v0, s28
	v_mul_lo_u32 v12, v12, s28
	s_delay_alu instid0(VALU_DEP_3) | instskip(NEXT) | instid1(VALU_DEP_1)
	v_dual_add_nc_u32 v9, s34, v9 :: v_dual_add_f32 v7, v18, v7
	v_mul_f32_e32 v15, 0xbfb8aa3b, v7
	s_delay_alu instid0(VALU_DEP_1) | instskip(SKIP_1) | instid1(VALU_DEP_1)
	v_fma_f32 v16, 0xbfb8aa3b, v7, -v15
	v_rndne_f32_e32 v17, v15
	v_dual_fmac_f32 v16, 0xb2a5705f, v7 :: v_dual_sub_f32 v15, v15, v17
	s_delay_alu instid0(VALU_DEP_1) | instskip(SKIP_2) | instid1(VALU_DEP_3)
	v_add_f32_e32 v15, v15, v16
	v_cvt_i32_f32_e32 v16, v17
	v_cmp_nlt_f32_e32 vcc_lo, 0x42ce8ed0, v7
	v_exp_f32_e32 v15, v15
	v_nop
	s_delay_alu instid0(TRANS32_DEP_1) | instskip(NEXT) | instid1(VALU_DEP_1)
	v_ldexp_f32 v15, v15, v16
	v_cndmask_b32_e32 v15, 0, v15, vcc_lo
	v_cmp_ngt_f32_e32 vcc_lo, 0xc2b17218, v7
	s_delay_alu instid0(VALU_DEP_2) | instskip(NEXT) | instid1(VALU_DEP_1)
	v_cndmask_b32_e32 v7, 0x7f800000, v15, vcc_lo
	v_add_f32_e32 v7, 1.0, v7
	s_delay_alu instid0(VALU_DEP_1) | instskip(SKIP_1) | instid1(VALU_DEP_2)
	v_div_scale_f32 v15, null, v7, v7, 1.0
	v_div_scale_f32 v18, vcc_lo, 1.0, v7, 1.0
	v_rcp_f32_e32 v16, v15
	v_nop
	s_delay_alu instid0(TRANS32_DEP_1) | instskip(NEXT) | instid1(VALU_DEP_1)
	v_fma_f32 v17, -v15, v16, 1.0
	v_fmac_f32_e32 v16, v17, v16
	s_delay_alu instid0(VALU_DEP_1) | instskip(NEXT) | instid1(VALU_DEP_1)
	v_mul_f32_e32 v17, v18, v16
	v_fma_f32 v19, -v15, v17, v18
	s_delay_alu instid0(VALU_DEP_1) | instskip(NEXT) | instid1(VALU_DEP_1)
	v_fmac_f32_e32 v17, v19, v16
	v_fma_f32 v15, -v15, v17, v18
	s_delay_alu instid0(VALU_DEP_1) | instskip(NEXT) | instid1(VALU_DEP_1)
	v_div_fmas_f32 v15, v15, v16, v17
	v_div_fixup_f32 v7, v15, v7, 1.0
	s_delay_alu instid0(VALU_DEP_1)
	v_mul_f32_e32 v2, v7, v2
	global_store_b32 v10, v2, s[12:13] scale_offset
	global_store_b32 v11, v6, s[18:19] scale_offset
	global_store_b32 v13, v5, s[20:21] scale_offset
	s_wait_xcnt 0x2
	v_add_nc_u32_e32 v10, s35, v10
	v_cmp_le_i32_e32 vcc_lo, s3, v8
	s_wait_xcnt 0x1
	v_add_nc_u32_e32 v11, s36, v11
	s_clause 0x2
	global_store_b32 v14, v4, s[20:21] scale_offset
	global_store_b32 v0, v3, s[20:21] scale_offset
	;; [unrolled: 1-line block ×3, first 2 shown]
	s_or_b32 s37, vcc_lo, s37
	s_wait_xcnt 0x0
	s_and_not1_b32 exec_lo, exec_lo, s37
	s_cbranch_execz .LBB4_13
.LBB4_3:                                ; =>This Inner Loop Header: Depth=1
	v_sub_nc_u32_e32 v0, 0, v8
	s_delay_alu instid0(VALU_DEP_1) | instskip(NEXT) | instid1(VALU_DEP_1)
	v_max_i32_e32 v0, v8, v0
	v_mul_u64_e32 v[2:3], s[4:5], v[0:1]
	s_delay_alu instid0(VALU_DEP_1) | instskip(NEXT) | instid1(VALU_DEP_1)
	v_mul_lo_u32 v2, v3, s25
	v_dual_sub_nc_u32 v0, v0, v2 :: v_dual_add_nc_u32 v2, 1, v3
	s_delay_alu instid0(VALU_DEP_1) | instskip(NEXT) | instid1(VALU_DEP_2)
	v_cmp_le_u32_e32 vcc_lo, s25, v0
	v_dual_cndmask_b32 v2, v3, v2 :: v_dual_ashrrev_i32 v3, 31, v8
	v_subrev_nc_u32_e32 v4, s25, v0
	s_delay_alu instid0(VALU_DEP_1) | instskip(NEXT) | instid1(VALU_DEP_1)
	v_dual_cndmask_b32 v0, v0, v4, vcc_lo :: v_dual_add_nc_u32 v4, 1, v2
	v_cmp_le_u32_e32 vcc_lo, s25, v0
	s_delay_alu instid0(VALU_DEP_2) | instskip(SKIP_1) | instid1(VALU_DEP_1)
	v_dual_cndmask_b32 v0, v2, v4, vcc_lo :: v_dual_bitop2_b32 v24, s31, v3 bitop3:0x14
	s_and_not1_b32 vcc_lo, exec_lo, s24
	v_xor_b32_e32 v26, v0, v24
	v_mul_i32_i24_e32 v0, 3, v24
	s_delay_alu instid0(VALU_DEP_2) | instskip(SKIP_1) | instid1(VALU_DEP_2)
	v_lshl_add_u32 v2, v26, 1, v26
	v_sub_nc_u32_e32 v25, v26, v24
	v_sub_nc_u32_e32 v0, v2, v0
	s_delay_alu instid0(VALU_DEP_2) | instskip(NEXT) | instid1(VALU_DEP_2)
	v_mad_u32 v13, s1, v25, v8
	v_mul_lo_u32 v2, s2, v0
	v_dual_add_nc_u32 v3, 2, v0 :: v_dual_add_nc_u32 v4, 3, v0
	s_delay_alu instid0(VALU_DEP_1) | instskip(NEXT) | instid1(VALU_DEP_2)
	v_mad_u32 v0, s2, v3, v8
	v_mad_u32 v12, s2, v4, v8
	s_wait_kmcnt 0x0
	v_mul_lo_u32 v17, v13, s26
	v_mul_lo_u32 v22, v13, s27
	v_add3_u32 v14, v2, s2, v8
	s_delay_alu instid0(VALU_DEP_1)
	v_mul_lo_u32 v18, v14, s26
	v_mul_lo_u32 v20, v0, s26
	;; [unrolled: 1-line block ×6, first 2 shown]
	s_clause 0x3
	global_load_b32 v5, v17, s[14:15] scale_offset
	global_load_b32 v3, v18, s[14:15] scale_offset
	;; [unrolled: 1-line block ×4, first 2 shown]
	s_clause 0x3
	global_load_b32 v7, v22, s[16:17] scale_offset
	global_load_b32 v4, v23, s[16:17] scale_offset
	;; [unrolled: 1-line block ×5, first 2 shown]
	s_wait_xcnt 0x2
	v_dual_mov_b32 v20, 0 :: v_dual_mov_b32 v27, 0
	v_dual_mov_b32 v18, 0 :: v_dual_mov_b32 v21, 0
	s_wait_xcnt 0x1
	v_dual_mov_b32 v17, 0 :: v_dual_mov_b32 v28, 0
	v_dual_mov_b32 v22, 0 :: v_dual_mov_b32 v23, 0
	s_cbranch_vccnz .LBB4_5
; %bb.4:                                ;   in Loop: Header=BB4_3 Depth=1
	v_sub_nc_u32_e32 v17, v24, v26
	v_mad_u32 v21, s33, v25, v8
	s_delay_alu instid0(VALU_DEP_2) | instskip(SKIP_1) | instid1(VALU_DEP_1)
	v_mul_lo_u32 v18, s2, v17
	v_dual_add_nc_u32 v20, 2, v17 :: v_dual_add_nc_u32 v17, 3, v17
	v_mad_u32 v20, s2, v20, v8
	s_delay_alu instid0(VALU_DEP_2) | instskip(SKIP_3) | instid1(VALU_DEP_1)
	v_mad_u32 v17, s2, v17, v8
	v_mul_lo_u32 v24, v21, s22
	v_mul_lo_u32 v30, v21, s23
	v_add3_u32 v18, v18, s2, v8
	v_mul_lo_u32 v25, v18, s22
	v_mul_lo_u32 v26, v20, s22
	;; [unrolled: 1-line block ×6, first 2 shown]
	s_clause 0x3
	global_load_b32 v23, v24, s[6:7] scale_offset
	global_load_b32 v22, v25, s[6:7] scale_offset
	;; [unrolled: 1-line block ×4, first 2 shown]
	s_clause 0x3
	global_load_b32 v21, v30, s[8:9] scale_offset
	global_load_b32 v20, v31, s[8:9] scale_offset
	;; [unrolled: 1-line block ×4, first 2 shown]
.LBB4_5:                                ;   in Loop: Header=BB4_3 Depth=1
	s_wait_loadcnt 0x2
	v_add_f32_e32 v6, v6, v19
                                        ; implicit-def: $vgpr19
	s_delay_alu instid0(VALU_DEP_1) | instskip(SKIP_1) | instid1(VALU_DEP_1)
	v_add_f32_e32 v6, v6, v28
	s_wait_loadcnt 0x1
	v_add_f32_e32 v6, v27, v6
	s_delay_alu instid0(VALU_DEP_1) | instskip(SKIP_2) | instid1(SALU_CYCLE_1)
	v_cmp_ngt_f32_e64 s0, 0x3f200000, |v6|
	s_wait_xcnt 0x0
	s_and_saveexec_b32 s38, s0
	s_xor_b32 s0, exec_lo, s38
	s_cbranch_execz .LBB4_7
; %bb.6:                                ;   in Loop: Header=BB4_3 Depth=1
	v_add_f32_e64 v19, |v6|, |v6|
	s_delay_alu instid0(VALU_DEP_1) | instskip(SKIP_1) | instid1(VALU_DEP_2)
	v_mul_f32_e32 v24, 0x3fb8aa3b, v19
	v_cmp_ngt_f32_e32 vcc_lo, 0xc2ce8ed0, v19
	v_rndne_f32_e32 v25, v24
	v_fma_f32 v26, 0x3fb8aa3b, v19, -v24
	s_delay_alu instid0(VALU_DEP_2) | instskip(NEXT) | instid1(VALU_DEP_2)
	v_sub_f32_e32 v24, v24, v25
	v_fmac_f32_e32 v26, 0x32a5705f, v19
	v_cvt_i32_f32_e32 v25, v25
	s_delay_alu instid0(VALU_DEP_2) | instskip(NEXT) | instid1(VALU_DEP_1)
	v_add_f32_e32 v24, v24, v26
	v_exp_f32_e32 v24, v24
	v_nop
	s_delay_alu instid0(TRANS32_DEP_1) | instskip(NEXT) | instid1(VALU_DEP_1)
	v_ldexp_f32 v24, v24, v25
	v_cndmask_b32_e32 v24, 0, v24, vcc_lo
	v_cmp_nlt_f32_e32 vcc_lo, 0x42b17218, v19
	s_delay_alu instid0(VALU_DEP_2) | instskip(NEXT) | instid1(VALU_DEP_1)
	v_cndmask_b32_e32 v19, 0x7f800000, v24, vcc_lo
	v_add_f32_e32 v19, 1.0, v19
	s_delay_alu instid0(VALU_DEP_1) | instskip(SKIP_1) | instid1(TRANS32_DEP_1)
	v_rcp_f32_e32 v19, v19
	v_nop
	v_fma_f32 v19, v19, -2.0, 1.0
.LBB4_7:                                ;   in Loop: Header=BB4_3 Depth=1
	s_and_not1_saveexec_b32 s0, s0
	s_cbranch_execz .LBB4_9
; %bb.8:                                ;   in Loop: Header=BB4_3 Depth=1
	v_mul_f32_e32 v19, v6, v6
	s_delay_alu instid0(VALU_DEP_1) | instskip(NEXT) | instid1(VALU_DEP_1)
	v_fmaak_f32 v24, s29, v19, 0x3ca908c9
	v_fmaak_f32 v24, v19, v24, 0xbd5c1c4e
	s_delay_alu instid0(VALU_DEP_1) | instskip(NEXT) | instid1(VALU_DEP_1)
	v_fmaak_f32 v24, v19, v24, 0x3e088382
	v_fmaak_f32 v24, v19, v24, 0xbeaaaa99
	s_delay_alu instid0(VALU_DEP_1) | instskip(NEXT) | instid1(VALU_DEP_1)
	v_mul_f32_e64 v24, |v6|, v24
	v_fma_f32 v19, v19, v24, |v6|
.LBB4_9:                                ;   in Loop: Header=BB4_3 Depth=1
	s_or_b32 exec_lo, exec_lo, s0
	v_dual_add_f32 v5, v5, v7 :: v_dual_add_f32 v3, v3, v4
	s_delay_alu instid0(VALU_DEP_1) | instskip(NEXT) | instid1(VALU_DEP_1)
	v_dual_add_f32 v4, v5, v23 :: v_dual_add_f32 v3, v3, v22
	v_dual_add_f32 v4, v21, v4 :: v_dual_add_f32 v3, v20, v3
	s_delay_alu instid0(VALU_DEP_1) | instskip(NEXT) | instid1(VALU_DEP_2)
	v_mul_f32_e32 v5, 0xbfb8aa3b, v4
	v_mul_f32_e32 v7, 0xbfb8aa3b, v3
	v_cmp_nlt_f32_e32 vcc_lo, 0x42ce8ed0, v4
	s_delay_alu instid0(VALU_DEP_3) | instskip(SKIP_1) | instid1(VALU_DEP_4)
	v_fma_f32 v20, 0xbfb8aa3b, v4, -v5
	v_rndne_f32_e32 v21, v5
	v_fma_f32 v22, 0xbfb8aa3b, v3, -v7
	v_rndne_f32_e32 v23, v7
	s_delay_alu instid0(VALU_DEP_3) | instskip(NEXT) | instid1(VALU_DEP_1)
	v_dual_fmac_f32 v20, 0xb2a5705f, v4 :: v_dual_sub_f32 v5, v5, v21
	v_dual_fmac_f32 v22, 0xb2a5705f, v3 :: v_dual_add_f32 v5, v5, v20
	v_cvt_i32_f32_e32 v20, v21
	s_delay_alu instid0(VALU_DEP_4) | instskip(NEXT) | instid1(VALU_DEP_3)
	v_cvt_i32_f32_e32 v21, v23
	v_exp_f32_e32 v5, v5
	v_nop
	s_delay_alu instid0(TRANS32_DEP_1) | instskip(NEXT) | instid1(VALU_DEP_1)
	v_ldexp_f32 v5, v5, v20
	v_dual_sub_f32 v7, v7, v23 :: v_dual_cndmask_b32 v5, 0, v5, vcc_lo
	s_delay_alu instid0(VALU_DEP_1) | instskip(SKIP_1) | instid1(VALU_DEP_2)
	v_add_f32_e32 v7, v7, v22
	v_cmp_nlt_f32_e32 vcc_lo, 0x42ce8ed0, v3
	v_exp_f32_e32 v7, v7
	v_nop
	s_delay_alu instid0(TRANS32_DEP_1) | instskip(NEXT) | instid1(VALU_DEP_1)
	v_ldexp_f32 v7, v7, v21
	v_cndmask_b32_e32 v7, 0, v7, vcc_lo
	v_cmp_ngt_f32_e32 vcc_lo, 0xc2b17218, v4
	v_cndmask_b32_e32 v5, 0x7f800000, v5, vcc_lo
	v_cmp_ngt_f32_e32 vcc_lo, 0xc2b17218, v3
	s_delay_alu instid0(VALU_DEP_4) | instskip(NEXT) | instid1(VALU_DEP_1)
	v_cndmask_b32_e32 v4, 0x7f800000, v7, vcc_lo
	v_pk_add_f32 v[4:5], v[4:5], 1.0 op_sel_hi:[1,0]
	s_delay_alu instid0(VALU_DEP_1) | instskip(NEXT) | instid1(VALU_DEP_2)
	v_div_scale_f32 v3, null, v5, v5, 1.0
	v_div_scale_f32 v7, null, v4, v4, 1.0
	v_div_scale_f32 v24, vcc_lo, 1.0, v5, 1.0
	s_delay_alu instid0(VALU_DEP_3) | instskip(NEXT) | instid1(VALU_DEP_2)
	v_rcp_f32_e32 v20, v3
	v_rcp_f32_e32 v21, v7
	s_delay_alu instid0(TRANS32_DEP_2) | instskip(NEXT) | instid1(TRANS32_DEP_1)
	v_fma_f32 v22, -v3, v20, 1.0
	v_fma_f32 v23, -v7, v21, 1.0
	s_delay_alu instid0(VALU_DEP_2) | instskip(SKIP_1) | instid1(VALU_DEP_2)
	v_fmac_f32_e32 v20, v22, v20
	v_div_scale_f32 v22, s0, 1.0, v4, 1.0
	v_dual_fmac_f32 v21, v23, v21 :: v_dual_mul_f32 v23, v24, v20
	s_delay_alu instid0(VALU_DEP_1) | instskip(NEXT) | instid1(VALU_DEP_1)
	v_dual_mul_f32 v25, v22, v21 :: v_dual_fma_f32 v26, -v3, v23, v24
	v_dual_fma_f32 v27, -v7, v25, v22 :: v_dual_fmac_f32 v23, v26, v20
	s_delay_alu instid0(VALU_DEP_1) | instskip(NEXT) | instid1(VALU_DEP_2)
	v_fmac_f32_e32 v25, v27, v21
	v_fma_f32 v3, -v3, v23, v24
	s_delay_alu instid0(VALU_DEP_2) | instskip(NEXT) | instid1(VALU_DEP_2)
	v_fma_f32 v7, -v7, v25, v22
	v_div_fmas_f32 v3, v3, v20, v23
	s_mov_b32 vcc_lo, s0
	s_delay_alu instid0(VALU_DEP_2) | instskip(NEXT) | instid1(VALU_DEP_2)
	v_div_fmas_f32 v7, v7, v21, v25
	v_div_fixup_f32 v5, v3, v5, 1.0
	v_bfi_b32 v3, 0x7fffffff, v19, v6
	s_delay_alu instid0(VALU_DEP_3) | instskip(NEXT) | instid1(VALU_DEP_2)
	v_div_fixup_f32 v4, v7, v4, 1.0
	v_mul_f32_e32 v6, v3, v5
	s_wait_loadcnt 0x0
	s_delay_alu instid0(VALU_DEP_1) | instskip(NEXT) | instid1(VALU_DEP_1)
	v_pk_fma_f32 v[6:7], v[2:3], v[4:5], v[6:7] op_sel_hi:[1,1,0]
                                        ; implicit-def: $vgpr2
	v_cmp_ngt_f32_e64 s0, 0x3f200000, |v6|
	s_and_saveexec_b32 s38, s0
	s_delay_alu instid0(SALU_CYCLE_1)
	s_xor_b32 s0, exec_lo, s38
	s_cbranch_execz .LBB4_11
; %bb.10:                               ;   in Loop: Header=BB4_3 Depth=1
	v_add_f32_e64 v2, |v6|, |v6|
	s_delay_alu instid0(VALU_DEP_1) | instskip(SKIP_1) | instid1(VALU_DEP_2)
	v_mul_f32_e32 v7, 0x3fb8aa3b, v2
	v_cmp_ngt_f32_e32 vcc_lo, 0xc2ce8ed0, v2
	v_rndne_f32_e32 v19, v7
	v_fma_f32 v20, 0x3fb8aa3b, v2, -v7
	s_delay_alu instid0(VALU_DEP_1) | instskip(SKIP_1) | instid1(VALU_DEP_2)
	v_dual_sub_f32 v7, v7, v19 :: v_dual_fmac_f32 v20, 0x32a5705f, v2
	v_cvt_i32_f32_e32 v19, v19
	v_add_f32_e32 v7, v7, v20
	s_delay_alu instid0(VALU_DEP_1) | instskip(SKIP_1) | instid1(TRANS32_DEP_1)
	v_exp_f32_e32 v7, v7
	v_nop
	v_ldexp_f32 v7, v7, v19
	s_delay_alu instid0(VALU_DEP_1) | instskip(SKIP_1) | instid1(VALU_DEP_2)
	v_cndmask_b32_e32 v7, 0, v7, vcc_lo
	v_cmp_nlt_f32_e32 vcc_lo, 0x42b17218, v2
	v_cndmask_b32_e32 v2, 0x7f800000, v7, vcc_lo
	s_delay_alu instid0(VALU_DEP_1) | instskip(NEXT) | instid1(VALU_DEP_1)
	v_add_f32_e32 v2, 1.0, v2
	v_rcp_f32_e32 v2, v2
	v_nop
	s_delay_alu instid0(TRANS32_DEP_1)
	v_fma_f32 v2, v2, -2.0, 1.0
.LBB4_11:                               ;   in Loop: Header=BB4_3 Depth=1
	s_and_not1_saveexec_b32 s0, s0
	s_cbranch_execz .LBB4_2
; %bb.12:                               ;   in Loop: Header=BB4_3 Depth=1
	v_mul_f32_e32 v2, v6, v6
	s_delay_alu instid0(VALU_DEP_1) | instskip(NEXT) | instid1(VALU_DEP_1)
	v_fmaak_f32 v7, s29, v2, 0x3ca908c9
	v_fmaak_f32 v7, v2, v7, 0xbd5c1c4e
	s_delay_alu instid0(VALU_DEP_1) | instskip(NEXT) | instid1(VALU_DEP_1)
	v_fmaak_f32 v7, v2, v7, 0x3e088382
	v_fmaak_f32 v7, v2, v7, 0xbeaaaa99
	s_delay_alu instid0(VALU_DEP_1) | instskip(NEXT) | instid1(VALU_DEP_1)
	v_mul_f32_e64 v7, |v6|, v7
	v_fma_f32 v2, v2, v7, |v6|
	s_branch .LBB4_2
.LBB4_13:
	s_endpgm
	.section	.rodata,"a",@progbits
	.p2align	6, 0x0
	.amdhsa_kernel _ZN2at6native12_GLOBAL__N_16kernel17lstm_cell_forwardIffiLi1EEEvNS_4cuda6detail10TensorInfoIT_T1_EES9_S9_S9_S9_S9_S9_S9_S8_S8_
		.amdhsa_group_segment_fixed_size 0
		.amdhsa_private_segment_fixed_size 0
		.amdhsa_kernarg_size 1992
		.amdhsa_user_sgpr_count 2
		.amdhsa_user_sgpr_dispatch_ptr 0
		.amdhsa_user_sgpr_queue_ptr 0
		.amdhsa_user_sgpr_kernarg_segment_ptr 1
		.amdhsa_user_sgpr_dispatch_id 0
		.amdhsa_user_sgpr_kernarg_preload_length 0
		.amdhsa_user_sgpr_kernarg_preload_offset 0
		.amdhsa_user_sgpr_private_segment_size 0
		.amdhsa_wavefront_size32 1
		.amdhsa_uses_dynamic_stack 0
		.amdhsa_enable_private_segment 0
		.amdhsa_system_sgpr_workgroup_id_x 1
		.amdhsa_system_sgpr_workgroup_id_y 0
		.amdhsa_system_sgpr_workgroup_id_z 0
		.amdhsa_system_sgpr_workgroup_info 0
		.amdhsa_system_vgpr_workitem_id 0
		.amdhsa_next_free_vgpr 34
		.amdhsa_next_free_sgpr 39
		.amdhsa_named_barrier_count 0
		.amdhsa_reserve_vcc 1
		.amdhsa_float_round_mode_32 0
		.amdhsa_float_round_mode_16_64 0
		.amdhsa_float_denorm_mode_32 3
		.amdhsa_float_denorm_mode_16_64 3
		.amdhsa_fp16_overflow 0
		.amdhsa_memory_ordered 1
		.amdhsa_forward_progress 1
		.amdhsa_inst_pref_size 20
		.amdhsa_round_robin_scheduling 0
		.amdhsa_exception_fp_ieee_invalid_op 0
		.amdhsa_exception_fp_denorm_src 0
		.amdhsa_exception_fp_ieee_div_zero 0
		.amdhsa_exception_fp_ieee_overflow 0
		.amdhsa_exception_fp_ieee_underflow 0
		.amdhsa_exception_fp_ieee_inexact 0
		.amdhsa_exception_int_div_zero 0
	.end_amdhsa_kernel
	.section	.text._ZN2at6native12_GLOBAL__N_16kernel17lstm_cell_forwardIffiLi1EEEvNS_4cuda6detail10TensorInfoIT_T1_EES9_S9_S9_S9_S9_S9_S9_S8_S8_,"axG",@progbits,_ZN2at6native12_GLOBAL__N_16kernel17lstm_cell_forwardIffiLi1EEEvNS_4cuda6detail10TensorInfoIT_T1_EES9_S9_S9_S9_S9_S9_S9_S8_S8_,comdat
.Lfunc_end4:
	.size	_ZN2at6native12_GLOBAL__N_16kernel17lstm_cell_forwardIffiLi1EEEvNS_4cuda6detail10TensorInfoIT_T1_EES9_S9_S9_S9_S9_S9_S9_S8_S8_, .Lfunc_end4-_ZN2at6native12_GLOBAL__N_16kernel17lstm_cell_forwardIffiLi1EEEvNS_4cuda6detail10TensorInfoIT_T1_EES9_S9_S9_S9_S9_S9_S9_S8_S8_
                                        ; -- End function
	.set _ZN2at6native12_GLOBAL__N_16kernel17lstm_cell_forwardIffiLi1EEEvNS_4cuda6detail10TensorInfoIT_T1_EES9_S9_S9_S9_S9_S9_S9_S8_S8_.num_vgpr, 34
	.set _ZN2at6native12_GLOBAL__N_16kernel17lstm_cell_forwardIffiLi1EEEvNS_4cuda6detail10TensorInfoIT_T1_EES9_S9_S9_S9_S9_S9_S9_S8_S8_.num_agpr, 0
	.set _ZN2at6native12_GLOBAL__N_16kernel17lstm_cell_forwardIffiLi1EEEvNS_4cuda6detail10TensorInfoIT_T1_EES9_S9_S9_S9_S9_S9_S9_S8_S8_.numbered_sgpr, 39
	.set _ZN2at6native12_GLOBAL__N_16kernel17lstm_cell_forwardIffiLi1EEEvNS_4cuda6detail10TensorInfoIT_T1_EES9_S9_S9_S9_S9_S9_S9_S8_S8_.num_named_barrier, 0
	.set _ZN2at6native12_GLOBAL__N_16kernel17lstm_cell_forwardIffiLi1EEEvNS_4cuda6detail10TensorInfoIT_T1_EES9_S9_S9_S9_S9_S9_S9_S8_S8_.private_seg_size, 0
	.set _ZN2at6native12_GLOBAL__N_16kernel17lstm_cell_forwardIffiLi1EEEvNS_4cuda6detail10TensorInfoIT_T1_EES9_S9_S9_S9_S9_S9_S9_S8_S8_.uses_vcc, 1
	.set _ZN2at6native12_GLOBAL__N_16kernel17lstm_cell_forwardIffiLi1EEEvNS_4cuda6detail10TensorInfoIT_T1_EES9_S9_S9_S9_S9_S9_S9_S8_S8_.uses_flat_scratch, 0
	.set _ZN2at6native12_GLOBAL__N_16kernel17lstm_cell_forwardIffiLi1EEEvNS_4cuda6detail10TensorInfoIT_T1_EES9_S9_S9_S9_S9_S9_S9_S8_S8_.has_dyn_sized_stack, 0
	.set _ZN2at6native12_GLOBAL__N_16kernel17lstm_cell_forwardIffiLi1EEEvNS_4cuda6detail10TensorInfoIT_T1_EES9_S9_S9_S9_S9_S9_S9_S8_S8_.has_recursion, 0
	.set _ZN2at6native12_GLOBAL__N_16kernel17lstm_cell_forwardIffiLi1EEEvNS_4cuda6detail10TensorInfoIT_T1_EES9_S9_S9_S9_S9_S9_S9_S8_S8_.has_indirect_call, 0
	.section	.AMDGPU.csdata,"",@progbits
; Kernel info:
; codeLenInByte = 2456
; TotalNumSgprs: 41
; NumVgprs: 34
; ScratchSize: 0
; MemoryBound: 0
; FloatMode: 240
; IeeeMode: 1
; LDSByteSize: 0 bytes/workgroup (compile time only)
; SGPRBlocks: 0
; VGPRBlocks: 2
; NumSGPRsForWavesPerEU: 41
; NumVGPRsForWavesPerEU: 34
; NamedBarCnt: 0
; Occupancy: 16
; WaveLimiterHint : 1
; COMPUTE_PGM_RSRC2:SCRATCH_EN: 0
; COMPUTE_PGM_RSRC2:USER_SGPR: 2
; COMPUTE_PGM_RSRC2:TRAP_HANDLER: 0
; COMPUTE_PGM_RSRC2:TGID_X_EN: 1
; COMPUTE_PGM_RSRC2:TGID_Y_EN: 0
; COMPUTE_PGM_RSRC2:TGID_Z_EN: 0
; COMPUTE_PGM_RSRC2:TIDIG_COMP_CNT: 0
	.section	.text._ZN2at6native12_GLOBAL__N_16kernel17lstm_cell_forwardIffiLi2EEEvNS_4cuda6detail10TensorInfoIT_T1_EES9_S9_S9_S9_S9_S9_S9_S8_S8_,"axG",@progbits,_ZN2at6native12_GLOBAL__N_16kernel17lstm_cell_forwardIffiLi2EEEvNS_4cuda6detail10TensorInfoIT_T1_EES9_S9_S9_S9_S9_S9_S9_S8_S8_,comdat
	.globl	_ZN2at6native12_GLOBAL__N_16kernel17lstm_cell_forwardIffiLi2EEEvNS_4cuda6detail10TensorInfoIT_T1_EES9_S9_S9_S9_S9_S9_S9_S8_S8_ ; -- Begin function _ZN2at6native12_GLOBAL__N_16kernel17lstm_cell_forwardIffiLi2EEEvNS_4cuda6detail10TensorInfoIT_T1_EES9_S9_S9_S9_S9_S9_S9_S8_S8_
	.p2align	8
	.type	_ZN2at6native12_GLOBAL__N_16kernel17lstm_cell_forwardIffiLi2EEEvNS_4cuda6detail10TensorInfoIT_T1_EES9_S9_S9_S9_S9_S9_S9_S8_S8_,@function
_ZN2at6native12_GLOBAL__N_16kernel17lstm_cell_forwardIffiLi2EEEvNS_4cuda6detail10TensorInfoIT_T1_EES9_S9_S9_S9_S9_S9_S9_S8_S8_: ; @_ZN2at6native12_GLOBAL__N_16kernel17lstm_cell_forwardIffiLi2EEEvNS_4cuda6detail10TensorInfoIT_T1_EES9_S9_S9_S9_S9_S9_S9_S8_S8_
; %bb.0:
	s_clause 0x1
	s_load_b32 s2, s[0:1], 0x6d4
	s_load_b64 s[4:5], s[0:1], 0x6c0
	s_bfe_u32 s3, ttmp6, 0x4000c
	s_and_b32 s6, ttmp6, 15
	s_add_co_i32 s3, s3, 1
	s_getreg_b32 s7, hwreg(HW_REG_IB_STS2, 6, 4)
	s_mul_i32 s3, ttmp9, s3
	s_delay_alu instid0(SALU_CYCLE_1)
	s_add_co_i32 s6, s6, s3
	s_wait_kmcnt 0x0
	s_and_b32 s2, s2, 0xffff
	s_cmp_eq_u32 s7, 0
	s_mov_b32 s7, 0
	s_cselect_b32 s3, ttmp9, s6
	s_delay_alu instid0(SALU_CYCLE_1) | instskip(SKIP_1) | instid1(VALU_DEP_1)
	v_mad_u32 v16, s3, s2, v0
	s_mov_b32 s3, exec_lo
	v_cmpx_gt_i32_e64 s5, v16
	s_cbranch_execz .LBB5_13
; %bb.1:
	s_clause 0x1
	s_load_b64 s[8:9], s[0:1], 0x1b0
	s_load_b32 s33, s[0:1], 0xc
	s_add_nc_u64 s[22:23], s[0:1], 0x6c8
	s_clause 0x5
	s_load_b64 s[10:11], s[0:1], 0x0
	s_load_b64 s[12:13], s[0:1], 0x6c
	s_load_b64 s[14:15], s[0:1], 0xd8
	s_load_b32 s50, s[0:1], 0xe4
	s_load_b64 s[16:17], s[0:1], 0x144
	s_load_b32 s51, s[0:1], 0x21c
	s_load_b32 s57, s[22:23], 0x0
	s_clause 0x4
	s_load_b64 s[18:19], s[0:1], 0x288
	s_load_b32 s52, s[0:1], 0x2f4
	s_load_b64 s[20:21], s[0:1], 0x360
	s_load_b32 s3, s[0:1], 0x36c
	s_load_b32 s53, s[0:1], 0x5f4
	s_wait_xcnt 0x0
	s_clause 0x8
	s_load_b64 s[22:23], s[0:1], 0x3cc
	s_load_b64 s[24:25], s[0:1], 0x438
	s_load_b32 s73, s[0:1], 0x444
	s_load_b64 s[26:27], s[0:1], 0x4a4
	s_load_b64 s[28:29], s[0:1], 0x510
	s_load_b32 s74, s[0:1], 0x51c
	s_load_b64 s[30:31], s[0:1], 0x57c
	s_load_b64 s[34:35], s[0:1], 0x5e8
	;; [unrolled: 1-line block ×3, first 2 shown]
	s_mov_b32 s41, s7
	s_mov_b32 s45, s7
	;; [unrolled: 1-line block ×3, first 2 shown]
	s_mul_i32 s70, s4, 3
	s_mov_b32 s75, 0xbbbac73d
	s_mov_b32 s76, s7
	s_wait_kmcnt 0x0
	s_mul_i32 s57, s57, s2
	s_cmp_lg_u64 s[8:9], 0
	s_cselect_b32 s54, -1, 0
	s_abs_i32 s55, s4
	s_abs_i32 s56, s33
	s_cvt_f32_u32 s6, s55
	s_cvt_f32_u32 s38, s56
	s_abs_i32 s59, s50
	s_abs_i32 s61, s53
	v_rcp_iflag_f32_e32 v0, s6
	v_rcp_iflag_f32_e32 v1, s38
	s_cvt_f32_u32 s1, s59
	s_sub_co_i32 s6, 0, s55
	s_cvt_f32_u32 s39, s61
	s_abs_i32 s62, s3
	s_abs_i32 s64, s73
	v_readfirstlane_b32 s0, v0
	v_readfirstlane_b32 s2, v1
	v_rcp_iflag_f32_e32 v0, s1
	s_abs_i32 s66, s74
	s_sub_co_i32 s42, 0, s61
	s_mul_f32 s0, s0, 0x4f7ffffe
	s_mul_f32 s1, s2, 0x4f7ffffe
	s_sub_co_i32 s2, 0, s56
	s_sub_co_i32 s43, 0, s62
	s_cvt_u32_f32 s0, s0
	s_cvt_u32_f32 s1, s1
	v_nop
	v_readfirstlane_b32 s38, v0
	v_rcp_iflag_f32_e32 v0, s39
	s_mul_i32 s6, s6, s0
	s_mul_i32 s2, s2, s1
	s_mul_hi_u32 s6, s0, s6
	s_sub_co_i32 s47, 0, s66
	s_add_co_i32 s6, s0, s6
	s_mul_hi_u32 s0, s1, s2
	s_mul_f32 s2, s38, 0x4f7ffffe
	s_add_co_i32 s38, s1, s0
	s_cvt_f32_u32 s1, s62
	s_ashr_i32 s58, s4, 31
	s_cvt_u32_f32 s0, s2
	s_sub_co_i32 s2, 0, s59
	v_rcp_iflag_f32_e32 v1, s1
	v_nop
	v_readfirstlane_b32 s1, v0
	s_mul_i32 s2, s2, s0
	s_ashr_i32 s60, s33, 31
	s_mul_hi_u32 s2, s0, s2
	s_mov_b32 s39, s7
	s_add_co_i32 s40, s0, s2
	s_cvt_f32_u32 s2, s64
	s_mul_f32 s0, s1, 0x4f7ffffe
	v_readfirstlane_b32 s1, v1
	s_ashr_i32 s63, s50, 31
	v_rcp_iflag_f32_e32 v0, s2
	s_cvt_f32_u32 s2, s66
	s_cvt_u32_f32 s0, s0
	s_mul_f32 s1, s1, 0x4f7ffffe
	s_ashr_i32 s65, s53, 31
	v_rcp_iflag_f32_e32 v1, s2
	s_mul_i32 s42, s42, s0
	v_nop
	v_readfirstlane_b32 s2, v0
	s_cvt_u32_f32 s1, s1
	s_mul_hi_u32 s42, s0, s42
	s_ashr_i32 s67, s3, 31
	s_add_co_i32 s42, s0, s42
	v_readfirstlane_b32 s46, v1
	s_mul_i32 s0, s43, s1
	s_mul_f32 s2, s2, 0x4f7ffffe
	s_mul_hi_u32 s0, s1, s0
	v_mov_b32_e32 v1, 0
	s_add_co_i32 s44, s1, s0
	s_cvt_u32_f32 s0, s2
	s_mul_f32 s1, s46, 0x4f7ffffe
	s_sub_co_i32 s2, 0, s64
	s_mov_b32 s43, s7
	s_mul_i32 s2, s2, s0
	s_cvt_u32_f32 s1, s1
	s_mul_hi_u32 s2, s0, s2
	s_ashr_i32 s68, s73, 31
	s_add_co_i32 s46, s0, s2
	s_mul_i32 s0, s47, s1
	s_mov_b32 s47, s7
	s_mul_hi_u32 s0, s1, s0
	s_ashr_i32 s69, s74, 31
	s_add_co_i32 s48, s1, s0
	s_sub_co_i32 s71, 0, s4
	s_sub_co_i32 s72, 0, s3
	;; [unrolled: 1-line block ×4, first 2 shown]
	s_branch .LBB5_3
.LBB5_2:                                ;   in Loop: Header=BB5_3 Depth=1
	s_or_b32 exec_lo, exec_lo, s0
	v_mul_u64_e32 v[32:33], s[42:43], v[4:5]
	v_mul_u64_e32 v[36:37], s[46:47], v[0:1]
	v_add_f32_e32 v15, v28, v29
	v_mul_u64_e32 v[28:29], s[42:43], v[2:3]
	v_mul_u64_e32 v[30:31], s[42:43], v[6:7]
	;; [unrolled: 1-line block ×4, first 2 shown]
	v_dual_add_f32 v3, v15, v27 :: v_dual_bitop2_b32 v15, s65, v22 bitop3:0x14
	v_xor_b32_e32 v22, s65, v23
	s_delay_alu instid0(VALU_DEP_2) | instskip(NEXT) | instid1(VALU_DEP_1)
	v_add_f32_e32 v3, v26, v3
	v_mul_f32_e32 v5, 0xbfb8aa3b, v3
	v_cmp_nlt_f32_e32 vcc_lo, 0x42ce8ed0, v3
	v_cmp_ngt_f32_e64 s1, 0xc2b17218, v3
	v_add_nc_u32_e32 v36, 1, v33
	s_delay_alu instid0(VALU_DEP_4)
	v_fma_f32 v7, 0xbfb8aa3b, v3, -v5
	v_rndne_f32_e32 v9, v5
	v_add_nc_u32_e32 v40, 1, v37
	v_mul_lo_u32 v26, v31, s61
	v_mul_lo_u32 v28, v33, s61
	v_fmac_f32_e32 v7, 0xb2a5705f, v3
	v_dual_sub_f32 v5, v5, v9 :: v_dual_bitop2_b32 v23, s65, v24 bitop3:0x14
	v_mul_lo_u32 v30, v35, s61
	v_cvt_i32_f32_e32 v9, v9
	v_add_nc_u32_e32 v41, 1, v39
	s_delay_alu instid0(VALU_DEP_4)
	v_add_f32_e32 v5, v5, v7
	v_mul_lo_u32 v7, v29, s61
	v_mul_lo_u32 v32, v37, s64
	v_dual_sub_nc_u32 v6, v6, v26 :: v_dual_bitop2_b32 v24, s65, v25 bitop3:0x14
	v_add_nc_u32_e32 v27, 1, v31
	v_exp_f32_e32 v5, v5
	v_dual_add_nc_u32 v25, 1, v29 :: v_dual_add_nc_u32 v38, 1, v35
	v_sub_nc_u32_e32 v4, v4, v28
	v_cmp_le_u32_e64 s0, s61, v6
	v_mul_lo_u32 v34, v39, s66
	v_sub_nc_u32_e32 v2, v2, v7
	s_delay_alu instid0(TRANS32_DEP_1) | instskip(SKIP_3) | instid1(VALU_DEP_4)
	v_ldexp_f32 v5, v5, v9
	v_sub_nc_u32_e32 v7, v8, v30
	v_subrev_nc_u32_e32 v28, s61, v4
	v_dual_sub_nc_u32 v8, v0, v32 :: v_dual_cndmask_b32 v26, v31, v27, s0
	v_cndmask_b32_e32 v5, 0, v5, vcc_lo
	v_cmp_le_u32_e32 vcc_lo, s61, v2
	v_cmp_le_u32_e64 s2, s61, v7
	v_subrev_nc_u32_e32 v30, s61, v7
	v_sub_nc_u32_e32 v0, v0, v34
	v_cndmask_b32_e64 v3, 0x7f800000, v5, s1
	v_cmp_le_u32_e64 s1, s61, v4
	v_cndmask_b32_e32 v9, v29, v25, vcc_lo
	v_subrev_nc_u32_e32 v25, s61, v2
	v_subrev_nc_u32_e32 v5, s61, v6
	s_delay_alu instid0(VALU_DEP_4) | instskip(NEXT) | instid1(VALU_DEP_3)
	v_dual_add_f32 v3, 1.0, v3 :: v_dual_cndmask_b32 v27, v33, v36, s1
	v_dual_cndmask_b32 v29, v35, v38, s2 :: v_dual_cndmask_b32 v2, v2, v25, vcc_lo
	s_delay_alu instid0(VALU_DEP_3) | instskip(NEXT) | instid1(VALU_DEP_3)
	v_dual_cndmask_b32 v5, v6, v5, s0 :: v_dual_cndmask_b32 v4, v4, v28, s1
	v_div_scale_f32 v32, null, v3, v3, 1.0
	v_dual_add_nc_u32 v25, 1, v9 :: v_dual_add_nc_u32 v6, 1, v26
	v_dual_add_nc_u32 v28, 1, v27 :: v_dual_cndmask_b32 v7, v7, v30, s2
	s_delay_alu instid0(VALU_DEP_3) | instskip(SKIP_4) | instid1(VALU_DEP_3)
	v_rcp_f32_e32 v33, v32
	v_cmp_le_u32_e32 vcc_lo, s61, v2
	v_cmp_le_u32_e64 s0, s61, v4
	v_subrev_nc_u32_e32 v31, s64, v8
	v_cmp_le_u32_e64 s1, s66, v0
	v_dual_cndmask_b32 v2, v9, v25, vcc_lo :: v_dual_cndmask_b32 v4, v27, v28, s0
	s_delay_alu instid0(TRANS32_DEP_1) | instskip(SKIP_3) | instid1(VALU_DEP_4)
	v_fma_f32 v9, -v32, v33, 1.0
	v_cmp_le_u32_e32 vcc_lo, s61, v5
	v_add_nc_u32_e32 v30, 1, v29
	v_cmp_le_u32_e64 s0, s61, v7
	v_dual_fmac_f32 v33, v9, v33 :: v_dual_bitop2_b32 v2, v2, v15 bitop3:0x14
	v_cndmask_b32_e32 v5, v26, v6, vcc_lo
	v_div_scale_f32 v6, vcc_lo, 1.0, v3, 1.0
	s_delay_alu instid0(VALU_DEP_3)
	v_dual_cndmask_b32 v7, v29, v30, s0 :: v_dual_sub_nc_u32 v2, v2, v15
	v_cmp_le_u32_e64 s0, s64, v8
	v_xor_b32_e32 v4, v4, v23
	v_subrev_nc_u32_e32 v27, s66, v0
	v_cndmask_b32_e64 v28, v39, v41, s1
	v_dual_mul_f32 v9, v6, v33 :: v_dual_bitop2_b32 v5, v5, v22 bitop3:0x14
	v_dual_cndmask_b32 v26, v37, v40, s0 :: v_dual_cndmask_b32 v8, v8, v31, s0
	s_delay_alu instid0(VALU_DEP_3) | instskip(NEXT) | instid1(VALU_DEP_2)
	v_dual_cndmask_b32 v0, v0, v27, s1 :: v_dual_add_nc_u32 v27, 1, v28
	v_dual_add_nc_u32 v29, 1, v26 :: v_dual_bitop2_b32 v30, s68, v21 bitop3:0x14
	s_delay_alu instid0(VALU_DEP_3) | instskip(SKIP_2) | instid1(VALU_DEP_3)
	v_cmp_le_u32_e64 s0, s64, v8
	v_dual_sub_nc_u32 v5, v5, v22 :: v_dual_bitop2_b32 v21, s69, v21 bitop3:0x14
	v_dual_fma_f32 v25, -v32, v9, v6 :: v_dual_bitop2_b32 v7, v7, v24 bitop3:0x14
	v_cndmask_b32_e64 v8, v26, v29, s0
	v_cmp_le_u32_e64 s0, s66, v0
	v_mul_lo_u32 v15, v2, s53
	s_delay_alu instid0(VALU_DEP_4) | instskip(SKIP_1) | instid1(VALU_DEP_4)
	v_dual_sub_nc_u32 v4, v4, v23 :: v_dual_sub_nc_u32 v7, v7, v24
	v_mul_lo_u32 v22, v5, s53
	v_cndmask_b32_e64 v0, v28, v27, s0
	v_xor_b32_e32 v8, v8, v30
	s_delay_alu instid0(VALU_DEP_4) | instskip(SKIP_4) | instid1(VALU_DEP_3)
	v_mul_lo_u32 v23, v4, s53
	v_mul_lo_u32 v24, v7, s53
	v_fmac_f32_e32 v9, v25, v33
	v_dual_sub_nc_u32 v15, v18, v15 :: v_dual_bitop2_b32 v0, v0, v21 bitop3:0x14
	v_sub_nc_u32_e32 v8, v8, v30
	v_dual_fma_f32 v6, -v32, v9, v6 :: v_dual_sub_nc_u32 v17, v17, v22
	s_delay_alu instid0(VALU_DEP_3) | instskip(NEXT) | instid1(VALU_DEP_4)
	v_sub_nc_u32_e32 v0, v0, v21
	v_add_nc_u32_e32 v15, v16, v15
	s_delay_alu instid0(VALU_DEP_4) | instskip(SKIP_1) | instid1(VALU_DEP_4)
	v_mad_u32 v18, s73, v8, v16
	v_dual_sub_nc_u32 v19, v19, v23 :: v_dual_sub_nc_u32 v20, v20, v24
	v_mad_u32 v21, s74, v0, v16
	v_add_nc_u32_e32 v17, v16, v17
	v_mul_lo_u32 v15, v15, s37
	s_delay_alu instid0(VALU_DEP_4)
	v_dual_add_nc_u32 v19, v16, v19 :: v_dual_add_nc_u32 v20, v16, v20
	v_add_nc_u32_e32 v16, s57, v16
	v_div_fmas_f32 v6, v6, v33, v9
	v_mul_lo_u32 v9, v17, s37
	v_mul_lo_u32 v18, v18, s27
	;; [unrolled: 1-line block ×5, first 2 shown]
	v_div_fixup_f32 v3, v6, v3, 1.0
	v_mad_u32 v2, v2, s36, v15
	v_cmp_le_i32_e32 vcc_lo, s5, v16
	v_mad_u32 v5, v5, s36, v9
	v_mad_u32 v6, v8, s26, v18
	;; [unrolled: 1-line block ×3, first 2 shown]
	v_bfi_b32 v8, 0x7fffffff, v10, v14
	v_mad_u32 v0, v0, s30, v21
	v_mad_u32 v7, v7, s36, v19
	s_or_b32 s76, vcc_lo, s76
	s_delay_alu instid0(VALU_DEP_3)
	v_mul_f32_e32 v8, v3, v8
	global_store_b32 v6, v8, s[24:25] scale_offset
	global_store_b32 v0, v14, s[28:29] scale_offset
	s_clause 0x3
	global_store_b32 v2, v13, s[34:35] scale_offset
	global_store_b32 v5, v12, s[34:35] scale_offset
	;; [unrolled: 1-line block ×4, first 2 shown]
	s_wait_xcnt 0x0
	s_and_not1_b32 exec_lo, exec_lo, s76
	s_cbranch_execz .LBB5_13
.LBB5_3:                                ; =>This Inner Loop Header: Depth=1
	v_dual_mov_b32 v7, v1 :: v_dual_sub_nc_u32 v0, 0, v16
	s_delay_alu instid0(VALU_DEP_1) | instskip(NEXT) | instid1(VALU_DEP_1)
	v_dual_mov_b32 v9, v1 :: v_dual_max_i32 v0, v16, v0
	v_mul_u64_e32 v[2:3], s[6:7], v[0:1]
	s_delay_alu instid0(VALU_DEP_1) | instskip(NEXT) | instid1(VALU_DEP_1)
	v_mul_lo_u32 v2, v3, s55
	v_dual_add_nc_u32 v4, 1, v3 :: v_dual_sub_nc_u32 v2, v0, v2
	s_delay_alu instid0(VALU_DEP_1) | instskip(NEXT) | instid1(VALU_DEP_2)
	v_cmp_le_u32_e32 vcc_lo, s55, v2
	v_cndmask_b32_e32 v3, v3, v4, vcc_lo
	v_subrev_nc_u32_e32 v5, s55, v2
	s_delay_alu instid0(VALU_DEP_2) | instskip(NEXT) | instid1(VALU_DEP_2)
	v_dual_ashrrev_i32 v21, 31, v16 :: v_dual_add_nc_u32 v4, 1, v3
	v_cndmask_b32_e32 v2, v2, v5, vcc_lo
	v_mul_u64_e32 v[14:15], s[44:45], v[0:1]
	s_delay_alu instid0(VALU_DEP_2) | instskip(NEXT) | instid1(VALU_DEP_4)
	v_cmp_le_u32_e32 vcc_lo, s55, v2
	v_dual_cndmask_b32 v2, v3, v4, vcc_lo :: v_dual_bitop2_b32 v12, s58, v21 bitop3:0x14
	s_delay_alu instid0(VALU_DEP_1) | instskip(SKIP_1) | instid1(VALU_DEP_2)
	v_xor_b32_e32 v13, v2, v12
	v_mul_i32_i24_e32 v2, 3, v12
	v_lshl_add_u32 v3, v13, 1, v13
	s_delay_alu instid0(VALU_DEP_1) | instskip(NEXT) | instid1(VALU_DEP_1)
	v_dual_sub_nc_u32 v2, v3, v2 :: v_dual_sub_nc_u32 v11, v13, v12
	v_dual_mov_b32 v3, v1 :: v_dual_add_nc_u32 v4, 2, v2
	s_delay_alu instid0(VALU_DEP_2)
	v_mul_lo_u32 v18, s70, v11
	v_mad_u32 v17, s4, v2, s4
	v_add_nc_u32_e32 v2, 3, v2
	v_mul_lo_u32 v6, v15, s62
	v_mul_lo_u32 v19, s4, v4
	v_add_nc_u32_e32 v4, 1, v15
	s_delay_alu instid0(VALU_DEP_4) | instskip(SKIP_1) | instid1(VALU_DEP_4)
	v_mul_lo_u32 v20, s4, v2
	v_dual_mov_b32 v5, v1 :: v_dual_add_nc_u32 v8, v16, v18
	v_dual_add_nc_u32 v2, v16, v17 :: v_dual_add_nc_u32 v10, v16, v19
	s_delay_alu instid0(VALU_DEP_2) | instskip(NEXT) | instid1(VALU_DEP_2)
	v_dual_ashrrev_i32 v22, 31, v8 :: v_dual_sub_nc_u32 v8, v0, v6
	v_ashrrev_i32_e32 v23, 31, v2
	s_delay_alu instid0(VALU_DEP_3) | instskip(NEXT) | instid1(VALU_DEP_3)
	v_ashrrev_i32_e32 v24, 31, v10
	v_add3_u32 v6, v22, v18, v16
	v_add_nc_u32_e32 v14, v16, v20
	v_cmp_le_u32_e32 vcc_lo, s62, v8
	v_subrev_nc_u32_e32 v10, s62, v8
	s_delay_alu instid0(VALU_DEP_4) | instskip(SKIP_2) | instid1(VALU_DEP_3)
	v_dual_cndmask_b32 v36, v15, v4, vcc_lo :: v_dual_bitop2_b32 v2, v6, v22 bitop3:0x14
	v_add3_u32 v4, v23, v17, v16
	v_ashrrev_i32_e32 v25, 31, v14
	v_mul_u64_e32 v[14:15], s[38:39], v[2:3]
	v_mul_u64_e32 v[26:27], s[40:41], v[2:3]
	v_xor_b32_e32 v26, s67, v21
	v_xor_b32_e32 v6, v4, v23
	v_add3_u32 v14, v25, v20, v16
	v_cndmask_b32_e32 v10, v8, v10, vcc_lo
	v_add3_u32 v4, v24, v19, v16
	s_delay_alu instid0(VALU_DEP_4) | instskip(NEXT) | instid1(VALU_DEP_4)
	v_mul_u64_e32 v[28:29], s[38:39], v[6:7]
	v_dual_add_nc_u32 v14, 1, v36 :: v_dual_bitop2_b32 v8, v14, v25 bitop3:0x14
	s_delay_alu instid0(VALU_DEP_4) | instskip(SKIP_2) | instid1(VALU_DEP_4)
	v_cmp_le_u32_e32 vcc_lo, s62, v10
	v_mul_u64_e32 v[30:31], s[40:41], v[6:7]
	v_xor_b32_e32 v28, s60, v23
	v_mul_u64_e32 v[34:35], s[38:39], v[8:9]
	v_mul_u64_e32 v[38:39], s[40:41], v[8:9]
	v_cndmask_b32_e32 v10, v36, v14, vcc_lo
	v_xor_b32_e32 v14, s60, v22
	v_xor_b32_e32 v40, s63, v25
	s_delay_alu instid0(VALU_DEP_3) | instskip(NEXT) | instid1(VALU_DEP_1)
	v_dual_add_nc_u32 v42, 1, v15 :: v_dual_bitop2_b32 v10, v10, v26 bitop3:0x14
	v_dual_sub_nc_u32 v10, v10, v26 :: v_dual_bitop2_b32 v4, v4, v24 bitop3:0x14
	v_mul_lo_u32 v41, v27, s59
	v_mul_lo_u32 v34, v15, s56
	v_add_nc_u32_e32 v43, 1, v27
	s_delay_alu instid0(VALU_DEP_4)
	v_mul_u64_e32 v[32:33], s[38:39], v[4:5]
	v_mul_u64_e32 v[36:37], s[40:41], v[4:5]
	v_mul_lo_u32 v44, v29, s56
	v_xor_b32_e32 v30, s63, v23
	v_dual_add_nc_u32 v45, 1, v29 :: v_dual_bitop2_b32 v26, s63, v22 bitop3:0x14
	v_mul_lo_u32 v46, v31, s59
	v_dual_add_nc_u32 v47, 1, v31 :: v_dual_bitop2_b32 v32, s60, v24 bitop3:0x14
	v_dual_sub_nc_u32 v41, v2, v41 :: v_dual_sub_nc_u32 v34, v2, v34
	v_mul_lo_u32 v50, v35, s56
	v_xor_b32_e32 v38, s63, v24
	v_sub_nc_u32_e32 v44, v6, v44
	s_delay_alu instid0(VALU_DEP_4) | instskip(SKIP_3) | instid1(VALU_DEP_4)
	v_cmp_le_u32_e64 s0, s59, v41
	v_cmp_le_u32_e32 vcc_lo, s56, v34
	v_subrev_nc_u32_e32 v52, s56, v34
	v_dual_add_nc_u32 v53, 1, v39 :: v_dual_bitop2_b32 v36, s60, v25 bitop3:0x14
	v_cndmask_b32_e64 v27, v27, v43, s0
	s_delay_alu instid0(VALU_DEP_3) | instskip(SKIP_2) | instid1(VALU_DEP_2)
	v_dual_cndmask_b32 v15, v15, v42 :: v_dual_cndmask_b32 v34, v34, v52
	v_subrev_nc_u32_e32 v52, s59, v41
	v_dual_add_nc_u32 v42, 1, v35 :: v_dual_sub_nc_u32 v50, v8, v50
	v_dual_cndmask_b32 v41, v41, v52, s0 :: v_dual_add_nc_u32 v52, 1, v27
	s_delay_alu instid0(VALU_DEP_4)
	v_cmp_le_u32_e64 s0, s56, v34
	v_mul_lo_u32 v48, v33, s56
	v_add_nc_u32_e32 v43, 1, v37
	v_cmp_le_u32_e64 s1, s56, v44
	v_sub_nc_u32_e32 v46, v6, v46
	v_mul_lo_u32 v51, v37, s59
	v_add_nc_u32_e32 v49, 1, v33
	v_subrev_nc_u32_e32 v54, s56, v44
	v_cndmask_b32_e64 v29, v29, v45, s1
	v_mul_lo_u32 v45, v39, s59
	v_cmp_le_u32_e32 vcc_lo, s59, v46
	v_subrev_nc_u32_e32 v34, s59, v46
	v_sub_nc_u32_e32 v48, v4, v48
	v_cmp_le_u32_e64 s2, s59, v41
	v_cndmask_b32_e32 v31, v31, v47, vcc_lo
	v_add_nc_u32_e32 v47, 1, v15
	s_delay_alu instid0(VALU_DEP_3) | instskip(SKIP_1) | instid1(VALU_DEP_3)
	v_dual_sub_nc_u32 v51, v4, v51 :: v_dual_cndmask_b32 v27, v27, v52, s2
	v_dual_cndmask_b32 v34, v46, v34 :: v_dual_sub_nc_u32 v45, v8, v45
	v_cndmask_b32_e64 v15, v15, v47, s0
	v_cmp_le_u32_e64 s0, s56, v48
	v_dual_cndmask_b32 v44, v44, v54, s1 :: v_dual_add_nc_u32 v47, 1, v29
	v_cmp_le_u32_e64 s1, s56, v50
	v_cmp_le_u32_e32 vcc_lo, s59, v51
	s_delay_alu instid0(VALU_DEP_4) | instskip(SKIP_4) | instid1(VALU_DEP_3)
	v_cndmask_b32_e64 v33, v33, v49, s0
	v_subrev_nc_u32_e32 v49, s56, v48
	v_cmp_le_u32_e64 s2, s59, v45
	v_dual_cndmask_b32 v35, v35, v42, s1 :: v_dual_add_nc_u32 v41, 1, v31
	v_subrev_nc_u32_e32 v42, s56, v50
	v_dual_cndmask_b32 v37, v37, v43, vcc_lo :: v_dual_cndmask_b32 v39, v39, v53, s2
	v_subrev_nc_u32_e32 v43, s59, v51
	v_cmp_le_u32_e64 s3, s56, v44
	s_delay_alu instid0(VALU_DEP_4) | instskip(SKIP_1) | instid1(VALU_DEP_3)
	v_dual_cndmask_b32 v44, v48, v49, s0 :: v_dual_cndmask_b32 v42, v50, v42, s1
	v_subrev_nc_u32_e32 v46, s59, v45
	v_dual_cndmask_b32 v29, v29, v47, s3 :: v_dual_bitop2_b32 v15, v15, v14 bitop3:0x14
	v_dual_add_nc_u32 v47, 1, v33 :: v_dual_add_nc_u32 v48, 1, v35
	v_cmp_le_u32_e64 s0, s59, v34
	v_cndmask_b32_e32 v34, v51, v43, vcc_lo
	v_cmp_le_u32_e32 vcc_lo, s56, v44
	v_dual_cndmask_b32 v43, v45, v46, s2 :: v_dual_add_nc_u32 v45, 1, v39
	v_sub_nc_u32_e32 v14, v15, v14
	v_dual_cndmask_b32 v31, v31, v41, s0 :: v_dual_bitop2_b32 v15, v29, v28 bitop3:0x14
	v_cndmask_b32_e32 v29, v33, v47, vcc_lo
	v_cmp_le_u32_e32 vcc_lo, s56, v42
	v_dual_add_nc_u32 v41, 1, v37 :: v_dual_bitop2_b32 v27, v27, v26 bitop3:0x14
	s_delay_alu instid0(VALU_DEP_4)
	v_sub_nc_u32_e32 v15, v15, v28
	v_cndmask_b32_e32 v33, v35, v48, vcc_lo
	v_cmp_le_u32_e32 vcc_lo, s59, v34
	v_mul_lo_u32 v35, v14, s33
	v_dual_sub_nc_u32 v26, v27, v26 :: v_dual_bitop2_b32 v28, v29, v32 bitop3:0x14
	v_dual_cndmask_b32 v31, v37, v41, vcc_lo :: v_dual_bitop2_b32 v27, v31, v30 bitop3:0x14
	v_cmp_le_u32_e32 vcc_lo, s59, v43
	v_xor_b32_e32 v29, v33, v36
	s_delay_alu instid0(VALU_DEP_3) | instskip(NEXT) | instid1(VALU_DEP_4)
	v_dual_sub_nc_u32 v28, v28, v32 :: v_dual_sub_nc_u32 v27, v27, v30
	v_xor_b32_e32 v30, v31, v38
	v_cndmask_b32_e32 v34, v39, v45, vcc_lo
	v_mul_lo_u32 v33, v26, s50
	v_dual_sub_nc_u32 v29, v29, v36 :: v_dual_sub_nc_u32 v35, v18, v35
	s_delay_alu instid0(VALU_DEP_4) | instskip(NEXT) | instid1(VALU_DEP_4)
	v_sub_nc_u32_e32 v30, v30, v38
	v_xor_b32_e32 v31, v34, v40
	v_mul_lo_u32 v34, v15, s33
	v_mul_lo_u32 v32, v27, s50
	;; [unrolled: 1-line block ×5, first 2 shown]
	s_and_not1_b32 vcc_lo, exec_lo, s54
	v_dual_sub_nc_u32 v33, v18, v33 :: v_dual_sub_nc_u32 v34, v17, v34
	v_dual_add_nc_u32 v35, v16, v35 :: v_dual_sub_nc_u32 v31, v31, v40
	s_delay_alu instid0(VALU_DEP_2) | instskip(NEXT) | instid1(VALU_DEP_3)
	v_dual_add_nc_u32 v33, v16, v33 :: v_dual_sub_nc_u32 v32, v17, v32
	v_dual_add_nc_u32 v34, v16, v34 :: v_dual_sub_nc_u32 v36, v19, v36
	s_delay_alu instid0(VALU_DEP_3) | instskip(SKIP_1) | instid1(VALU_DEP_4)
	v_mul_lo_u32 v39, v31, s50
	v_dual_sub_nc_u32 v37, v20, v37 :: v_dual_sub_nc_u32 v38, v19, v38
	v_add_nc_u32_e32 v32, v16, v32
	s_delay_alu instid0(VALU_DEP_4) | instskip(SKIP_1) | instid1(VALU_DEP_4)
	v_add_nc_u32_e32 v36, v16, v36
	v_mad_u32 v40, s72, v10, v16
	v_dual_add_nc_u32 v37, v16, v37 :: v_dual_add_nc_u32 v38, v16, v38
	s_delay_alu instid0(VALU_DEP_4)
	v_mul_lo_u32 v32, v32, s17
	v_mul_lo_u32 v35, v35, s13
	v_mul_lo_u32 v34, v34, s13
	v_sub_nc_u32_e32 v39, v20, v39
	v_mul_lo_u32 v38, v38, s17
	v_mul_lo_u32 v36, v36, s13
	v_mul_lo_u32 v37, v37, s13
	v_mul_lo_u32 v33, v33, s17
	v_add_nc_u32_e32 v39, v16, v39
	v_mul_lo_u32 v40, v40, s23
	v_mad_u32 v27, v27, s16, v32
	v_mad_u32 v14, v14, s12, v35
	;; [unrolled: 1-line block ×3, first 2 shown]
	v_dual_mov_b32 v34, v1 :: v_dual_mov_b32 v35, v1
	v_mad_u32 v32, v30, s16, v38
	v_mov_b32_e32 v38, v1
	v_mul_lo_u32 v39, v39, s17
	v_mad_u32 v28, v28, s12, v36
	v_mad_u32 v29, v29, s12, v37
	;; [unrolled: 1-line block ×5, first 2 shown]
	s_clause 0x3
	global_load_b32 v30, v14, s[10:11] scale_offset
	global_load_b32 v14, v15, s[10:11] scale_offset
	;; [unrolled: 1-line block ×4, first 2 shown]
	s_clause 0x3
	global_load_b32 v31, v26, s[14:15] scale_offset
	global_load_b32 v15, v27, s[14:15] scale_offset
	;; [unrolled: 1-line block ×5, first 2 shown]
	s_wait_xcnt 0x2
	v_dual_mov_b32 v32, v1 :: v_dual_mov_b32 v26, v1
	s_wait_xcnt 0x1
	v_dual_mov_b32 v33, v1 :: v_dual_mov_b32 v27, v1
	v_mov_b32_e32 v39, v1
	s_cbranch_vccnz .LBB5_5
; %bb.4:                                ;   in Loop: Header=BB5_3 Depth=1
	v_sub_nc_u32_e32 v12, v12, v13
	v_mad_u32 v11, s71, v11, v16
	s_delay_alu instid0(VALU_DEP_2) | instskip(SKIP_1) | instid1(VALU_DEP_1)
	v_mul_lo_u32 v13, s4, v12
	v_dual_add_nc_u32 v26, 2, v12 :: v_dual_add_nc_u32 v12, 3, v12
	v_mad_u32 v26, s4, v26, v16
	s_delay_alu instid0(VALU_DEP_2) | instskip(SKIP_3) | instid1(VALU_DEP_1)
	v_mad_u32 v12, s4, v12, v16
	v_mul_lo_u32 v27, v11, s51
	v_mul_lo_u32 v11, v11, s52
	v_add3_u32 v13, v13, s4, v16
	v_mul_lo_u32 v32, v13, s51
	v_mul_lo_u32 v33, v26, s51
	;; [unrolled: 1-line block ×6, first 2 shown]
	s_clause 0x3
	global_load_b32 v35, v27, s[8:9] scale_offset
	global_load_b32 v34, v32, s[8:9] scale_offset
	;; [unrolled: 1-line block ×4, first 2 shown]
	s_clause 0x3
	global_load_b32 v33, v11, s[18:19] scale_offset
	global_load_b32 v32, v13, s[18:19] scale_offset
	;; [unrolled: 1-line block ×4, first 2 shown]
.LBB5_5:                                ;   in Loop: Header=BB5_3 Depth=1
	s_wait_loadcnt 0x2
	v_add_f32_e32 v11, v36, v37
                                        ; implicit-def: $vgpr12
	s_delay_alu instid0(VALU_DEP_1) | instskip(SKIP_1) | instid1(VALU_DEP_1)
	v_add_f32_e32 v11, v11, v39
	s_wait_loadcnt 0x1
	v_add_f32_e32 v11, v38, v11
	s_delay_alu instid0(VALU_DEP_1) | instskip(SKIP_2) | instid1(SALU_CYCLE_1)
	v_cmp_ngt_f32_e64 s0, 0x3f200000, |v11|
	s_wait_xcnt 0x0
	s_and_saveexec_b32 s1, s0
	s_xor_b32 s0, exec_lo, s1
	s_cbranch_execz .LBB5_7
; %bb.6:                                ;   in Loop: Header=BB5_3 Depth=1
	v_add_f32_e64 v12, |v11|, |v11|
	s_delay_alu instid0(VALU_DEP_1) | instskip(SKIP_1) | instid1(VALU_DEP_2)
	v_mul_f32_e32 v13, 0x3fb8aa3b, v12
	v_cmp_ngt_f32_e32 vcc_lo, 0xc2ce8ed0, v12
	v_rndne_f32_e32 v36, v13
	v_fma_f32 v37, 0x3fb8aa3b, v12, -v13
	s_delay_alu instid0(VALU_DEP_2) | instskip(NEXT) | instid1(VALU_DEP_2)
	v_sub_f32_e32 v13, v13, v36
	v_fmac_f32_e32 v37, 0x32a5705f, v12
	v_cvt_i32_f32_e32 v36, v36
	s_delay_alu instid0(VALU_DEP_2) | instskip(NEXT) | instid1(VALU_DEP_1)
	v_add_f32_e32 v13, v13, v37
	v_exp_f32_e32 v13, v13
	v_nop
	s_delay_alu instid0(TRANS32_DEP_1) | instskip(NEXT) | instid1(VALU_DEP_1)
	v_ldexp_f32 v13, v13, v36
	v_cndmask_b32_e32 v13, 0, v13, vcc_lo
	v_cmp_nlt_f32_e32 vcc_lo, 0x42b17218, v12
	s_delay_alu instid0(VALU_DEP_2) | instskip(NEXT) | instid1(VALU_DEP_1)
	v_cndmask_b32_e32 v12, 0x7f800000, v13, vcc_lo
	v_add_f32_e32 v12, 1.0, v12
	s_delay_alu instid0(VALU_DEP_1) | instskip(SKIP_1) | instid1(TRANS32_DEP_1)
	v_rcp_f32_e32 v12, v12
	v_nop
	v_fma_f32 v12, v12, -2.0, 1.0
.LBB5_7:                                ;   in Loop: Header=BB5_3 Depth=1
	s_and_not1_saveexec_b32 s0, s0
	s_cbranch_execz .LBB5_9
; %bb.8:                                ;   in Loop: Header=BB5_3 Depth=1
	v_mul_f32_e32 v12, v11, v11
	s_delay_alu instid0(VALU_DEP_1) | instskip(NEXT) | instid1(VALU_DEP_1)
	v_fmaak_f32 v13, s75, v12, 0x3ca908c9
	v_fmaak_f32 v13, v12, v13, 0xbd5c1c4e
	s_delay_alu instid0(VALU_DEP_1) | instskip(NEXT) | instid1(VALU_DEP_1)
	v_fmaak_f32 v13, v12, v13, 0x3e088382
	v_fmaak_f32 v13, v12, v13, 0xbeaaaa99
	s_delay_alu instid0(VALU_DEP_1) | instskip(NEXT) | instid1(VALU_DEP_1)
	v_mul_f32_e64 v13, |v11|, v13
	v_fma_f32 v12, v12, v13, |v11|
.LBB5_9:                                ;   in Loop: Header=BB5_3 Depth=1
	s_or_b32 exec_lo, exec_lo, s0
	v_add_f32_e32 v14, v14, v15
	s_delay_alu instid0(VALU_DEP_2) | instskip(NEXT) | instid1(VALU_DEP_2)
	v_bfi_b32 v11, 0x7fffffff, v12, v11
	v_add_f32_e32 v14, v14, v34
	s_delay_alu instid0(VALU_DEP_1) | instskip(NEXT) | instid1(VALU_DEP_1)
	v_dual_add_f32 v13, v30, v31 :: v_dual_add_f32 v14, v32, v14
	v_dual_add_f32 v13, v13, v35 :: v_dual_mul_f32 v30, 0xbfb8aa3b, v14
	s_delay_alu instid0(VALU_DEP_1) | instskip(NEXT) | instid1(VALU_DEP_2)
	v_add_f32_e32 v13, v33, v13
	v_fma_f32 v33, 0xbfb8aa3b, v14, -v30
	s_delay_alu instid0(VALU_DEP_2) | instskip(SKIP_2) | instid1(VALU_DEP_4)
	v_mul_f32_e32 v15, 0xbfb8aa3b, v13
	v_rndne_f32_e32 v34, v30
	v_cmp_nlt_f32_e32 vcc_lo, 0x42ce8ed0, v13
	v_fmac_f32_e32 v33, 0xb2a5705f, v14
	s_delay_alu instid0(VALU_DEP_4) | instskip(SKIP_1) | instid1(VALU_DEP_2)
	v_fma_f32 v31, 0xbfb8aa3b, v13, -v15
	v_rndne_f32_e32 v32, v15
	v_dual_sub_f32 v30, v30, v34 :: v_dual_fmac_f32 v31, 0xb2a5705f, v13
	s_delay_alu instid0(VALU_DEP_1) | instskip(NEXT) | instid1(VALU_DEP_1)
	v_dual_sub_f32 v15, v15, v32 :: v_dual_add_f32 v30, v30, v33
	v_add_f32_e32 v15, v15, v31
	v_cvt_i32_f32_e32 v31, v32
	v_cvt_i32_f32_e32 v32, v34
	s_delay_alu instid0(VALU_DEP_4) | instskip(NEXT) | instid1(VALU_DEP_3)
	v_exp_f32_e32 v30, v30
	v_exp_f32_e32 v15, v15
	s_delay_alu instid0(TRANS32_DEP_2) | instskip(NEXT) | instid1(TRANS32_DEP_1)
	v_ldexp_f32 v30, v30, v32
	v_ldexp_f32 v15, v15, v31
	s_delay_alu instid0(VALU_DEP_1) | instskip(SKIP_1) | instid1(VALU_DEP_4)
	v_cndmask_b32_e32 v15, 0, v15, vcc_lo
	v_cmp_nlt_f32_e32 vcc_lo, 0x42ce8ed0, v14
	v_cndmask_b32_e32 v30, 0, v30, vcc_lo
	v_cmp_ngt_f32_e32 vcc_lo, 0xc2b17218, v13
	s_delay_alu instid0(VALU_DEP_4) | instskip(SKIP_1) | instid1(VALU_DEP_4)
	v_cndmask_b32_e32 v15, 0x7f800000, v15, vcc_lo
	v_cmp_ngt_f32_e32 vcc_lo, 0xc2b17218, v14
	v_cndmask_b32_e32 v14, 0x7f800000, v30, vcc_lo
	s_delay_alu instid0(VALU_DEP_1) | instskip(NEXT) | instid1(VALU_DEP_1)
	v_pk_add_f32 v[14:15], v[14:15], 1.0 op_sel_hi:[1,0]
	v_div_scale_f32 v13, null, v15, v15, 1.0
	s_delay_alu instid0(VALU_DEP_2) | instskip(SKIP_1) | instid1(VALU_DEP_3)
	v_div_scale_f32 v30, null, v14, v14, 1.0
	v_div_scale_f32 v35, vcc_lo, 1.0, v15, 1.0
	v_rcp_f32_e32 v31, v13
	s_delay_alu instid0(VALU_DEP_2) | instskip(NEXT) | instid1(TRANS32_DEP_2)
	v_rcp_f32_e32 v32, v30
	v_fma_f32 v33, -v13, v31, 1.0
	s_delay_alu instid0(TRANS32_DEP_1) | instskip(NEXT) | instid1(VALU_DEP_2)
	v_fma_f32 v34, -v30, v32, 1.0
	v_fmac_f32_e32 v31, v33, v31
	v_div_scale_f32 v33, s0, 1.0, v14, 1.0
	s_delay_alu instid0(VALU_DEP_3) | instskip(NEXT) | instid1(VALU_DEP_1)
	v_fmac_f32_e32 v32, v34, v32
	v_dual_mul_f32 v36, v33, v32 :: v_dual_mul_f32 v34, v35, v31
	s_delay_alu instid0(VALU_DEP_1) | instskip(NEXT) | instid1(VALU_DEP_1)
	v_dual_fma_f32 v38, -v30, v36, v33 :: v_dual_fma_f32 v37, -v13, v34, v35
	v_dual_fmac_f32 v36, v38, v32 :: v_dual_fmac_f32 v34, v37, v31
	s_delay_alu instid0(VALU_DEP_1) | instskip(NEXT) | instid1(VALU_DEP_1)
	v_dual_fma_f32 v30, -v30, v36, v33 :: v_dual_fma_f32 v13, -v13, v34, v35
	v_div_fmas_f32 v13, v13, v31, v34
	s_mov_b32 vcc_lo, s0
	s_delay_alu instid0(VALU_DEP_2) | instskip(NEXT) | instid1(VALU_DEP_2)
	v_div_fmas_f32 v30, v30, v32, v36
	v_div_fixup_f32 v13, v13, v15, 1.0
	s_delay_alu instid0(VALU_DEP_2) | instskip(NEXT) | instid1(VALU_DEP_2)
	v_div_fixup_f32 v12, v30, v14, 1.0
	v_mul_f32_e32 v14, v11, v13
	s_wait_loadcnt 0x0
	s_delay_alu instid0(VALU_DEP_1) | instskip(NEXT) | instid1(VALU_DEP_1)
	v_pk_fma_f32 v[14:15], v[10:11], v[12:13], v[14:15] op_sel_hi:[1,1,0]
                                        ; implicit-def: $vgpr10
	v_cmp_ngt_f32_e64 s0, 0x3f200000, |v14|
	s_and_saveexec_b32 s1, s0
	s_delay_alu instid0(SALU_CYCLE_1)
	s_xor_b32 s0, exec_lo, s1
	s_cbranch_execz .LBB5_11
; %bb.10:                               ;   in Loop: Header=BB5_3 Depth=1
	v_add_f32_e64 v10, |v14|, |v14|
	s_delay_alu instid0(VALU_DEP_1) | instskip(SKIP_1) | instid1(VALU_DEP_2)
	v_mul_f32_e32 v15, 0x3fb8aa3b, v10
	v_cmp_ngt_f32_e32 vcc_lo, 0xc2ce8ed0, v10
	v_rndne_f32_e32 v30, v15
	v_fma_f32 v31, 0x3fb8aa3b, v10, -v15
	s_delay_alu instid0(VALU_DEP_2) | instskip(NEXT) | instid1(VALU_DEP_2)
	v_sub_f32_e32 v15, v15, v30
	v_fmac_f32_e32 v31, 0x32a5705f, v10
	v_cvt_i32_f32_e32 v30, v30
	s_delay_alu instid0(VALU_DEP_2) | instskip(NEXT) | instid1(VALU_DEP_1)
	v_add_f32_e32 v15, v15, v31
	v_exp_f32_e32 v15, v15
	v_nop
	s_delay_alu instid0(TRANS32_DEP_1) | instskip(NEXT) | instid1(VALU_DEP_1)
	v_ldexp_f32 v15, v15, v30
	v_cndmask_b32_e32 v15, 0, v15, vcc_lo
	v_cmp_nlt_f32_e32 vcc_lo, 0x42b17218, v10
	s_delay_alu instid0(VALU_DEP_2) | instskip(NEXT) | instid1(VALU_DEP_1)
	v_cndmask_b32_e32 v10, 0x7f800000, v15, vcc_lo
	v_add_f32_e32 v10, 1.0, v10
	s_delay_alu instid0(VALU_DEP_1) | instskip(SKIP_1) | instid1(TRANS32_DEP_1)
	v_rcp_f32_e32 v10, v10
	v_nop
	v_fma_f32 v10, v10, -2.0, 1.0
.LBB5_11:                               ;   in Loop: Header=BB5_3 Depth=1
	s_and_not1_saveexec_b32 s0, s0
	s_cbranch_execz .LBB5_2
; %bb.12:                               ;   in Loop: Header=BB5_3 Depth=1
	v_mul_f32_e32 v10, v14, v14
	s_delay_alu instid0(VALU_DEP_1) | instskip(NEXT) | instid1(VALU_DEP_1)
	v_fmaak_f32 v15, s75, v10, 0x3ca908c9
	v_fmaak_f32 v15, v10, v15, 0xbd5c1c4e
	s_delay_alu instid0(VALU_DEP_1) | instskip(NEXT) | instid1(VALU_DEP_1)
	v_fmaak_f32 v15, v10, v15, 0x3e088382
	v_fmaak_f32 v15, v10, v15, 0xbeaaaa99
	s_delay_alu instid0(VALU_DEP_1) | instskip(NEXT) | instid1(VALU_DEP_1)
	v_mul_f32_e64 v15, |v14|, v15
	v_fma_f32 v10, v10, v15, |v14|
	s_branch .LBB5_2
.LBB5_13:
	s_endpgm
	.section	.rodata,"a",@progbits
	.p2align	6, 0x0
	.amdhsa_kernel _ZN2at6native12_GLOBAL__N_16kernel17lstm_cell_forwardIffiLi2EEEvNS_4cuda6detail10TensorInfoIT_T1_EES9_S9_S9_S9_S9_S9_S9_S8_S8_
		.amdhsa_group_segment_fixed_size 0
		.amdhsa_private_segment_fixed_size 0
		.amdhsa_kernarg_size 1992
		.amdhsa_user_sgpr_count 2
		.amdhsa_user_sgpr_dispatch_ptr 0
		.amdhsa_user_sgpr_queue_ptr 0
		.amdhsa_user_sgpr_kernarg_segment_ptr 1
		.amdhsa_user_sgpr_dispatch_id 0
		.amdhsa_user_sgpr_kernarg_preload_length 0
		.amdhsa_user_sgpr_kernarg_preload_offset 0
		.amdhsa_user_sgpr_private_segment_size 0
		.amdhsa_wavefront_size32 1
		.amdhsa_uses_dynamic_stack 0
		.amdhsa_enable_private_segment 0
		.amdhsa_system_sgpr_workgroup_id_x 1
		.amdhsa_system_sgpr_workgroup_id_y 0
		.amdhsa_system_sgpr_workgroup_id_z 0
		.amdhsa_system_sgpr_workgroup_info 0
		.amdhsa_system_vgpr_workitem_id 0
		.amdhsa_next_free_vgpr 55
		.amdhsa_next_free_sgpr 77
		.amdhsa_named_barrier_count 0
		.amdhsa_reserve_vcc 1
		.amdhsa_float_round_mode_32 0
		.amdhsa_float_round_mode_16_64 0
		.amdhsa_float_denorm_mode_32 3
		.amdhsa_float_denorm_mode_16_64 3
		.amdhsa_fp16_overflow 0
		.amdhsa_memory_ordered 1
		.amdhsa_forward_progress 1
		.amdhsa_inst_pref_size 36
		.amdhsa_round_robin_scheduling 0
		.amdhsa_exception_fp_ieee_invalid_op 0
		.amdhsa_exception_fp_denorm_src 0
		.amdhsa_exception_fp_ieee_div_zero 0
		.amdhsa_exception_fp_ieee_overflow 0
		.amdhsa_exception_fp_ieee_underflow 0
		.amdhsa_exception_fp_ieee_inexact 0
		.amdhsa_exception_int_div_zero 0
	.end_amdhsa_kernel
	.section	.text._ZN2at6native12_GLOBAL__N_16kernel17lstm_cell_forwardIffiLi2EEEvNS_4cuda6detail10TensorInfoIT_T1_EES9_S9_S9_S9_S9_S9_S9_S8_S8_,"axG",@progbits,_ZN2at6native12_GLOBAL__N_16kernel17lstm_cell_forwardIffiLi2EEEvNS_4cuda6detail10TensorInfoIT_T1_EES9_S9_S9_S9_S9_S9_S9_S8_S8_,comdat
.Lfunc_end5:
	.size	_ZN2at6native12_GLOBAL__N_16kernel17lstm_cell_forwardIffiLi2EEEvNS_4cuda6detail10TensorInfoIT_T1_EES9_S9_S9_S9_S9_S9_S9_S8_S8_, .Lfunc_end5-_ZN2at6native12_GLOBAL__N_16kernel17lstm_cell_forwardIffiLi2EEEvNS_4cuda6detail10TensorInfoIT_T1_EES9_S9_S9_S9_S9_S9_S9_S8_S8_
                                        ; -- End function
	.set _ZN2at6native12_GLOBAL__N_16kernel17lstm_cell_forwardIffiLi2EEEvNS_4cuda6detail10TensorInfoIT_T1_EES9_S9_S9_S9_S9_S9_S9_S8_S8_.num_vgpr, 55
	.set _ZN2at6native12_GLOBAL__N_16kernel17lstm_cell_forwardIffiLi2EEEvNS_4cuda6detail10TensorInfoIT_T1_EES9_S9_S9_S9_S9_S9_S9_S8_S8_.num_agpr, 0
	.set _ZN2at6native12_GLOBAL__N_16kernel17lstm_cell_forwardIffiLi2EEEvNS_4cuda6detail10TensorInfoIT_T1_EES9_S9_S9_S9_S9_S9_S9_S8_S8_.numbered_sgpr, 77
	.set _ZN2at6native12_GLOBAL__N_16kernel17lstm_cell_forwardIffiLi2EEEvNS_4cuda6detail10TensorInfoIT_T1_EES9_S9_S9_S9_S9_S9_S9_S8_S8_.num_named_barrier, 0
	.set _ZN2at6native12_GLOBAL__N_16kernel17lstm_cell_forwardIffiLi2EEEvNS_4cuda6detail10TensorInfoIT_T1_EES9_S9_S9_S9_S9_S9_S9_S8_S8_.private_seg_size, 0
	.set _ZN2at6native12_GLOBAL__N_16kernel17lstm_cell_forwardIffiLi2EEEvNS_4cuda6detail10TensorInfoIT_T1_EES9_S9_S9_S9_S9_S9_S9_S8_S8_.uses_vcc, 1
	.set _ZN2at6native12_GLOBAL__N_16kernel17lstm_cell_forwardIffiLi2EEEvNS_4cuda6detail10TensorInfoIT_T1_EES9_S9_S9_S9_S9_S9_S9_S8_S8_.uses_flat_scratch, 0
	.set _ZN2at6native12_GLOBAL__N_16kernel17lstm_cell_forwardIffiLi2EEEvNS_4cuda6detail10TensorInfoIT_T1_EES9_S9_S9_S9_S9_S9_S9_S8_S8_.has_dyn_sized_stack, 0
	.set _ZN2at6native12_GLOBAL__N_16kernel17lstm_cell_forwardIffiLi2EEEvNS_4cuda6detail10TensorInfoIT_T1_EES9_S9_S9_S9_S9_S9_S9_S8_S8_.has_recursion, 0
	.set _ZN2at6native12_GLOBAL__N_16kernel17lstm_cell_forwardIffiLi2EEEvNS_4cuda6detail10TensorInfoIT_T1_EES9_S9_S9_S9_S9_S9_S9_S8_S8_.has_indirect_call, 0
	.section	.AMDGPU.csdata,"",@progbits
; Kernel info:
; codeLenInByte = 4520
; TotalNumSgprs: 79
; NumVgprs: 55
; ScratchSize: 0
; MemoryBound: 0
; FloatMode: 240
; IeeeMode: 1
; LDSByteSize: 0 bytes/workgroup (compile time only)
; SGPRBlocks: 0
; VGPRBlocks: 3
; NumSGPRsForWavesPerEU: 79
; NumVGPRsForWavesPerEU: 55
; NamedBarCnt: 0
; Occupancy: 16
; WaveLimiterHint : 1
; COMPUTE_PGM_RSRC2:SCRATCH_EN: 0
; COMPUTE_PGM_RSRC2:USER_SGPR: 2
; COMPUTE_PGM_RSRC2:TRAP_HANDLER: 0
; COMPUTE_PGM_RSRC2:TGID_X_EN: 1
; COMPUTE_PGM_RSRC2:TGID_Y_EN: 0
; COMPUTE_PGM_RSRC2:TGID_Z_EN: 0
; COMPUTE_PGM_RSRC2:TIDIG_COMP_CNT: 0
	.section	.text._ZN2at6native12_GLOBAL__N_16kernel17lstm_cell_forwardIfflLi1EEEvNS_4cuda6detail10TensorInfoIT_T1_EES9_S9_S9_S9_S9_S9_S9_S8_S8_,"axG",@progbits,_ZN2at6native12_GLOBAL__N_16kernel17lstm_cell_forwardIfflLi1EEEvNS_4cuda6detail10TensorInfoIT_T1_EES9_S9_S9_S9_S9_S9_S9_S8_S8_,comdat
	.globl	_ZN2at6native12_GLOBAL__N_16kernel17lstm_cell_forwardIfflLi1EEEvNS_4cuda6detail10TensorInfoIT_T1_EES9_S9_S9_S9_S9_S9_S9_S8_S8_ ; -- Begin function _ZN2at6native12_GLOBAL__N_16kernel17lstm_cell_forwardIfflLi1EEEvNS_4cuda6detail10TensorInfoIT_T1_EES9_S9_S9_S9_S9_S9_S9_S8_S8_
	.p2align	8
	.type	_ZN2at6native12_GLOBAL__N_16kernel17lstm_cell_forwardIfflLi1EEEvNS_4cuda6detail10TensorInfoIT_T1_EES9_S9_S9_S9_S9_S9_S9_S8_S8_,@function
_ZN2at6native12_GLOBAL__N_16kernel17lstm_cell_forwardIfflLi1EEEvNS_4cuda6detail10TensorInfoIT_T1_EES9_S9_S9_S9_S9_S9_S9_S8_S8_: ; @_ZN2at6native12_GLOBAL__N_16kernel17lstm_cell_forwardIfflLi1EEEvNS_4cuda6detail10TensorInfoIT_T1_EES9_S9_S9_S9_S9_S9_S9_S8_S8_
; %bb.0:
	s_clause 0x1
	s_load_b32 s2, s[0:1], 0xd1c
	s_load_b128 s[4:7], s[0:1], 0xd00
	s_bfe_u32 s3, ttmp6, 0x4000c
	s_and_b32 s8, ttmp6, 15
	s_add_co_i32 s3, s3, 1
	s_getreg_b32 s9, hwreg(HW_REG_IB_STS2, 6, 4)
	s_mul_i32 s3, ttmp9, s3
	v_mov_b32_e32 v2, 0
	s_add_co_i32 s8, s8, s3
	s_delay_alu instid0(VALU_DEP_1)
	v_mov_b32_e32 v1, v2
	s_wait_kmcnt 0x0
	s_and_b32 s2, s2, 0xffff
	s_cmp_eq_u32 s9, 0
	s_cselect_b32 s3, ttmp9, s8
	s_mov_b32 s8, exec_lo
	v_mad_u32 v0, s3, s2, v0
	s_mov_b32 s3, 0
	s_delay_alu instid0(VALU_DEP_1)
	v_cmpx_gt_i64_e64 s[6:7], v[0:1]
	s_cbranch_execz .LBB6_18
; %bb.1:
	s_clause 0x3
	s_load_b64 s[38:39], s[0:1], 0x750
	s_load_b64 s[40:41], s[0:1], 0x8f0
	;; [unrolled: 1-line block ×4, first 2 shown]
	v_cvt_f32_u32_e32 v3, s4
	s_add_nc_u64 s[14:15], s[0:1], 0xd10
	s_clause 0x1
	s_load_b64 s[10:11], s[0:1], 0xb60
	s_load_b64 s[12:13], s[0:1], 0xc30
	s_load_b32 s28, s[14:15], 0x0
	s_clause 0x1
	s_load_b64 s[44:45], s[0:1], 0x820
	s_load_b64 s[46:47], s[0:1], 0x680
	v_rcp_iflag_f32_e32 v3, v3
	s_wait_xcnt 0x0
	s_clause 0x2
	s_load_b64 s[14:15], s[0:1], 0x410
	s_load_b64 s[16:17], s[0:1], 0x4e0
	;; [unrolled: 1-line block ×3, first 2 shown]
	s_mov_b32 s29, s3
	s_mul_u64 s[30:31], s[4:5], 3
	s_sub_nc_u64 s[34:35], 0, s[4:5]
	s_mov_b64 s[36:37], 0xffffffff
	v_nop
	v_mul_f32_e32 v3, 0x4f7ffffe, v3
	s_wait_kmcnt 0x0
	v_mul_u64_e32 v[4:5], s[38:39], v[0:1]
	v_mul_u64_e32 v[6:7], s[40:41], v[0:1]
	;; [unrolled: 1-line block ×3, first 2 shown]
	v_cvt_u32_f32_e32 v3, v3
	s_cmp_lg_u64 s[8:9], 0
	s_cselect_b32 s33, -1, 0
	s_sub_co_i32 s20, 0, s4
	s_mul_i32 s28, s28, s2
	v_mul_lo_u32 v10, s20, v3
	s_clause 0x4
	s_load_b64 s[48:49], s[0:1], 0x9c0
	s_load_b64 s[20:21], s[0:1], 0x0
	;; [unrolled: 1-line block ×5, first 2 shown]
	s_wait_xcnt 0x0
	s_mul_u64 s[0:1], s[28:29], s[38:39]
	s_mul_u64 s[40:41], s[28:29], s[40:41]
	;; [unrolled: 1-line block ×3, first 2 shown]
	s_lshl_b64 s[38:39], s[0:1], 2
	s_lshl_b64 s[40:41], s[40:41], 2
	;; [unrolled: 1-line block ×3, first 2 shown]
	s_mov_b32 s1, 0xbbbac73d
	v_mul_hi_u32 v10, v3, v10
	s_delay_alu instid0(VALU_DEP_1)
	v_add_nc_u32_e32 v24, v3, v10
	v_lshl_add_u64 v[4:5], v[4:5], 2, s[46:47]
	v_lshl_add_u64 v[6:7], v[6:7], 2, s[44:45]
	s_wait_kmcnt 0x0
	v_lshl_add_u64 v[8:9], v[8:9], 2, s[48:49]
	s_ashr_i32 s44, s5, 31
	s_mov_b32 s48, 0
	s_branch .LBB6_3
.LBB6_2:                                ;   in Loop: Header=BB6_3 Depth=1
	s_or_b32 exec_lo, exec_lo, s0
	v_add_f32_e32 v3, v3, v25
	s_delay_alu instid0(VALU_DEP_2)
	v_bfi_b32 v18, 0x7fffffff, v18, v22
	v_mul_u64_e32 v[16:17], s[12:13], v[16:17]
	v_mul_u64_e32 v[12:13], s[12:13], v[12:13]
	;; [unrolled: 1-line block ×3, first 2 shown]
	v_add_f32_e32 v3, v3, v26
	v_mul_u64_e32 v[10:11], s[12:13], v[10:11]
	v_add_nc_u64_e32 v[0:1], s[28:29], v[0:1]
	v_add_nc_u64_e32 v[4:5], s[38:39], v[4:5]
	s_delay_alu instid0(VALU_DEP_4) | instskip(NEXT) | instid1(VALU_DEP_1)
	v_add_f32_e32 v3, v27, v3
	v_mul_f32_e32 v23, 0xbfb8aa3b, v3
	v_cmp_nlt_f32_e32 vcc_lo, 0x42ce8ed0, v3
	s_delay_alu instid0(VALU_DEP_2) | instskip(SKIP_1) | instid1(VALU_DEP_2)
	v_fma_f32 v25, 0xbfb8aa3b, v3, -v23
	v_rndne_f32_e32 v26, v23
	v_fmac_f32_e32 v25, 0xb2a5705f, v3
	s_delay_alu instid0(VALU_DEP_2) | instskip(NEXT) | instid1(VALU_DEP_1)
	v_sub_f32_e32 v23, v23, v26
	v_add_f32_e32 v23, v23, v25
	v_cvt_i32_f32_e32 v25, v26
	v_lshl_add_u64 v[16:17], v[16:17], 2, s[10:11]
	v_lshl_add_u64 v[12:13], v[12:13], 2, s[10:11]
	s_delay_alu instid0(VALU_DEP_4) | instskip(SKIP_2) | instid1(TRANS32_DEP_1)
	v_exp_f32_e32 v23, v23
	v_lshl_add_u64 v[14:15], v[14:15], 2, s[10:11]
	v_lshl_add_u64 v[10:11], v[10:11], 2, s[10:11]
	v_ldexp_f32 v23, v23, v25
	s_delay_alu instid0(VALU_DEP_1) | instskip(SKIP_1) | instid1(VALU_DEP_2)
	v_cndmask_b32_e32 v23, 0, v23, vcc_lo
	v_cmp_ngt_f32_e32 vcc_lo, 0xc2b17218, v3
	v_cndmask_b32_e32 v3, 0x7f800000, v23, vcc_lo
	s_delay_alu instid0(VALU_DEP_1) | instskip(NEXT) | instid1(VALU_DEP_1)
	v_add_f32_e32 v3, 1.0, v3
	v_div_scale_f32 v23, null, v3, v3, 1.0
	v_div_scale_f32 v27, vcc_lo, 1.0, v3, 1.0
	s_delay_alu instid0(VALU_DEP_2) | instskip(SKIP_1) | instid1(TRANS32_DEP_1)
	v_rcp_f32_e32 v25, v23
	v_nop
	v_fma_f32 v26, -v23, v25, 1.0
	s_delay_alu instid0(VALU_DEP_1) | instskip(NEXT) | instid1(VALU_DEP_1)
	v_fmac_f32_e32 v25, v26, v25
	v_mul_f32_e32 v26, v27, v25
	s_delay_alu instid0(VALU_DEP_1) | instskip(NEXT) | instid1(VALU_DEP_1)
	v_fma_f32 v28, -v23, v26, v27
	v_fmac_f32_e32 v26, v28, v25
	s_delay_alu instid0(VALU_DEP_1) | instskip(NEXT) | instid1(VALU_DEP_1)
	v_fma_f32 v23, -v23, v26, v27
	v_div_fmas_f32 v23, v23, v25, v26
	v_cmp_le_i64_e32 vcc_lo, s[6:7], v[0:1]
	s_delay_alu instid0(VALU_DEP_2) | instskip(SKIP_1) | instid1(VALU_DEP_1)
	v_div_fixup_f32 v3, v23, v3, 1.0
	s_or_b32 s48, vcc_lo, s48
	v_mul_f32_e32 v18, v3, v18
	global_store_b32 v[6:7], v18, off
	global_store_b32 v[8:9], v22, off
	s_wait_xcnt 0x1
	v_add_nc_u64_e32 v[6:7], s[40:41], v[6:7]
	s_wait_xcnt 0x0
	v_add_nc_u64_e32 v[8:9], s[42:43], v[8:9]
	s_clause 0x3
	global_store_b32 v[16:17], v21, off
	global_store_b32 v[14:15], v20, off
	;; [unrolled: 1-line block ×4, first 2 shown]
	s_wait_xcnt 0x0
	s_and_not1_b32 exec_lo, exec_lo, s48
	s_cbranch_execz .LBB6_18
.LBB6_3:                                ; =>This Inner Loop Header: Depth=1
	v_or_b32_e32 v3, s5, v1
                                        ; implicit-def: $vgpr20_vgpr21
	s_mov_b32 s0, exec_lo
	s_delay_alu instid0(VALU_DEP_1)
	v_cmpx_ne_u64_e32 0, v[2:3]
	s_xor_b32 s49, exec_lo, s0
	s_cbranch_execz .LBB6_5
; %bb.4:                                ;   in Loop: Header=BB6_3 Depth=1
	s_mov_b32 s45, s44
	v_dual_mov_b32 v15, v2 :: v_dual_ashrrev_i32 v10, 31, v1
	s_add_nc_u64 s[46:47], s[4:5], s[44:45]
	v_mov_b32_e32 v23, v2
	s_xor_b64 s[46:47], s[46:47], s[44:45]
	s_delay_alu instid0(VALU_DEP_2) | instskip(SKIP_3) | instid1(VALU_DEP_1)
	v_mov_b32_e32 v11, v10
	s_cvt_f32_u32 s0, s46
	s_cvt_f32_u32 s2, s47
	s_sub_nc_u64 s[52:53], 0, s[46:47]
	v_add_nc_u64_e32 v[12:13], v[0:1], v[10:11]
	s_delay_alu instid0(SALU_CYCLE_1) | instskip(SKIP_1) | instid1(SALU_CYCLE_2)
	s_fmamk_f32 s0, s2, 0x4f800000, s0
	v_mov_b32_e32 v19, v2
	v_s_rcp_f32 s0, s0
	s_delay_alu instid0(VALU_DEP_2) | instskip(NEXT) | instid1(VALU_DEP_3)
	v_xor_b32_e32 v14, v12, v10
	v_xor_b32_e32 v18, v13, v10
	s_delay_alu instid0(TRANS32_DEP_1) | instskip(NEXT) | instid1(SALU_CYCLE_3)
	s_mul_f32 s0, s0, 0x5f7ffffc
	s_mul_f32 s2, s0, 0x2f800000
	s_delay_alu instid0(SALU_CYCLE_3) | instskip(NEXT) | instid1(SALU_CYCLE_3)
	s_trunc_f32 s2, s2
	s_fmamk_f32 s0, s2, 0xcf800000, s0
	s_cvt_u32_f32 s51, s2
	s_delay_alu instid0(SALU_CYCLE_2) | instskip(NEXT) | instid1(SALU_CYCLE_3)
	s_cvt_u32_f32 s50, s0
	s_mul_u64 s[54:55], s[52:53], s[50:51]
	s_delay_alu instid0(SALU_CYCLE_1)
	s_mul_hi_u32 s57, s50, s55
	s_mul_i32 s56, s50, s55
	s_mul_hi_u32 s2, s50, s54
	s_mul_i32 s45, s51, s54
	s_add_nc_u64 s[56:57], s[2:3], s[56:57]
	s_mul_hi_u32 s0, s51, s54
	s_mul_hi_u32 s58, s51, s55
	s_add_co_u32 s2, s56, s45
	s_add_co_ci_u32 s2, s57, s0
	s_mul_i32 s54, s51, s55
	s_add_co_ci_u32 s55, s58, 0
	s_delay_alu instid0(SALU_CYCLE_1) | instskip(NEXT) | instid1(SALU_CYCLE_1)
	s_add_nc_u64 s[54:55], s[2:3], s[54:55]
	s_add_co_u32 s50, s50, s54
	s_cselect_b32 s0, -1, 0
	s_delay_alu instid0(SALU_CYCLE_1) | instskip(SKIP_1) | instid1(SALU_CYCLE_1)
	s_cmp_lg_u32 s0, 0
	s_add_co_ci_u32 s51, s51, s55
	s_mul_u64 s[52:53], s[52:53], s[50:51]
	s_delay_alu instid0(SALU_CYCLE_1)
	s_mul_hi_u32 s55, s50, s53
	s_mul_i32 s54, s50, s53
	s_mul_hi_u32 s2, s50, s52
	s_mul_i32 s45, s51, s52
	s_add_nc_u64 s[54:55], s[2:3], s[54:55]
	s_mul_hi_u32 s0, s51, s52
	s_mul_hi_u32 s56, s51, s53
	s_add_co_u32 s2, s54, s45
	s_add_co_ci_u32 s2, s55, s0
	s_mul_i32 s52, s51, s53
	s_add_co_ci_u32 s53, s56, 0
	s_delay_alu instid0(SALU_CYCLE_1) | instskip(NEXT) | instid1(SALU_CYCLE_1)
	s_add_nc_u64 s[52:53], s[2:3], s[52:53]
	s_add_co_u32 s0, s50, s52
	s_cselect_b32 s2, -1, 0
	v_mul_hi_u32 v22, v14, s0
	s_cmp_lg_u32 s2, 0
	s_add_co_ci_u32 s2, s51, s53
	s_and_b64 s[50:51], s[0:1], s[36:37]
	v_mul_u64_e32 v[16:17], s[2:3], v[14:15]
	v_mul_u64_e32 v[12:13], s[50:51], v[18:19]
	;; [unrolled: 1-line block ×3, first 2 shown]
	s_delay_alu instid0(VALU_DEP_3) | instskip(NEXT) | instid1(VALU_DEP_1)
	v_add_nc_u64_e32 v[16:17], v[22:23], v[16:17]
	v_add_co_u32 v3, vcc_lo, v16, v12
	s_delay_alu instid0(VALU_DEP_2) | instskip(NEXT) | instid1(VALU_DEP_4)
	v_add_co_ci_u32_e32 v22, vcc_lo, v17, v13, vcc_lo
	v_add_co_ci_u32_e32 v21, vcc_lo, 0, v21, vcc_lo
	s_delay_alu instid0(VALU_DEP_1) | instskip(NEXT) | instid1(VALU_DEP_1)
	v_add_nc_u64_e32 v[12:13], v[22:23], v[20:21]
	v_mul_u64_e32 v[16:17], s[46:47], v[12:13]
	s_delay_alu instid0(VALU_DEP_1) | instskip(NEXT) | instid1(VALU_DEP_2)
	v_sub_nc_u32_e32 v3, v18, v17
	v_sub_co_u32 v11, vcc_lo, v14, v16
	s_delay_alu instid0(VALU_DEP_1) | instskip(NEXT) | instid1(VALU_DEP_3)
	v_sub_co_ci_u32_e64 v18, null, v18, v17, vcc_lo
	v_subrev_co_ci_u32_e64 v3, null, s47, v3, vcc_lo
	s_delay_alu instid0(VALU_DEP_3) | instskip(SKIP_1) | instid1(VALU_DEP_3)
	v_sub_co_u32 v14, s0, v11, s46
	v_add_nc_u64_e32 v[16:17], 1, v[12:13]
	v_subrev_co_ci_u32_e64 v3, null, 0, v3, s0
	s_delay_alu instid0(VALU_DEP_3) | instskip(SKIP_1) | instid1(VALU_DEP_3)
	v_cmp_le_u32_e32 vcc_lo, s46, v14
	v_cndmask_b32_e64 v14, 0, -1, vcc_lo
	v_cmp_le_u32_e32 vcc_lo, s47, v3
	v_cndmask_b32_e64 v15, 0, -1, vcc_lo
	;; [unrolled: 2-line block ×4, first 2 shown]
	v_cmp_eq_u32_e32 vcc_lo, s47, v3
	v_cndmask_b32_e32 v3, v15, v14, vcc_lo
	v_cmp_eq_u32_e32 vcc_lo, s47, v18
	v_add_nc_u64_e32 v[14:15], 2, v[12:13]
	v_cndmask_b32_e32 v11, v19, v11, vcc_lo
	s_delay_alu instid0(VALU_DEP_4) | instskip(NEXT) | instid1(VALU_DEP_2)
	v_cmp_ne_u32_e32 vcc_lo, 0, v3
	v_cmp_ne_u32_e64 s0, 0, v11
	s_delay_alu instid0(VALU_DEP_4) | instskip(NEXT) | instid1(VALU_DEP_1)
	v_dual_cndmask_b32 v3, v17, v15, vcc_lo :: v_dual_cndmask_b32 v11, v16, v14, vcc_lo
	v_dual_cndmask_b32 v3, v13, v3, s0 :: v_dual_bitop2_b32 v10, s44, v10 bitop3:0x14
	s_delay_alu instid0(VALU_DEP_1) | instskip(NEXT) | instid1(VALU_DEP_2)
	v_dual_cndmask_b32 v12, v12, v11, s0 :: v_dual_mov_b32 v11, v10
	v_xor_b32_e32 v13, v3, v10
	s_delay_alu instid0(VALU_DEP_2) | instskip(NEXT) | instid1(VALU_DEP_1)
	v_xor_b32_e32 v12, v12, v10
	v_sub_nc_u64_e32 v[20:21], v[12:13], v[10:11]
.LBB6_5:                                ;   in Loop: Header=BB6_3 Depth=1
	s_and_not1_saveexec_b32 s0, s49
	s_cbranch_execz .LBB6_7
; %bb.6:                                ;   in Loop: Header=BB6_3 Depth=1
	v_mul_hi_u32 v3, v0, v24
	v_mov_b32_e32 v21, v2
	s_delay_alu instid0(VALU_DEP_2) | instskip(NEXT) | instid1(VALU_DEP_1)
	v_mul_lo_u32 v10, v3, s4
	v_dual_add_nc_u32 v11, 1, v3 :: v_dual_sub_nc_u32 v10, v0, v10
	s_delay_alu instid0(VALU_DEP_1) | instskip(SKIP_1) | instid1(VALU_DEP_2)
	v_subrev_nc_u32_e32 v12, s4, v10
	v_cmp_le_u32_e32 vcc_lo, s4, v10
	v_dual_cndmask_b32 v10, v10, v12 :: v_dual_cndmask_b32 v3, v3, v11
	s_delay_alu instid0(VALU_DEP_1) | instskip(NEXT) | instid1(VALU_DEP_2)
	v_cmp_le_u32_e32 vcc_lo, s4, v10
	v_add_nc_u32_e32 v11, 1, v3
	s_delay_alu instid0(VALU_DEP_1)
	v_cndmask_b32_e32 v20, v3, v11, vcc_lo
.LBB6_7:                                ;   in Loop: Header=BB6_3 Depth=1
	s_or_b32 exec_lo, exec_lo, s0
	s_delay_alu instid0(VALU_DEP_1) | instskip(SKIP_2) | instid1(VALU_DEP_1)
	v_mul_u64_e32 v[10:11], 3, v[20:21]
	v_mad_nc_u64_u32 v[16:17], s30, v20, v[0:1]
	s_and_not1_b32 vcc_lo, exec_lo, s33
	v_mad_u32 v3, s31, v20, v17
	s_delay_alu instid0(VALU_DEP_1) | instskip(NEXT) | instid1(VALU_DEP_4)
	v_mad_u32 v17, s30, v21, v3
	v_add_nc_u64_e32 v[18:19], 1, v[10:11]
	v_add_nc_u64_e32 v[22:23], 2, v[10:11]
	;; [unrolled: 1-line block ×3, first 2 shown]
	s_delay_alu instid0(VALU_DEP_3) | instskip(NEXT) | instid1(VALU_DEP_3)
	v_mad_nc_u64_u32 v[14:15], s4, v18, v[0:1]
	v_mad_nc_u64_u32 v[12:13], s4, v22, v[0:1]
	s_delay_alu instid0(VALU_DEP_3) | instskip(NEXT) | instid1(VALU_DEP_3)
	v_mad_nc_u64_u32 v[10:11], s4, v26, v[0:1]
	v_mad_u32 v15, s5, v18, v15
	s_delay_alu instid0(VALU_DEP_3) | instskip(NEXT) | instid1(VALU_DEP_3)
	v_mad_u32 v13, s5, v22, v13
	v_mad_u32 v11, s5, v26, v11
	s_delay_alu instid0(VALU_DEP_3) | instskip(NEXT) | instid1(VALU_DEP_3)
	v_mad_u32 v15, s4, v19, v15
	v_mad_u32 v13, s4, v23, v13
	s_delay_alu instid0(VALU_DEP_3)
	v_mad_u32 v11, s4, v27, v11
	v_mul_u64_e32 v[18:19], s[22:23], v[16:17]
	v_mul_u64_e32 v[22:23], s[26:27], v[16:17]
	v_mul_u64_e32 v[26:27], s[22:23], v[14:15]
	v_mul_u64_e32 v[28:29], s[22:23], v[12:13]
	v_mul_u64_e32 v[30:31], s[22:23], v[10:11]
	v_mul_u64_e32 v[32:33], s[26:27], v[14:15]
	v_mul_u64_e32 v[34:35], s[26:27], v[12:13]
	v_mul_u64_e32 v[36:37], s[26:27], v[10:11]
	v_lshl_add_u64 v[38:39], v[18:19], 2, s[20:21]
	v_lshl_add_u64 v[40:41], v[22:23], 2, s[24:25]
	;; [unrolled: 1-line block ×8, first 2 shown]
	s_clause 0x3
	global_load_b32 v23, v[38:39], off
	global_load_b32 v19, v[26:27], off
	;; [unrolled: 1-line block ×4, first 2 shown]
	s_clause 0x3
	global_load_b32 v28, v[40:41], off
	global_load_b32 v22, v[32:33], off
	;; [unrolled: 1-line block ×5, first 2 shown]
	s_cbranch_vccnz .LBB6_9
; %bb.8:                                ;   in Loop: Header=BB6_3 Depth=1
	s_wait_xcnt 0x7
	v_sub_nc_u64_e32 v[26:27], 1, v[20:21]
	s_wait_xcnt 0x3
	v_sub_nc_u64_e32 v[32:33], 2, v[20:21]
	;; [unrolled: 2-line block ×3, first 2 shown]
	s_wait_xcnt 0x1
	v_mad_nc_u64_u32 v[36:37], s34, v20, v[0:1]
	v_mad_nc_u64_u32 v[38:39], s4, v26, v[0:1]
	s_delay_alu instid0(VALU_DEP_4) | instskip(NEXT) | instid1(VALU_DEP_4)
	v_mad_nc_u64_u32 v[40:41], s4, v32, v[0:1]
	v_mad_nc_u64_u32 v[42:43], s4, v34, v[0:1]
	s_delay_alu instid0(VALU_DEP_4) | instskip(NEXT) | instid1(VALU_DEP_4)
	v_mad_u32 v20, s35, v20, v37
	v_mad_u32 v26, s5, v26, v39
	s_delay_alu instid0(VALU_DEP_4) | instskip(NEXT) | instid1(VALU_DEP_4)
	v_mad_u32 v31, s5, v32, v41
	v_mad_u32 v32, s5, v34, v43
	;; [unrolled: 3-line block ×4, first 2 shown]
	s_delay_alu instid0(VALU_DEP_4)
	v_mul_u64_e32 v[20:21], s[14:15], v[36:37]
	v_mul_u64_e32 v[26:27], s[18:19], v[36:37]
	;; [unrolled: 1-line block ×8, first 2 shown]
	v_lshl_add_u64 v[44:45], v[20:21], 2, s[8:9]
	v_lshl_add_u64 v[46:47], v[26:27], 2, s[16:17]
	;; [unrolled: 1-line block ×8, first 2 shown]
	s_clause 0x3
	global_load_b32 v33, v[44:45], off
	global_load_b32 v32, v[48:49], off
	;; [unrolled: 1-line block ×4, first 2 shown]
	s_clause 0x3
	global_load_b32 v31, v[46:47], off
	global_load_b32 v21, v[38:39], off
	;; [unrolled: 1-line block ×4, first 2 shown]
	s_branch .LBB6_10
.LBB6_9:                                ;   in Loop: Header=BB6_3 Depth=1
	v_dual_mov_b32 v21, 0 :: v_dual_mov_b32 v20, 0
	s_wait_xcnt 0x7
	v_dual_mov_b32 v27, 0 :: v_dual_mov_b32 v31, 0
	s_wait_xcnt 0x2
	v_dual_mov_b32 v26, 0 :: v_dual_mov_b32 v34, 0
	v_dual_mov_b32 v32, 0 :: v_dual_mov_b32 v33, 0
.LBB6_10:                               ;   in Loop: Header=BB6_3 Depth=1
	s_wait_loadcnt 0x2
	v_add_f32_e32 v29, v29, v30
	s_delay_alu instid0(VALU_DEP_1) | instskip(SKIP_1) | instid1(VALU_DEP_1)
	v_add_f32_e32 v29, v29, v34
	s_wait_loadcnt 0x1
	v_add_f32_e32 v20, v20, v29
                                        ; implicit-def: $vgpr29
	s_delay_alu instid0(VALU_DEP_1) | instskip(SKIP_2) | instid1(SALU_CYCLE_1)
	v_cmp_ngt_f32_e64 s0, 0x3f200000, |v20|
	s_wait_xcnt 0x0
	s_and_saveexec_b32 s2, s0
	s_xor_b32 s0, exec_lo, s2
	s_cbranch_execz .LBB6_12
; %bb.11:                               ;   in Loop: Header=BB6_3 Depth=1
	v_add_f32_e64 v29, |v20|, |v20|
	s_delay_alu instid0(VALU_DEP_1) | instskip(SKIP_1) | instid1(VALU_DEP_2)
	v_mul_f32_e32 v30, 0x3fb8aa3b, v29
	v_cmp_ngt_f32_e32 vcc_lo, 0xc2ce8ed0, v29
	v_rndne_f32_e32 v34, v30
	v_fma_f32 v35, 0x3fb8aa3b, v29, -v30
	s_delay_alu instid0(VALU_DEP_1) | instskip(SKIP_1) | instid1(VALU_DEP_2)
	v_dual_sub_f32 v30, v30, v34 :: v_dual_fmac_f32 v35, 0x32a5705f, v29
	v_cvt_i32_f32_e32 v34, v34
	v_add_f32_e32 v30, v30, v35
	s_delay_alu instid0(VALU_DEP_1) | instskip(SKIP_1) | instid1(TRANS32_DEP_1)
	v_exp_f32_e32 v30, v30
	v_nop
	v_ldexp_f32 v30, v30, v34
	s_delay_alu instid0(VALU_DEP_1) | instskip(SKIP_1) | instid1(VALU_DEP_2)
	v_cndmask_b32_e32 v30, 0, v30, vcc_lo
	v_cmp_nlt_f32_e32 vcc_lo, 0x42b17218, v29
	v_cndmask_b32_e32 v29, 0x7f800000, v30, vcc_lo
	s_delay_alu instid0(VALU_DEP_1) | instskip(NEXT) | instid1(VALU_DEP_1)
	v_add_f32_e32 v29, 1.0, v29
	v_rcp_f32_e32 v29, v29
	v_nop
	s_delay_alu instid0(TRANS32_DEP_1)
	v_fma_f32 v29, v29, -2.0, 1.0
.LBB6_12:                               ;   in Loop: Header=BB6_3 Depth=1
	s_and_not1_saveexec_b32 s0, s0
	s_cbranch_execz .LBB6_14
; %bb.13:                               ;   in Loop: Header=BB6_3 Depth=1
	v_mul_f32_e32 v29, v20, v20
	s_delay_alu instid0(VALU_DEP_1) | instskip(NEXT) | instid1(VALU_DEP_1)
	v_fmaak_f32 v30, s1, v29, 0x3ca908c9
	v_fmaak_f32 v30, v29, v30, 0xbd5c1c4e
	s_delay_alu instid0(VALU_DEP_1) | instskip(NEXT) | instid1(VALU_DEP_1)
	v_fmaak_f32 v30, v29, v30, 0x3e088382
	v_fmaak_f32 v30, v29, v30, 0xbeaaaa99
	s_delay_alu instid0(VALU_DEP_1) | instskip(NEXT) | instid1(VALU_DEP_1)
	v_mul_f32_e64 v30, |v20|, v30
	v_fma_f32 v29, v29, v30, |v20|
.LBB6_14:                               ;   in Loop: Header=BB6_3 Depth=1
	s_or_b32 exec_lo, exec_lo, s0
	v_add_f32_e32 v19, v19, v22
	s_delay_alu instid0(VALU_DEP_1) | instskip(NEXT) | instid1(VALU_DEP_1)
	v_add_f32_e32 v19, v19, v32
	v_dual_add_f32 v23, v23, v28 :: v_dual_add_f32 v19, v21, v19
	s_delay_alu instid0(VALU_DEP_1) | instskip(NEXT) | instid1(VALU_DEP_1)
	v_dual_add_f32 v22, v23, v33 :: v_dual_mul_f32 v23, 0xbfb8aa3b, v19
	v_add_f32_e32 v22, v31, v22
	s_delay_alu instid0(VALU_DEP_2) | instskip(SKIP_1) | instid1(VALU_DEP_2)
	v_fma_f32 v31, 0xbfb8aa3b, v19, -v23
	v_rndne_f32_e32 v32, v23
	v_fmac_f32_e32 v31, 0xb2a5705f, v19
	s_delay_alu instid0(VALU_DEP_4) | instskip(SKIP_1) | instid1(VALU_DEP_2)
	v_mul_f32_e32 v21, 0xbfb8aa3b, v22
	v_cmp_nlt_f32_e32 vcc_lo, 0x42ce8ed0, v22
	v_fma_f32 v28, 0xbfb8aa3b, v22, -v21
	v_rndne_f32_e32 v30, v21
	s_delay_alu instid0(VALU_DEP_2) | instskip(NEXT) | instid1(VALU_DEP_2)
	v_fmac_f32_e32 v28, 0xb2a5705f, v22
	v_sub_f32_e32 v21, v21, v30
	s_delay_alu instid0(VALU_DEP_1) | instskip(SKIP_2) | instid1(VALU_DEP_3)
	v_add_f32_e32 v21, v21, v28
	v_cvt_i32_f32_e32 v28, v30
	v_cvt_i32_f32_e32 v30, v32
	v_exp_f32_e32 v21, v21
	v_nop
	s_delay_alu instid0(TRANS32_DEP_1) | instskip(NEXT) | instid1(VALU_DEP_1)
	v_ldexp_f32 v21, v21, v28
	v_dual_sub_f32 v23, v23, v32 :: v_dual_cndmask_b32 v21, 0, v21, vcc_lo
	s_delay_alu instid0(VALU_DEP_1) | instskip(SKIP_1) | instid1(VALU_DEP_2)
	v_add_f32_e32 v23, v23, v31
	v_cmp_nlt_f32_e32 vcc_lo, 0x42ce8ed0, v19
	v_exp_f32_e32 v23, v23
	v_nop
	s_delay_alu instid0(TRANS32_DEP_1) | instskip(NEXT) | instid1(VALU_DEP_1)
	v_ldexp_f32 v23, v23, v30
	v_cndmask_b32_e32 v28, 0, v23, vcc_lo
	v_cmp_ngt_f32_e32 vcc_lo, 0xc2b17218, v22
	v_cndmask_b32_e32 v23, 0x7f800000, v21, vcc_lo
	v_cmp_ngt_f32_e32 vcc_lo, 0xc2b17218, v19
	s_delay_alu instid0(VALU_DEP_4) | instskip(NEXT) | instid1(VALU_DEP_1)
	v_cndmask_b32_e32 v22, 0x7f800000, v28, vcc_lo
	v_pk_add_f32 v[22:23], v[22:23], 1.0 op_sel_hi:[1,0]
	s_delay_alu instid0(VALU_DEP_1) | instskip(NEXT) | instid1(VALU_DEP_2)
	v_div_scale_f32 v19, null, v23, v23, 1.0
	v_div_scale_f32 v21, null, v22, v22, 1.0
	v_div_scale_f32 v33, vcc_lo, 1.0, v23, 1.0
	s_delay_alu instid0(VALU_DEP_3) | instskip(NEXT) | instid1(VALU_DEP_2)
	v_rcp_f32_e32 v28, v19
	v_rcp_f32_e32 v30, v21
	s_delay_alu instid0(TRANS32_DEP_2) | instskip(NEXT) | instid1(TRANS32_DEP_1)
	v_fma_f32 v31, -v19, v28, 1.0
	v_fma_f32 v32, -v21, v30, 1.0
	s_delay_alu instid0(VALU_DEP_2) | instskip(SKIP_1) | instid1(VALU_DEP_2)
	v_fmac_f32_e32 v28, v31, v28
	v_div_scale_f32 v31, s0, 1.0, v22, 1.0
	v_dual_fmac_f32 v30, v32, v30 :: v_dual_mul_f32 v32, v33, v28
	s_delay_alu instid0(VALU_DEP_1) | instskip(NEXT) | instid1(VALU_DEP_1)
	v_mul_f32_e32 v34, v31, v30
	v_dual_fma_f32 v35, -v19, v32, v33 :: v_dual_fma_f32 v36, -v21, v34, v31
	s_delay_alu instid0(VALU_DEP_1) | instskip(NEXT) | instid1(VALU_DEP_1)
	v_dual_fmac_f32 v32, v35, v28 :: v_dual_fmac_f32 v34, v36, v30
	v_dual_fma_f32 v19, -v19, v32, v33 :: v_dual_fma_f32 v21, -v21, v34, v31
	s_delay_alu instid0(VALU_DEP_1) | instskip(SKIP_1) | instid1(VALU_DEP_2)
	v_div_fmas_f32 v19, v19, v28, v32
	s_mov_b32 vcc_lo, s0
	v_div_fmas_f32 v28, v21, v30, v34
	s_delay_alu instid0(VALU_DEP_2) | instskip(SKIP_1) | instid1(VALU_DEP_3)
	v_div_fixup_f32 v21, v19, v23, 1.0
	v_bfi_b32 v19, 0x7fffffff, v29, v20
	v_div_fixup_f32 v20, v28, v22, 1.0
	s_delay_alu instid0(VALU_DEP_2) | instskip(SKIP_1) | instid1(VALU_DEP_1)
	v_mul_f32_e32 v22, v19, v21
	s_wait_loadcnt 0x0
	v_pk_fma_f32 v[22:23], v[18:19], v[20:21], v[22:23] op_sel_hi:[1,1,0]
                                        ; implicit-def: $vgpr18
	s_delay_alu instid0(VALU_DEP_1) | instskip(SKIP_1) | instid1(SALU_CYCLE_1)
	v_cmp_ngt_f32_e64 s0, 0x3f200000, |v22|
	s_and_saveexec_b32 s2, s0
	s_xor_b32 s0, exec_lo, s2
	s_cbranch_execz .LBB6_16
; %bb.15:                               ;   in Loop: Header=BB6_3 Depth=1
	v_add_f32_e64 v18, |v22|, |v22|
	s_delay_alu instid0(VALU_DEP_1) | instskip(SKIP_1) | instid1(VALU_DEP_2)
	v_mul_f32_e32 v23, 0x3fb8aa3b, v18
	v_cmp_ngt_f32_e32 vcc_lo, 0xc2ce8ed0, v18
	v_rndne_f32_e32 v28, v23
	v_fma_f32 v29, 0x3fb8aa3b, v18, -v23
	s_delay_alu instid0(VALU_DEP_2) | instskip(NEXT) | instid1(VALU_DEP_2)
	v_sub_f32_e32 v23, v23, v28
	v_fmac_f32_e32 v29, 0x32a5705f, v18
	v_cvt_i32_f32_e32 v28, v28
	s_delay_alu instid0(VALU_DEP_2) | instskip(NEXT) | instid1(VALU_DEP_1)
	v_add_f32_e32 v23, v23, v29
	v_exp_f32_e32 v23, v23
	v_nop
	s_delay_alu instid0(TRANS32_DEP_1) | instskip(NEXT) | instid1(VALU_DEP_1)
	v_ldexp_f32 v23, v23, v28
	v_cndmask_b32_e32 v23, 0, v23, vcc_lo
	v_cmp_nlt_f32_e32 vcc_lo, 0x42b17218, v18
	s_delay_alu instid0(VALU_DEP_2) | instskip(NEXT) | instid1(VALU_DEP_1)
	v_cndmask_b32_e32 v18, 0x7f800000, v23, vcc_lo
	v_add_f32_e32 v18, 1.0, v18
	s_delay_alu instid0(VALU_DEP_1) | instskip(SKIP_1) | instid1(TRANS32_DEP_1)
	v_rcp_f32_e32 v18, v18
	v_nop
	v_fma_f32 v18, v18, -2.0, 1.0
.LBB6_16:                               ;   in Loop: Header=BB6_3 Depth=1
	s_and_not1_saveexec_b32 s0, s0
	s_cbranch_execz .LBB6_2
; %bb.17:                               ;   in Loop: Header=BB6_3 Depth=1
	v_mul_f32_e32 v18, v22, v22
	s_delay_alu instid0(VALU_DEP_1) | instskip(NEXT) | instid1(VALU_DEP_1)
	v_fmaak_f32 v23, s1, v18, 0x3ca908c9
	v_fmaak_f32 v23, v18, v23, 0xbd5c1c4e
	s_delay_alu instid0(VALU_DEP_1) | instskip(NEXT) | instid1(VALU_DEP_1)
	v_fmaak_f32 v23, v18, v23, 0x3e088382
	v_fmaak_f32 v23, v18, v23, 0xbeaaaa99
	s_delay_alu instid0(VALU_DEP_1) | instskip(NEXT) | instid1(VALU_DEP_1)
	v_mul_f32_e64 v23, |v22|, v23
	v_fma_f32 v18, v18, v23, |v22|
	s_branch .LBB6_2
.LBB6_18:
	s_endpgm
	.section	.rodata,"a",@progbits
	.p2align	6, 0x0
	.amdhsa_kernel _ZN2at6native12_GLOBAL__N_16kernel17lstm_cell_forwardIfflLi1EEEvNS_4cuda6detail10TensorInfoIT_T1_EES9_S9_S9_S9_S9_S9_S9_S8_S8_
		.amdhsa_group_segment_fixed_size 0
		.amdhsa_private_segment_fixed_size 0
		.amdhsa_kernarg_size 3600
		.amdhsa_user_sgpr_count 2
		.amdhsa_user_sgpr_dispatch_ptr 0
		.amdhsa_user_sgpr_queue_ptr 0
		.amdhsa_user_sgpr_kernarg_segment_ptr 1
		.amdhsa_user_sgpr_dispatch_id 0
		.amdhsa_user_sgpr_kernarg_preload_length 0
		.amdhsa_user_sgpr_kernarg_preload_offset 0
		.amdhsa_user_sgpr_private_segment_size 0
		.amdhsa_wavefront_size32 1
		.amdhsa_uses_dynamic_stack 0
		.amdhsa_enable_private_segment 0
		.amdhsa_system_sgpr_workgroup_id_x 1
		.amdhsa_system_sgpr_workgroup_id_y 0
		.amdhsa_system_sgpr_workgroup_id_z 0
		.amdhsa_system_sgpr_workgroup_info 0
		.amdhsa_system_vgpr_workitem_id 0
		.amdhsa_next_free_vgpr 52
		.amdhsa_next_free_sgpr 59
		.amdhsa_named_barrier_count 0
		.amdhsa_reserve_vcc 1
		.amdhsa_float_round_mode_32 0
		.amdhsa_float_round_mode_16_64 0
		.amdhsa_float_denorm_mode_32 3
		.amdhsa_float_denorm_mode_16_64 3
		.amdhsa_fp16_overflow 0
		.amdhsa_memory_ordered 1
		.amdhsa_forward_progress 1
		.amdhsa_inst_pref_size 26
		.amdhsa_round_robin_scheduling 0
		.amdhsa_exception_fp_ieee_invalid_op 0
		.amdhsa_exception_fp_denorm_src 0
		.amdhsa_exception_fp_ieee_div_zero 0
		.amdhsa_exception_fp_ieee_overflow 0
		.amdhsa_exception_fp_ieee_underflow 0
		.amdhsa_exception_fp_ieee_inexact 0
		.amdhsa_exception_int_div_zero 0
	.end_amdhsa_kernel
	.section	.text._ZN2at6native12_GLOBAL__N_16kernel17lstm_cell_forwardIfflLi1EEEvNS_4cuda6detail10TensorInfoIT_T1_EES9_S9_S9_S9_S9_S9_S9_S8_S8_,"axG",@progbits,_ZN2at6native12_GLOBAL__N_16kernel17lstm_cell_forwardIfflLi1EEEvNS_4cuda6detail10TensorInfoIT_T1_EES9_S9_S9_S9_S9_S9_S9_S8_S8_,comdat
.Lfunc_end6:
	.size	_ZN2at6native12_GLOBAL__N_16kernel17lstm_cell_forwardIfflLi1EEEvNS_4cuda6detail10TensorInfoIT_T1_EES9_S9_S9_S9_S9_S9_S9_S8_S8_, .Lfunc_end6-_ZN2at6native12_GLOBAL__N_16kernel17lstm_cell_forwardIfflLi1EEEvNS_4cuda6detail10TensorInfoIT_T1_EES9_S9_S9_S9_S9_S9_S9_S8_S8_
                                        ; -- End function
	.set _ZN2at6native12_GLOBAL__N_16kernel17lstm_cell_forwardIfflLi1EEEvNS_4cuda6detail10TensorInfoIT_T1_EES9_S9_S9_S9_S9_S9_S9_S8_S8_.num_vgpr, 52
	.set _ZN2at6native12_GLOBAL__N_16kernel17lstm_cell_forwardIfflLi1EEEvNS_4cuda6detail10TensorInfoIT_T1_EES9_S9_S9_S9_S9_S9_S9_S8_S8_.num_agpr, 0
	.set _ZN2at6native12_GLOBAL__N_16kernel17lstm_cell_forwardIfflLi1EEEvNS_4cuda6detail10TensorInfoIT_T1_EES9_S9_S9_S9_S9_S9_S9_S8_S8_.numbered_sgpr, 59
	.set _ZN2at6native12_GLOBAL__N_16kernel17lstm_cell_forwardIfflLi1EEEvNS_4cuda6detail10TensorInfoIT_T1_EES9_S9_S9_S9_S9_S9_S9_S8_S8_.num_named_barrier, 0
	.set _ZN2at6native12_GLOBAL__N_16kernel17lstm_cell_forwardIfflLi1EEEvNS_4cuda6detail10TensorInfoIT_T1_EES9_S9_S9_S9_S9_S9_S9_S8_S8_.private_seg_size, 0
	.set _ZN2at6native12_GLOBAL__N_16kernel17lstm_cell_forwardIfflLi1EEEvNS_4cuda6detail10TensorInfoIT_T1_EES9_S9_S9_S9_S9_S9_S9_S8_S8_.uses_vcc, 1
	.set _ZN2at6native12_GLOBAL__N_16kernel17lstm_cell_forwardIfflLi1EEEvNS_4cuda6detail10TensorInfoIT_T1_EES9_S9_S9_S9_S9_S9_S9_S8_S8_.uses_flat_scratch, 0
	.set _ZN2at6native12_GLOBAL__N_16kernel17lstm_cell_forwardIfflLi1EEEvNS_4cuda6detail10TensorInfoIT_T1_EES9_S9_S9_S9_S9_S9_S9_S8_S8_.has_dyn_sized_stack, 0
	.set _ZN2at6native12_GLOBAL__N_16kernel17lstm_cell_forwardIfflLi1EEEvNS_4cuda6detail10TensorInfoIT_T1_EES9_S9_S9_S9_S9_S9_S9_S8_S8_.has_recursion, 0
	.set _ZN2at6native12_GLOBAL__N_16kernel17lstm_cell_forwardIfflLi1EEEvNS_4cuda6detail10TensorInfoIT_T1_EES9_S9_S9_S9_S9_S9_S9_S8_S8_.has_indirect_call, 0
	.section	.AMDGPU.csdata,"",@progbits
; Kernel info:
; codeLenInByte = 3288
; TotalNumSgprs: 61
; NumVgprs: 52
; ScratchSize: 0
; MemoryBound: 0
; FloatMode: 240
; IeeeMode: 1
; LDSByteSize: 0 bytes/workgroup (compile time only)
; SGPRBlocks: 0
; VGPRBlocks: 3
; NumSGPRsForWavesPerEU: 61
; NumVGPRsForWavesPerEU: 52
; NamedBarCnt: 0
; Occupancy: 16
; WaveLimiterHint : 1
; COMPUTE_PGM_RSRC2:SCRATCH_EN: 0
; COMPUTE_PGM_RSRC2:USER_SGPR: 2
; COMPUTE_PGM_RSRC2:TRAP_HANDLER: 0
; COMPUTE_PGM_RSRC2:TGID_X_EN: 1
; COMPUTE_PGM_RSRC2:TGID_Y_EN: 0
; COMPUTE_PGM_RSRC2:TGID_Z_EN: 0
; COMPUTE_PGM_RSRC2:TIDIG_COMP_CNT: 0
	.section	.text._ZN2at6native12_GLOBAL__N_16kernel17lstm_cell_forwardIfflLi2EEEvNS_4cuda6detail10TensorInfoIT_T1_EES9_S9_S9_S9_S9_S9_S9_S8_S8_,"axG",@progbits,_ZN2at6native12_GLOBAL__N_16kernel17lstm_cell_forwardIfflLi2EEEvNS_4cuda6detail10TensorInfoIT_T1_EES9_S9_S9_S9_S9_S9_S9_S8_S8_,comdat
	.globl	_ZN2at6native12_GLOBAL__N_16kernel17lstm_cell_forwardIfflLi2EEEvNS_4cuda6detail10TensorInfoIT_T1_EES9_S9_S9_S9_S9_S9_S9_S8_S8_ ; -- Begin function _ZN2at6native12_GLOBAL__N_16kernel17lstm_cell_forwardIfflLi2EEEvNS_4cuda6detail10TensorInfoIT_T1_EES9_S9_S9_S9_S9_S9_S9_S8_S8_
	.p2align	8
	.type	_ZN2at6native12_GLOBAL__N_16kernel17lstm_cell_forwardIfflLi2EEEvNS_4cuda6detail10TensorInfoIT_T1_EES9_S9_S9_S9_S9_S9_S9_S8_S8_,@function
_ZN2at6native12_GLOBAL__N_16kernel17lstm_cell_forwardIfflLi2EEEvNS_4cuda6detail10TensorInfoIT_T1_EES9_S9_S9_S9_S9_S9_S9_S8_S8_: ; @_ZN2at6native12_GLOBAL__N_16kernel17lstm_cell_forwardIfflLi2EEEvNS_4cuda6detail10TensorInfoIT_T1_EES9_S9_S9_S9_S9_S9_S9_S8_S8_
; %bb.0:
	s_clause 0x1
	s_load_b32 s2, s[0:1], 0xd1c
	s_load_b128 s[4:7], s[0:1], 0xd00
	s_bfe_u32 s3, ttmp6, 0x4000c
	s_and_b32 s8, ttmp6, 15
	s_add_co_i32 s3, s3, 1
	s_getreg_b32 s9, hwreg(HW_REG_IB_STS2, 6, 4)
	s_mul_i32 s3, ttmp9, s3
	v_mov_b32_e32 v2, 0
	s_add_co_i32 s8, s8, s3
	s_delay_alu instid0(VALU_DEP_1)
	v_mov_b32_e32 v1, v2
	s_wait_kmcnt 0x0
	s_and_b32 s2, s2, 0xffff
	s_cmp_eq_u32 s9, 0
	s_cselect_b32 s3, ttmp9, s8
	s_mov_b32 s8, exec_lo
	v_mad_u32 v0, s3, s2, v0
	s_mov_b32 s3, 0
	s_delay_alu instid0(VALU_DEP_1)
	v_cmpx_gt_i64_e64 s[6:7], v[0:1]
	s_cbranch_execz .LBB7_78
; %bb.1:
	v_cvt_f32_u32_e32 v3, s4
	s_add_nc_u64 s[20:21], s[0:1], 0xd10
	s_clause 0x6
	s_load_b64 s[34:35], s[0:1], 0x0
	s_load_b64 s[36:37], s[0:1], 0x10
	s_load_b128 s[8:11], s[0:1], 0xd0
	s_load_b64 s[38:39], s[0:1], 0x1a0
	s_load_b64 s[40:41], s[0:1], 0x340
	s_load_b64 s[42:43], s[0:1], 0x1b0
	s_load_b128 s[12:15], s[0:1], 0x270
	s_load_b32 s33, s[20:21], 0x0
	s_clause 0x7
	s_load_b64 s[44:45], s[0:1], 0x410
	s_load_b64 s[46:47], s[0:1], 0x4e0
	;; [unrolled: 1-line block ×5, first 2 shown]
	s_load_b128 s[16:19], s[0:1], 0x750
	s_load_b64 s[54:55], s[0:1], 0x820
	; meta instruction
	s_load_b64 s[56:57], s[0:1], 0x830
	s_wait_xcnt 0x0
	s_clause 0x6
	s_load_b128 s[20:23], s[0:1], 0x8f0
	s_load_b64 s[58:59], s[0:1], 0x9c0
	s_load_b64 s[60:61], s[0:1], 0x9d0
	s_load_b128 s[24:27], s[0:1], 0xa90
	s_load_b64 s[62:63], s[0:1], 0xb60
	s_load_b64 s[64:65], s[0:1], 0xb70
	s_load_b128 s[28:31], s[0:1], 0xc30
	s_mov_b32 s67, s3
	v_rcp_iflag_f32_e32 v3, v3
	s_wait_kmcnt 0x0
	s_cmp_lg_u64 s[40:41], 0
	s_mul_u64 s[68:69], s[4:5], 3
	s_cselect_b32 s1, -1, 0
	s_mul_i32 s66, s33, s2
	s_sub_nc_u64 s[70:71], 0, s[4:5]
	s_mov_b64 s[74:75], 0xffffffff
	v_nop
	v_mul_f32_e32 v3, 0x4f7ffffe, v3
	s_sub_nc_u64 s[72:73], 0, s[52:53]
	s_mov_b32 s33, 0xbbbac73d
	s_mov_b32 s84, 0
	s_sub_nc_u64 s[76:77], 0, s[56:57]
	v_cvt_u32_f32_e32 v34, v3
	s_sub_nc_u64 s[78:79], 0, s[60:61]
	s_branch .LBB7_3
.LBB7_2:                                ;   in Loop: Header=BB7_3 Depth=1
	s_or_b32 exec_lo, exec_lo, s0
	v_add_f32_e32 v22, v38, v42
	v_mul_u64_e32 v[38:39], s[64:65], v[32:33]
	v_mul_u64_e32 v[36:37], s[64:65], v[16:17]
	;; [unrolled: 1-line block ×3, first 2 shown]
	v_mad_nc_u64_u32 v[40:41], s78, v26, v[0:1]
	v_add_f32_e32 v3, v22, v3
	v_mad_nc_u64_u32 v[42:43], s76, v24, v[0:1]
	v_mul_u64_e32 v[46:47], s[20:21], v[24:25]
	v_mul_u64_e32 v[44:45], s[24:25], v[26:27]
	;; [unrolled: 1-line block ×3, first 2 shown]
	v_add_f32_e32 v3, v28, v3
	v_mul_u64_e32 v[18:19], s[28:29], v[18:19]
	v_bfi_b32 v11, 0x7fffffff, v11, v10
	s_delay_alu instid0(VALU_DEP_3) | instskip(SKIP_2) | instid1(VALU_DEP_3)
	v_mul_f32_e32 v22, 0xbfb8aa3b, v3
	v_cmp_nlt_f32_e32 vcc_lo, 0x42ce8ed0, v3
	v_mad_u32 v24, s77, v24, v43
	v_fma_f32 v28, 0xbfb8aa3b, v3, -v22
	v_rndne_f32_e32 v35, v22
	s_delay_alu instid0(VALU_DEP_2) | instskip(NEXT) | instid1(VALU_DEP_2)
	v_fmac_f32_e32 v28, 0xb2a5705f, v3
	v_sub_f32_e32 v22, v22, v35
	v_cvt_i32_f32_e32 v35, v35
	v_mad_u32 v43, s76, v25, v24
	v_mul_u64_e32 v[24:25], s[28:29], v[32:33]
	s_delay_alu instid0(VALU_DEP_4)
	v_add_f32_e32 v22, v22, v28
	v_mul_u64_e32 v[28:29], s[64:65], v[20:21]
	v_sub_nc_u64_e32 v[4:5], v[4:5], v[38:39]
	v_sub_nc_u64_e32 v[8:9], v[8:9], v[36:37]
	;; [unrolled: 1-line block ×3, first 2 shown]
	v_exp_f32_e32 v22, v22
	v_mul_u64_e32 v[20:21], s[28:29], v[20:21]
	s_delay_alu instid0(VALU_DEP_4) | instskip(NEXT) | instid1(VALU_DEP_4)
	v_add_nc_u64_e32 v[4:5], v[0:1], v[4:5]
	v_add_nc_u64_e32 v[8:9], v[0:1], v[8:9]
	s_delay_alu instid0(VALU_DEP_4) | instskip(NEXT) | instid1(TRANS32_DEP_1)
	v_add_nc_u64_e32 v[12:13], v[0:1], v[12:13]
	v_ldexp_f32 v22, v22, v35
	v_lshl_add_u64 v[16:17], v[16:17], 2, s[62:63]
	v_lshl_add_u64 v[18:19], v[18:19], 2, s[62:63]
	v_mul_u64_e32 v[4:5], s[30:31], v[4:5]
	s_delay_alu instid0(VALU_DEP_4) | instskip(SKIP_3) | instid1(VALU_DEP_4)
	v_cndmask_b32_e32 v22, 0, v22, vcc_lo
	v_cmp_ngt_f32_e32 vcc_lo, 0xc2b17218, v3
	v_mul_u64_e32 v[8:9], s[30:31], v[8:9]
	v_mul_u64_e32 v[12:13], s[30:31], v[12:13]
	v_cndmask_b32_e32 v3, 0x7f800000, v22, vcc_lo
	v_mad_u32 v22, s79, v26, v41
	s_delay_alu instid0(VALU_DEP_2) | instskip(SKIP_1) | instid1(VALU_DEP_2)
	v_add_f32_e32 v3, 1.0, v3
	v_lshl_add_u64 v[24:25], v[24:25], 2, s[62:63]
	v_div_scale_f32 v35, null, v3, v3, 1.0
	s_delay_alu instid0(VALU_DEP_4) | instskip(SKIP_2) | instid1(VALU_DEP_4)
	v_mad_u32 v41, s78, v27, v22
	v_sub_nc_u64_e32 v[14:15], v[14:15], v[28:29]
	v_div_scale_f32 v30, vcc_lo, 1.0, v3, 1.0
	v_rcp_f32_e32 v22, v35
	v_mul_u64_e32 v[28:29], s[22:23], v[42:43]
	v_lshl_add_u64 v[20:21], v[20:21], 2, s[62:63]
	s_delay_alu instid0(VALU_DEP_4) | instskip(SKIP_1) | instid1(TRANS32_DEP_1)
	v_add_nc_u64_e32 v[14:15], v[0:1], v[14:15]
	v_add_nc_u64_e32 v[0:1], s[66:67], v[0:1]
	v_fma_f32 v26, -v35, v22, 1.0
	v_lshl_add_u64 v[4:5], v[4:5], 2, v[24:25]
	s_delay_alu instid0(VALU_DEP_4) | instskip(NEXT) | instid1(VALU_DEP_3)
	v_mul_u64_e32 v[14:15], s[30:31], v[14:15]
	v_fmac_f32_e32 v22, v26, v22
	v_mul_u64_e32 v[26:27], s[26:27], v[40:41]
	v_cmp_le_i64_e64 s0, s[6:7], v[0:1]
	v_lshl_add_u64 v[8:9], v[8:9], 2, v[16:17]
	v_lshl_add_u64 v[12:13], v[12:13], 2, v[18:19]
	v_mul_f32_e32 v32, v30, v22
	s_or_b32 s84, s0, s84
	s_delay_alu instid0(VALU_DEP_1) | instskip(NEXT) | instid1(VALU_DEP_1)
	v_fma_f32 v31, -v35, v32, v30
	v_fmac_f32_e32 v32, v31, v22
	s_delay_alu instid0(VALU_DEP_1) | instskip(SKIP_1) | instid1(VALU_DEP_2)
	v_fma_f32 v33, -v35, v32, v30
	v_lshl_add_u64 v[30:31], v[44:45], 2, s[58:59]
	v_div_fmas_f32 v22, v33, v22, v32
	v_lshl_add_u64 v[32:33], v[46:47], 2, s[54:55]
	s_delay_alu instid0(VALU_DEP_2) | instskip(NEXT) | instid1(VALU_DEP_2)
	v_div_fixup_f32 v3, v22, v3, 1.0
	v_lshl_add_u64 v[28:29], v[28:29], 2, v[32:33]
	v_lshl_add_u64 v[14:15], v[14:15], 2, v[20:21]
	;; [unrolled: 1-line block ×3, first 2 shown]
	s_delay_alu instid0(VALU_DEP_4)
	v_mul_f32_e32 v11, v3, v11
	global_store_b32 v[28:29], v11, off
	global_store_b32 v[26:27], v10, off
	s_clause 0x3
	global_store_b32 v[4:5], v7, off
	global_store_b32 v[8:9], v6, off
	;; [unrolled: 1-line block ×4, first 2 shown]
	s_wait_xcnt 0x0
	s_and_not1_b32 exec_lo, exec_lo, s84
	s_cbranch_execz .LBB7_78
.LBB7_3:                                ; =>This Inner Loop Header: Depth=1
	v_dual_ashrrev_i32 v6, 31, v1 :: v_dual_bitop2_b32 v3, s5, v1 bitop3:0x54
                                        ; implicit-def: $vgpr10_vgpr11
	s_mov_b32 s0, exec_lo
	s_delay_alu instid0(VALU_DEP_1)
	v_cmpx_ne_u64_e32 0, v[2:3]
	s_xor_b32 s85, exec_lo, s0
	s_cbranch_execz .LBB7_5
; %bb.4:                                ;   in Loop: Header=BB7_3 Depth=1
	s_ashr_i32 s80, s5, 31
	v_dual_mov_b32 v7, v6 :: v_dual_mov_b32 v9, v2
	s_mov_b32 s81, s80
	v_mov_b32_e32 v13, v2
	s_add_nc_u64 s[82:83], s[4:5], s[80:81]
	s_delay_alu instid0(VALU_DEP_2)
	v_add_nc_u64_e32 v[4:5], v[0:1], v[6:7]
	s_xor_b64 s[82:83], s[82:83], s[80:81]
	v_mov_b32_e32 v17, v2
	s_cvt_f32_u32 s0, s82
	s_cvt_f32_u32 s2, s83
	s_sub_nc_u64 s[88:89], 0, s[82:83]
	s_delay_alu instid0(VALU_DEP_2) | instskip(NEXT) | instid1(SALU_CYCLE_1)
	v_xor_b32_e32 v8, v4, v6
	s_fmamk_f32 s0, s2, 0x4f800000, s0
	v_xor_b32_e32 v12, v5, v6
	s_delay_alu instid0(SALU_CYCLE_2) | instskip(NEXT) | instid1(TRANS32_DEP_1)
	v_s_rcp_f32 s0, s0
	s_mul_f32 s0, s0, 0x5f7ffffc
	s_delay_alu instid0(SALU_CYCLE_3) | instskip(NEXT) | instid1(SALU_CYCLE_3)
	s_mul_f32 s2, s0, 0x2f800000
	s_trunc_f32 s2, s2
	s_delay_alu instid0(SALU_CYCLE_3) | instskip(SKIP_1) | instid1(SALU_CYCLE_2)
	s_fmamk_f32 s0, s2, 0xcf800000, s0
	s_cvt_u32_f32 s87, s2
	s_cvt_u32_f32 s86, s0
	s_delay_alu instid0(SALU_CYCLE_3) | instskip(NEXT) | instid1(SALU_CYCLE_1)
	s_mul_u64 s[90:91], s[88:89], s[86:87]
	s_mul_hi_u32 s93, s86, s91
	s_mul_i32 s92, s86, s91
	s_mul_hi_u32 s2, s86, s90
	s_mul_i32 s81, s87, s90
	s_add_nc_u64 s[92:93], s[2:3], s[92:93]
	s_mul_hi_u32 s0, s87, s90
	s_mul_hi_u32 s94, s87, s91
	s_add_co_u32 s2, s92, s81
	s_add_co_ci_u32 s2, s93, s0
	s_mul_i32 s90, s87, s91
	s_add_co_ci_u32 s91, s94, 0
	s_delay_alu instid0(SALU_CYCLE_1) | instskip(NEXT) | instid1(SALU_CYCLE_1)
	s_add_nc_u64 s[90:91], s[2:3], s[90:91]
	s_add_co_u32 s86, s86, s90
	s_cselect_b32 s0, -1, 0
	s_delay_alu instid0(SALU_CYCLE_1) | instskip(SKIP_1) | instid1(SALU_CYCLE_1)
	s_cmp_lg_u32 s0, 0
	s_add_co_ci_u32 s87, s87, s91
	s_mul_u64 s[88:89], s[88:89], s[86:87]
	s_delay_alu instid0(SALU_CYCLE_1)
	s_mul_hi_u32 s91, s86, s89
	s_mul_i32 s90, s86, s89
	s_mul_hi_u32 s2, s86, s88
	s_mul_i32 s81, s87, s88
	s_add_nc_u64 s[90:91], s[2:3], s[90:91]
	s_mul_hi_u32 s0, s87, s88
	s_mul_hi_u32 s92, s87, s89
	s_add_co_u32 s2, s90, s81
	s_add_co_ci_u32 s2, s91, s0
	s_mul_i32 s88, s87, s89
	s_add_co_ci_u32 s89, s92, 0
	s_delay_alu instid0(SALU_CYCLE_1) | instskip(NEXT) | instid1(SALU_CYCLE_1)
	s_add_nc_u64 s[88:89], s[2:3], s[88:89]
	s_add_co_u32 s0, s86, s88
	s_cselect_b32 s2, -1, 0
	v_nop
	v_mul_hi_u32 v16, v8, s0
	s_cmp_lg_u32 s2, 0
	s_add_co_ci_u32 s2, s87, s89
	s_and_b64 s[86:87], s[0:1], s[74:75]
	v_mul_u64_e32 v[10:11], s[2:3], v[8:9]
	v_mul_u64_e32 v[4:5], s[86:87], v[12:13]
	;; [unrolled: 1-line block ×3, first 2 shown]
	s_delay_alu instid0(VALU_DEP_3) | instskip(NEXT) | instid1(VALU_DEP_1)
	v_add_nc_u64_e32 v[10:11], v[16:17], v[10:11]
	v_add_co_u32 v3, vcc_lo, v10, v4
	s_delay_alu instid0(VALU_DEP_2) | instskip(NEXT) | instid1(VALU_DEP_4)
	v_add_co_ci_u32_e32 v16, vcc_lo, v11, v5, vcc_lo
	v_add_co_ci_u32_e32 v15, vcc_lo, 0, v15, vcc_lo
	s_delay_alu instid0(VALU_DEP_1) | instskip(NEXT) | instid1(VALU_DEP_1)
	v_add_nc_u64_e32 v[4:5], v[16:17], v[14:15]
	v_mul_u64_e32 v[10:11], s[82:83], v[4:5]
	s_delay_alu instid0(VALU_DEP_1) | instskip(NEXT) | instid1(VALU_DEP_2)
	v_sub_nc_u32_e32 v3, v12, v11
	v_sub_co_u32 v7, vcc_lo, v8, v10
	s_delay_alu instid0(VALU_DEP_1) | instskip(NEXT) | instid1(VALU_DEP_3)
	v_sub_co_ci_u32_e64 v12, null, v12, v11, vcc_lo
	v_subrev_co_ci_u32_e64 v3, null, s83, v3, vcc_lo
	s_delay_alu instid0(VALU_DEP_3) | instskip(SKIP_1) | instid1(VALU_DEP_3)
	v_sub_co_u32 v8, s0, v7, s82
	v_add_nc_u64_e32 v[10:11], 1, v[4:5]
	v_subrev_co_ci_u32_e64 v3, null, 0, v3, s0
	s_delay_alu instid0(VALU_DEP_3) | instskip(SKIP_1) | instid1(VALU_DEP_3)
	v_cmp_le_u32_e32 vcc_lo, s82, v8
	v_cndmask_b32_e64 v8, 0, -1, vcc_lo
	v_cmp_le_u32_e32 vcc_lo, s83, v3
	v_cndmask_b32_e64 v9, 0, -1, vcc_lo
	;; [unrolled: 2-line block ×4, first 2 shown]
	v_cmp_eq_u32_e32 vcc_lo, s83, v3
	v_cndmask_b32_e32 v3, v9, v8, vcc_lo
	v_cmp_eq_u32_e32 vcc_lo, s83, v12
	v_add_nc_u64_e32 v[8:9], 2, v[4:5]
	v_cndmask_b32_e32 v7, v13, v7, vcc_lo
	s_delay_alu instid0(VALU_DEP_4) | instskip(NEXT) | instid1(VALU_DEP_3)
	v_cmp_ne_u32_e32 vcc_lo, 0, v3
	v_cndmask_b32_e32 v3, v11, v9, vcc_lo
	s_delay_alu instid0(VALU_DEP_3) | instskip(SKIP_1) | instid1(VALU_DEP_1)
	v_cmp_ne_u32_e64 s0, 0, v7
	v_dual_cndmask_b32 v7, v10, v8, vcc_lo :: v_dual_bitop2_b32 v8, s80, v6 bitop3:0x14
	v_dual_cndmask_b32 v3, v5, v3, s0 :: v_dual_mov_b32 v9, v8
	s_delay_alu instid0(VALU_DEP_1) | instskip(NEXT) | instid1(VALU_DEP_1)
	v_dual_cndmask_b32 v4, v4, v7, s0 :: v_dual_bitop2_b32 v5, v3, v8 bitop3:0x14
	v_xor_b32_e32 v4, v4, v8
	s_delay_alu instid0(VALU_DEP_1)
	v_sub_nc_u64_e32 v[10:11], v[4:5], v[8:9]
.LBB7_5:                                ;   in Loop: Header=BB7_3 Depth=1
	s_and_not1_saveexec_b32 s0, s85
	s_cbranch_execz .LBB7_7
; %bb.6:                                ;   in Loop: Header=BB7_3 Depth=1
	s_sub_co_i32 s2, 0, s4
	v_mov_b32_e32 v11, v2
	v_mul_lo_u32 v3, s2, v34
	s_delay_alu instid0(VALU_DEP_1) | instskip(NEXT) | instid1(VALU_DEP_1)
	v_mul_hi_u32 v3, v34, v3
	v_add_nc_u32_e32 v3, v34, v3
	s_delay_alu instid0(VALU_DEP_1) | instskip(NEXT) | instid1(VALU_DEP_1)
	v_mul_hi_u32 v3, v0, v3
	v_mul_lo_u32 v4, v3, s4
	s_delay_alu instid0(VALU_DEP_1) | instskip(NEXT) | instid1(VALU_DEP_1)
	v_dual_add_nc_u32 v5, 1, v3 :: v_dual_sub_nc_u32 v4, v0, v4
	v_subrev_nc_u32_e32 v7, s4, v4
	v_cmp_le_u32_e32 vcc_lo, s4, v4
	s_delay_alu instid0(VALU_DEP_2) | instskip(NEXT) | instid1(VALU_DEP_1)
	v_dual_cndmask_b32 v4, v4, v7 :: v_dual_cndmask_b32 v3, v3, v5
	v_cmp_le_u32_e32 vcc_lo, s4, v4
	s_delay_alu instid0(VALU_DEP_2) | instskip(NEXT) | instid1(VALU_DEP_1)
	v_add_nc_u32_e32 v5, 1, v3
	v_cndmask_b32_e32 v10, v3, v5, vcc_lo
.LBB7_7:                                ;   in Loop: Header=BB7_3 Depth=1
	s_or_b32 exec_lo, exec_lo, s0
	s_delay_alu instid0(VALU_DEP_1) | instskip(SKIP_1) | instid1(VALU_DEP_1)
	v_mul_u64_e32 v[4:5], s[68:69], v[10:11]
                                        ; implicit-def: $vgpr8_vgpr9
	s_mov_b32 s0, exec_lo
	v_add_nc_u64_e32 v[24:25], v[0:1], v[4:5]
	s_delay_alu instid0(VALU_DEP_1) | instskip(NEXT) | instid1(VALU_DEP_1)
	v_dual_ashrrev_i32 v16, 31, v25 :: v_dual_bitop2_b32 v3, s37, v25 bitop3:0x54
	v_cmpx_ne_u64_e32 0, v[2:3]
	s_xor_b32 s85, exec_lo, s0
	s_cbranch_execz .LBB7_9
; %bb.8:                                ;   in Loop: Header=BB7_3 Depth=1
	s_ashr_i32 s80, s37, 31
	v_dual_mov_b32 v17, v16 :: v_dual_mov_b32 v13, v2
	s_mov_b32 s81, s80
	v_mov_b32_e32 v19, v2
	s_add_nc_u64 s[82:83], s[36:37], s[80:81]
	s_delay_alu instid0(VALU_DEP_2)
	v_add_nc_u64_e32 v[8:9], v[24:25], v[16:17]
	s_xor_b64 s[82:83], s[82:83], s[80:81]
	v_mov_b32_e32 v23, v2
	s_cvt_f32_u32 s0, s82
	s_cvt_f32_u32 s2, s83
	s_sub_nc_u64 s[88:89], 0, s[82:83]
	s_delay_alu instid0(VALU_DEP_2) | instskip(NEXT) | instid1(SALU_CYCLE_1)
	v_xor_b32_e32 v12, v8, v16
	s_fmamk_f32 s0, s2, 0x4f800000, s0
	v_xor_b32_e32 v18, v9, v16
	s_delay_alu instid0(SALU_CYCLE_2) | instskip(NEXT) | instid1(TRANS32_DEP_1)
	v_s_rcp_f32 s0, s0
	s_mul_f32 s0, s0, 0x5f7ffffc
	s_delay_alu instid0(SALU_CYCLE_3) | instskip(NEXT) | instid1(SALU_CYCLE_3)
	s_mul_f32 s2, s0, 0x2f800000
	s_trunc_f32 s2, s2
	s_delay_alu instid0(SALU_CYCLE_3) | instskip(SKIP_1) | instid1(SALU_CYCLE_2)
	s_fmamk_f32 s0, s2, 0xcf800000, s0
	s_cvt_u32_f32 s87, s2
	s_cvt_u32_f32 s86, s0
	s_delay_alu instid0(SALU_CYCLE_3) | instskip(NEXT) | instid1(SALU_CYCLE_1)
	s_mul_u64 s[90:91], s[88:89], s[86:87]
	s_mul_hi_u32 s93, s86, s91
	s_mul_i32 s92, s86, s91
	s_mul_hi_u32 s2, s86, s90
	s_mul_i32 s81, s87, s90
	s_add_nc_u64 s[92:93], s[2:3], s[92:93]
	s_mul_hi_u32 s0, s87, s90
	s_mul_hi_u32 s94, s87, s91
	s_add_co_u32 s2, s92, s81
	s_add_co_ci_u32 s2, s93, s0
	s_mul_i32 s90, s87, s91
	s_add_co_ci_u32 s91, s94, 0
	s_delay_alu instid0(SALU_CYCLE_1) | instskip(NEXT) | instid1(SALU_CYCLE_1)
	s_add_nc_u64 s[90:91], s[2:3], s[90:91]
	s_add_co_u32 s86, s86, s90
	s_cselect_b32 s0, -1, 0
	s_delay_alu instid0(SALU_CYCLE_1) | instskip(SKIP_1) | instid1(SALU_CYCLE_1)
	s_cmp_lg_u32 s0, 0
	s_add_co_ci_u32 s87, s87, s91
	s_mul_u64 s[88:89], s[88:89], s[86:87]
	s_delay_alu instid0(SALU_CYCLE_1)
	s_mul_hi_u32 s91, s86, s89
	s_mul_i32 s90, s86, s89
	s_mul_hi_u32 s2, s86, s88
	s_mul_i32 s81, s87, s88
	s_add_nc_u64 s[90:91], s[2:3], s[90:91]
	s_mul_hi_u32 s0, s87, s88
	s_mul_hi_u32 s92, s87, s89
	s_add_co_u32 s2, s90, s81
	s_add_co_ci_u32 s2, s91, s0
	s_mul_i32 s88, s87, s89
	s_add_co_ci_u32 s89, s92, 0
	s_delay_alu instid0(SALU_CYCLE_1) | instskip(NEXT) | instid1(SALU_CYCLE_1)
	s_add_nc_u64 s[88:89], s[2:3], s[88:89]
	s_add_co_u32 s0, s86, s88
	s_cselect_b32 s2, -1, 0
	v_nop
	v_mul_hi_u32 v22, v12, s0
	s_cmp_lg_u32 s2, 0
	s_add_co_ci_u32 s2, s87, s89
	s_and_b64 s[86:87], s[0:1], s[74:75]
	v_mul_u64_e32 v[14:15], s[2:3], v[12:13]
	v_mul_u64_e32 v[8:9], s[86:87], v[18:19]
	v_mul_u64_e32 v[20:21], s[2:3], v[18:19]
	s_delay_alu instid0(VALU_DEP_3) | instskip(NEXT) | instid1(VALU_DEP_1)
	v_add_nc_u64_e32 v[14:15], v[22:23], v[14:15]
	v_add_co_u32 v3, vcc_lo, v14, v8
	s_delay_alu instid0(VALU_DEP_2) | instskip(NEXT) | instid1(VALU_DEP_4)
	v_add_co_ci_u32_e32 v22, vcc_lo, v15, v9, vcc_lo
	v_add_co_ci_u32_e32 v21, vcc_lo, 0, v21, vcc_lo
	s_delay_alu instid0(VALU_DEP_1) | instskip(NEXT) | instid1(VALU_DEP_1)
	v_add_nc_u64_e32 v[8:9], v[22:23], v[20:21]
	v_mul_u64_e32 v[14:15], s[82:83], v[8:9]
	s_delay_alu instid0(VALU_DEP_1) | instskip(NEXT) | instid1(VALU_DEP_2)
	v_sub_nc_u32_e32 v3, v18, v15
	v_sub_co_u32 v7, vcc_lo, v12, v14
	s_delay_alu instid0(VALU_DEP_1) | instskip(NEXT) | instid1(VALU_DEP_3)
	v_sub_co_ci_u32_e64 v17, null, v18, v15, vcc_lo
	v_subrev_co_ci_u32_e64 v3, null, s83, v3, vcc_lo
	s_delay_alu instid0(VALU_DEP_3) | instskip(SKIP_1) | instid1(VALU_DEP_3)
	v_sub_co_u32 v12, s0, v7, s82
	v_add_nc_u64_e32 v[14:15], 1, v[8:9]
	v_subrev_co_ci_u32_e64 v3, null, 0, v3, s0
	s_delay_alu instid0(VALU_DEP_3) | instskip(SKIP_1) | instid1(VALU_DEP_3)
	v_cmp_le_u32_e32 vcc_lo, s82, v12
	v_cndmask_b32_e64 v12, 0, -1, vcc_lo
	v_cmp_le_u32_e32 vcc_lo, s83, v3
	v_cndmask_b32_e64 v13, 0, -1, vcc_lo
	;; [unrolled: 2-line block ×4, first 2 shown]
	v_cmp_eq_u32_e32 vcc_lo, s83, v3
	v_cndmask_b32_e32 v3, v13, v12, vcc_lo
	v_cmp_eq_u32_e32 vcc_lo, s83, v17
	v_add_nc_u64_e32 v[12:13], 2, v[8:9]
	v_cndmask_b32_e32 v7, v18, v7, vcc_lo
	s_delay_alu instid0(VALU_DEP_4) | instskip(NEXT) | instid1(VALU_DEP_2)
	v_cmp_ne_u32_e32 vcc_lo, 0, v3
	v_cmp_ne_u32_e64 s0, 0, v7
	s_delay_alu instid0(VALU_DEP_4) | instskip(NEXT) | instid1(VALU_DEP_1)
	v_dual_cndmask_b32 v3, v15, v13, vcc_lo :: v_dual_cndmask_b32 v7, v14, v12, vcc_lo
	v_dual_cndmask_b32 v3, v9, v3, s0 :: v_dual_bitop2_b32 v12, s80, v16 bitop3:0x14
	s_delay_alu instid0(VALU_DEP_1) | instskip(NEXT) | instid1(VALU_DEP_2)
	v_mov_b32_e32 v13, v12
	v_dual_cndmask_b32 v7, v8, v7, s0 :: v_dual_bitop2_b32 v9, v3, v12 bitop3:0x14
	s_delay_alu instid0(VALU_DEP_1) | instskip(NEXT) | instid1(VALU_DEP_1)
	v_xor_b32_e32 v8, v7, v12
	v_sub_nc_u64_e32 v[8:9], v[8:9], v[12:13]
.LBB7_9:                                ;   in Loop: Header=BB7_3 Depth=1
	s_or_saveexec_b32 s0, s85
	v_cvt_f32_u32_e32 v7, s36
	s_xor_b32 exec_lo, exec_lo, s0
	s_cbranch_execz .LBB7_11
; %bb.10:                               ;   in Loop: Header=BB7_3 Depth=1
	s_delay_alu instid0(VALU_DEP_1) | instskip(SKIP_2) | instid1(TRANS32_DEP_1)
	v_rcp_iflag_f32_e32 v3, v7
	s_sub_co_i32 s2, 0, s36
	v_nop
	v_mul_f32_e32 v3, 0x4f7ffffe, v3
	s_delay_alu instid0(VALU_DEP_1) | instskip(NEXT) | instid1(VALU_DEP_1)
	v_cvt_u32_f32_e32 v3, v3
	v_mul_lo_u32 v8, s2, v3
	s_delay_alu instid0(VALU_DEP_1) | instskip(NEXT) | instid1(VALU_DEP_1)
	v_mul_hi_u32 v8, v3, v8
	v_add_nc_u32_e32 v3, v3, v8
	s_delay_alu instid0(VALU_DEP_1) | instskip(NEXT) | instid1(VALU_DEP_1)
	v_mul_hi_u32 v3, v24, v3
	v_mul_lo_u32 v8, v3, s36
	s_delay_alu instid0(VALU_DEP_1) | instskip(NEXT) | instid1(VALU_DEP_1)
	v_sub_nc_u32_e32 v8, v24, v8
	v_subrev_nc_u32_e32 v12, s36, v8
	v_cmp_le_u32_e32 vcc_lo, s36, v8
	s_delay_alu instid0(VALU_DEP_2) | instskip(NEXT) | instid1(VALU_DEP_1)
	v_dual_cndmask_b32 v8, v8, v12 :: v_dual_add_nc_u32 v9, 1, v3
	v_cndmask_b32_e32 v3, v3, v9, vcc_lo
	s_delay_alu instid0(VALU_DEP_2) | instskip(NEXT) | instid1(VALU_DEP_2)
	v_cmp_le_u32_e32 vcc_lo, s36, v8
	v_add_nc_u32_e32 v9, 1, v3
	s_delay_alu instid0(VALU_DEP_1)
	v_dual_cndmask_b32 v8, v3, v9 :: v_dual_mov_b32 v9, v2
.LBB7_11:                               ;   in Loop: Header=BB7_3 Depth=1
	s_or_b32 exec_lo, exec_lo, s0
	s_delay_alu instid0(VALU_DEP_1) | instskip(SKIP_3) | instid1(VALU_DEP_3)
	v_mul_u64_e32 v[12:13], s[36:37], v[8:9]
	v_mul_u64_e32 v[8:9], s[8:9], v[8:9]
	;; [unrolled: 1-line block ×3, first 2 shown]
	s_mov_b32 s0, exec_lo
	v_sub_nc_u64_e32 v[12:13], v[4:5], v[12:13]
	s_delay_alu instid0(VALU_DEP_3) | instskip(NEXT) | instid1(VALU_DEP_2)
	v_lshl_add_u64 v[8:9], v[8:9], 2, s[34:35]
	v_add_nc_u64_e32 v[12:13], v[0:1], v[12:13]
	s_delay_alu instid0(VALU_DEP_1) | instskip(NEXT) | instid1(VALU_DEP_1)
	v_mul_u64_e32 v[12:13], s[10:11], v[12:13]
	v_lshl_add_u64 v[8:9], v[12:13], 2, v[8:9]
                                        ; implicit-def: $vgpr12_vgpr13
	global_load_b32 v35, v[8:9], off
	s_wait_xcnt 0x0
	v_mad_nc_u64_u32 v[8:9], s4, v14, s[4:5]
	s_delay_alu instid0(VALU_DEP_1) | instskip(NEXT) | instid1(VALU_DEP_1)
	v_mad_u32 v3, s5, v14, v9
	v_mad_u32 v9, s4, v15, v3
	s_delay_alu instid0(VALU_DEP_1) | instskip(NEXT) | instid1(VALU_DEP_1)
	v_add_nc_u64_e32 v[26:27], v[0:1], v[8:9]
	v_dual_ashrrev_i32 v18, 31, v27 :: v_dual_bitop2_b32 v3, s37, v27 bitop3:0x54
	s_delay_alu instid0(VALU_DEP_1)
	v_cmpx_ne_u64_e32 0, v[2:3]
	s_xor_b32 s85, exec_lo, s0
	s_cbranch_execz .LBB7_13
; %bb.12:                               ;   in Loop: Header=BB7_3 Depth=1
	s_ashr_i32 s80, s37, 31
	v_dual_mov_b32 v19, v18 :: v_dual_mov_b32 v21, v2
	s_mov_b32 s81, s80
	v_mov_b32_e32 v29, v2
	s_add_nc_u64 s[82:83], s[36:37], s[80:81]
	s_delay_alu instid0(VALU_DEP_2)
	v_add_nc_u64_e32 v[12:13], v[26:27], v[18:19]
	s_xor_b64 s[82:83], s[82:83], s[80:81]
	v_mov_b32_e32 v33, v2
	s_cvt_f32_u32 s0, s82
	s_cvt_f32_u32 s2, s83
	s_sub_nc_u64 s[88:89], 0, s[82:83]
	s_delay_alu instid0(VALU_DEP_2) | instskip(NEXT) | instid1(SALU_CYCLE_1)
	v_xor_b32_e32 v20, v12, v18
	s_fmamk_f32 s0, s2, 0x4f800000, s0
	v_xor_b32_e32 v28, v13, v18
	s_delay_alu instid0(SALU_CYCLE_2) | instskip(NEXT) | instid1(TRANS32_DEP_1)
	v_s_rcp_f32 s0, s0
	s_mul_f32 s0, s0, 0x5f7ffffc
	s_delay_alu instid0(SALU_CYCLE_3) | instskip(NEXT) | instid1(SALU_CYCLE_3)
	s_mul_f32 s2, s0, 0x2f800000
	s_trunc_f32 s2, s2
	s_delay_alu instid0(SALU_CYCLE_3) | instskip(SKIP_1) | instid1(SALU_CYCLE_2)
	s_fmamk_f32 s0, s2, 0xcf800000, s0
	s_cvt_u32_f32 s87, s2
	s_cvt_u32_f32 s86, s0
	s_delay_alu instid0(SALU_CYCLE_3) | instskip(NEXT) | instid1(SALU_CYCLE_1)
	s_mul_u64 s[90:91], s[88:89], s[86:87]
	s_mul_hi_u32 s93, s86, s91
	s_mul_i32 s92, s86, s91
	s_mul_hi_u32 s2, s86, s90
	s_mul_i32 s81, s87, s90
	s_add_nc_u64 s[92:93], s[2:3], s[92:93]
	s_mul_hi_u32 s0, s87, s90
	s_mul_hi_u32 s94, s87, s91
	s_add_co_u32 s2, s92, s81
	s_add_co_ci_u32 s2, s93, s0
	s_mul_i32 s90, s87, s91
	s_add_co_ci_u32 s91, s94, 0
	s_delay_alu instid0(SALU_CYCLE_1) | instskip(NEXT) | instid1(SALU_CYCLE_1)
	s_add_nc_u64 s[90:91], s[2:3], s[90:91]
	s_add_co_u32 s86, s86, s90
	s_cselect_b32 s0, -1, 0
	s_delay_alu instid0(SALU_CYCLE_1) | instskip(SKIP_1) | instid1(SALU_CYCLE_1)
	s_cmp_lg_u32 s0, 0
	s_add_co_ci_u32 s87, s87, s91
	s_mul_u64 s[88:89], s[88:89], s[86:87]
	s_delay_alu instid0(SALU_CYCLE_1)
	s_mul_hi_u32 s91, s86, s89
	s_mul_i32 s90, s86, s89
	s_mul_hi_u32 s2, s86, s88
	s_mul_i32 s81, s87, s88
	s_add_nc_u64 s[90:91], s[2:3], s[90:91]
	s_mul_hi_u32 s0, s87, s88
	s_mul_hi_u32 s92, s87, s89
	s_add_co_u32 s2, s90, s81
	s_add_co_ci_u32 s2, s91, s0
	s_mul_i32 s88, s87, s89
	s_add_co_ci_u32 s89, s92, 0
	s_delay_alu instid0(SALU_CYCLE_1) | instskip(NEXT) | instid1(SALU_CYCLE_1)
	s_add_nc_u64 s[88:89], s[2:3], s[88:89]
	s_add_co_u32 s0, s86, s88
	s_cselect_b32 s2, -1, 0
	v_nop
	v_mul_hi_u32 v32, v20, s0
	s_cmp_lg_u32 s2, 0
	s_add_co_ci_u32 s2, s87, s89
	s_and_b64 s[86:87], s[0:1], s[74:75]
	v_mul_u64_e32 v[22:23], s[2:3], v[20:21]
	v_mul_u64_e32 v[12:13], s[86:87], v[28:29]
	;; [unrolled: 1-line block ×3, first 2 shown]
	s_delay_alu instid0(VALU_DEP_3) | instskip(NEXT) | instid1(VALU_DEP_1)
	v_add_nc_u64_e32 v[22:23], v[32:33], v[22:23]
	v_add_co_u32 v3, vcc_lo, v22, v12
	s_delay_alu instid0(VALU_DEP_2) | instskip(NEXT) | instid1(VALU_DEP_4)
	v_add_co_ci_u32_e32 v32, vcc_lo, v23, v13, vcc_lo
	v_add_co_ci_u32_e32 v31, vcc_lo, 0, v31, vcc_lo
	s_delay_alu instid0(VALU_DEP_1) | instskip(NEXT) | instid1(VALU_DEP_1)
	v_add_nc_u64_e32 v[12:13], v[32:33], v[30:31]
	v_mul_u64_e32 v[22:23], s[82:83], v[12:13]
	s_delay_alu instid0(VALU_DEP_1) | instskip(NEXT) | instid1(VALU_DEP_2)
	v_sub_nc_u32_e32 v3, v28, v23
	v_sub_co_u32 v17, vcc_lo, v20, v22
	s_delay_alu instid0(VALU_DEP_1) | instskip(NEXT) | instid1(VALU_DEP_3)
	v_sub_co_ci_u32_e64 v28, null, v28, v23, vcc_lo
	v_subrev_co_ci_u32_e64 v3, null, s83, v3, vcc_lo
	s_delay_alu instid0(VALU_DEP_3) | instskip(SKIP_1) | instid1(VALU_DEP_3)
	v_sub_co_u32 v19, s0, v17, s82
	v_add_nc_u64_e32 v[22:23], 1, v[12:13]
	v_subrev_co_ci_u32_e64 v3, null, 0, v3, s0
	s_delay_alu instid0(VALU_DEP_3) | instskip(SKIP_1) | instid1(VALU_DEP_3)
	v_cmp_le_u32_e32 vcc_lo, s82, v19
	v_cndmask_b32_e64 v19, 0, -1, vcc_lo
	v_cmp_le_u32_e32 vcc_lo, s83, v3
	v_cndmask_b32_e64 v20, 0, -1, vcc_lo
	;; [unrolled: 2-line block ×4, first 2 shown]
	v_cmp_eq_u32_e32 vcc_lo, s83, v3
	v_cndmask_b32_e32 v3, v20, v19, vcc_lo
	v_cmp_eq_u32_e32 vcc_lo, s83, v28
	v_add_nc_u64_e32 v[20:21], 2, v[12:13]
	v_cndmask_b32_e32 v17, v29, v17, vcc_lo
	s_delay_alu instid0(VALU_DEP_4) | instskip(NEXT) | instid1(VALU_DEP_2)
	v_cmp_ne_u32_e32 vcc_lo, 0, v3
	v_cmp_ne_u32_e64 s0, 0, v17
	s_delay_alu instid0(VALU_DEP_4) | instskip(NEXT) | instid1(VALU_DEP_1)
	v_dual_cndmask_b32 v3, v23, v21, vcc_lo :: v_dual_cndmask_b32 v17, v22, v20, vcc_lo
	v_dual_cndmask_b32 v3, v13, v3, s0 :: v_dual_bitop2_b32 v20, s80, v18 bitop3:0x14
	s_delay_alu instid0(VALU_DEP_2) | instskip(NEXT) | instid1(VALU_DEP_2)
	v_cndmask_b32_e64 v12, v12, v17, s0
	v_dual_mov_b32 v21, v20 :: v_dual_bitop2_b32 v13, v3, v20 bitop3:0x14
	s_delay_alu instid0(VALU_DEP_2) | instskip(NEXT) | instid1(VALU_DEP_1)
	v_xor_b32_e32 v12, v12, v20
	v_sub_nc_u64_e32 v[12:13], v[12:13], v[20:21]
.LBB7_13:                               ;   in Loop: Header=BB7_3 Depth=1
	s_and_not1_saveexec_b32 s0, s85
	s_cbranch_execz .LBB7_15
; %bb.14:                               ;   in Loop: Header=BB7_3 Depth=1
	v_rcp_iflag_f32_e32 v3, v7
	s_sub_co_i32 s2, 0, s36
	v_nop
	s_delay_alu instid0(TRANS32_DEP_1) | instskip(NEXT) | instid1(VALU_DEP_1)
	v_mul_f32_e32 v3, 0x4f7ffffe, v3
	v_cvt_u32_f32_e32 v3, v3
	s_delay_alu instid0(VALU_DEP_1) | instskip(NEXT) | instid1(VALU_DEP_1)
	v_mul_lo_u32 v12, s2, v3
	v_mul_hi_u32 v12, v3, v12
	s_delay_alu instid0(VALU_DEP_1) | instskip(NEXT) | instid1(VALU_DEP_1)
	v_add_nc_u32_e32 v3, v3, v12
	v_mul_hi_u32 v3, v26, v3
	s_delay_alu instid0(VALU_DEP_1) | instskip(NEXT) | instid1(VALU_DEP_1)
	v_mul_lo_u32 v12, v3, s36
	v_dual_add_nc_u32 v13, 1, v3 :: v_dual_sub_nc_u32 v12, v26, v12
	s_delay_alu instid0(VALU_DEP_1) | instskip(SKIP_1) | instid1(VALU_DEP_2)
	v_subrev_nc_u32_e32 v17, s36, v12
	v_cmp_le_u32_e32 vcc_lo, s36, v12
	v_cndmask_b32_e32 v12, v12, v17, vcc_lo
	s_delay_alu instid0(VALU_DEP_4) | instskip(NEXT) | instid1(VALU_DEP_2)
	v_cndmask_b32_e32 v3, v3, v13, vcc_lo
	v_cmp_le_u32_e32 vcc_lo, s36, v12
	s_delay_alu instid0(VALU_DEP_2) | instskip(NEXT) | instid1(VALU_DEP_1)
	v_add_nc_u32_e32 v13, 1, v3
	v_dual_cndmask_b32 v12, v3, v13 :: v_dual_mov_b32 v13, v2
.LBB7_15:                               ;   in Loop: Header=BB7_3 Depth=1
	s_or_b32 exec_lo, exec_lo, s0
	s_delay_alu instid0(VALU_DEP_1) | instskip(SKIP_2) | instid1(VALU_DEP_2)
	v_mul_u64_e32 v[20:21], s[36:37], v[12:13]
	v_mul_u64_e32 v[12:13], s[8:9], v[12:13]
                                        ; implicit-def: $vgpr22_vgpr23
	s_mov_b32 s0, exec_lo
	v_sub_nc_u64_e32 v[20:21], v[8:9], v[20:21]
	s_delay_alu instid0(VALU_DEP_2) | instskip(NEXT) | instid1(VALU_DEP_2)
	v_lshl_add_u64 v[12:13], v[12:13], 2, s[34:35]
	v_add_nc_u64_e32 v[20:21], v[0:1], v[20:21]
	s_delay_alu instid0(VALU_DEP_1) | instskip(NEXT) | instid1(VALU_DEP_1)
	v_mul_u64_e32 v[20:21], s[10:11], v[20:21]
	v_lshl_add_u64 v[12:13], v[20:21], 2, v[12:13]
	global_load_b32 v36, v[12:13], off
	s_wait_xcnt 0x0
	v_add_nc_u64_e32 v[12:13], 2, v[14:15]
	s_delay_alu instid0(VALU_DEP_1) | instskip(NEXT) | instid1(VALU_DEP_1)
	v_mul_u64_e32 v[12:13], s[4:5], v[12:13]
	v_add_nc_u64_e32 v[28:29], v[0:1], v[12:13]
	s_delay_alu instid0(VALU_DEP_1) | instskip(NEXT) | instid1(VALU_DEP_1)
	v_dual_ashrrev_i32 v20, 31, v29 :: v_dual_bitop2_b32 v3, s37, v29 bitop3:0x54
	v_cmpx_ne_u64_e32 0, v[2:3]
	s_xor_b32 s85, exec_lo, s0
	s_cbranch_execz .LBB7_17
; %bb.16:                               ;   in Loop: Header=BB7_3 Depth=1
	s_ashr_i32 s80, s37, 31
	v_dual_mov_b32 v21, v20 :: v_dual_mov_b32 v31, v2
	s_mov_b32 s81, s80
	v_mov_b32_e32 v43, v2
	s_add_nc_u64 s[82:83], s[36:37], s[80:81]
	s_delay_alu instid0(VALU_DEP_2)
	v_add_nc_u64_e32 v[22:23], v[28:29], v[20:21]
	s_xor_b64 s[82:83], s[82:83], s[80:81]
	v_mov_b32_e32 v39, v2
	s_cvt_f32_u32 s0, s82
	s_cvt_f32_u32 s2, s83
	s_sub_nc_u64 s[88:89], 0, s[82:83]
	s_delay_alu instid0(VALU_DEP_2) | instskip(NEXT) | instid1(SALU_CYCLE_1)
	v_xor_b32_e32 v30, v22, v20
	s_fmamk_f32 s0, s2, 0x4f800000, s0
	v_xor_b32_e32 v38, v23, v20
	s_delay_alu instid0(SALU_CYCLE_2) | instskip(NEXT) | instid1(TRANS32_DEP_1)
	v_s_rcp_f32 s0, s0
	s_mul_f32 s0, s0, 0x5f7ffffc
	s_delay_alu instid0(SALU_CYCLE_3) | instskip(NEXT) | instid1(SALU_CYCLE_3)
	s_mul_f32 s2, s0, 0x2f800000
	s_trunc_f32 s2, s2
	s_delay_alu instid0(SALU_CYCLE_3) | instskip(SKIP_1) | instid1(SALU_CYCLE_2)
	s_fmamk_f32 s0, s2, 0xcf800000, s0
	s_cvt_u32_f32 s87, s2
	s_cvt_u32_f32 s86, s0
	s_delay_alu instid0(SALU_CYCLE_3) | instskip(NEXT) | instid1(SALU_CYCLE_1)
	s_mul_u64 s[90:91], s[88:89], s[86:87]
	s_mul_hi_u32 s93, s86, s91
	s_mul_i32 s92, s86, s91
	s_mul_hi_u32 s2, s86, s90
	s_mul_i32 s81, s87, s90
	s_add_nc_u64 s[92:93], s[2:3], s[92:93]
	s_mul_hi_u32 s0, s87, s90
	s_mul_hi_u32 s94, s87, s91
	s_add_co_u32 s2, s92, s81
	s_add_co_ci_u32 s2, s93, s0
	s_mul_i32 s90, s87, s91
	s_add_co_ci_u32 s91, s94, 0
	s_delay_alu instid0(SALU_CYCLE_1) | instskip(NEXT) | instid1(SALU_CYCLE_1)
	s_add_nc_u64 s[90:91], s[2:3], s[90:91]
	s_add_co_u32 s86, s86, s90
	s_cselect_b32 s0, -1, 0
	s_delay_alu instid0(SALU_CYCLE_1) | instskip(SKIP_1) | instid1(SALU_CYCLE_1)
	s_cmp_lg_u32 s0, 0
	s_add_co_ci_u32 s87, s87, s91
	s_mul_u64 s[88:89], s[88:89], s[86:87]
	s_delay_alu instid0(SALU_CYCLE_1)
	s_mul_hi_u32 s91, s86, s89
	s_mul_i32 s90, s86, s89
	s_mul_hi_u32 s2, s86, s88
	s_mul_i32 s81, s87, s88
	s_add_nc_u64 s[90:91], s[2:3], s[90:91]
	s_mul_hi_u32 s0, s87, s88
	s_mul_hi_u32 s92, s87, s89
	s_add_co_u32 s2, s90, s81
	s_add_co_ci_u32 s2, s91, s0
	s_mul_i32 s88, s87, s89
	s_add_co_ci_u32 s89, s92, 0
	s_delay_alu instid0(SALU_CYCLE_1) | instskip(NEXT) | instid1(SALU_CYCLE_1)
	s_add_nc_u64 s[88:89], s[2:3], s[88:89]
	s_add_co_u32 s0, s86, s88
	s_cselect_b32 s2, -1, 0
	v_nop
	v_mul_hi_u32 v42, v30, s0
	s_cmp_lg_u32 s2, 0
	s_add_co_ci_u32 s2, s87, s89
	s_and_b64 s[86:87], s[0:1], s[74:75]
	v_mul_u64_e32 v[32:33], s[2:3], v[30:31]
	v_mul_u64_e32 v[22:23], s[86:87], v[38:39]
	;; [unrolled: 1-line block ×3, first 2 shown]
	s_delay_alu instid0(VALU_DEP_3) | instskip(NEXT) | instid1(VALU_DEP_1)
	v_add_nc_u64_e32 v[32:33], v[42:43], v[32:33]
	v_add_co_u32 v3, vcc_lo, v32, v22
	s_delay_alu instid0(VALU_DEP_2) | instskip(NEXT) | instid1(VALU_DEP_4)
	v_add_co_ci_u32_e32 v42, vcc_lo, v33, v23, vcc_lo
	v_add_co_ci_u32_e32 v41, vcc_lo, 0, v41, vcc_lo
	s_delay_alu instid0(VALU_DEP_1) | instskip(NEXT) | instid1(VALU_DEP_1)
	v_add_nc_u64_e32 v[22:23], v[42:43], v[40:41]
	v_mul_u64_e32 v[32:33], s[82:83], v[22:23]
	s_delay_alu instid0(VALU_DEP_1) | instskip(NEXT) | instid1(VALU_DEP_2)
	v_sub_nc_u32_e32 v3, v38, v33
	v_sub_co_u32 v17, vcc_lo, v30, v32
	s_delay_alu instid0(VALU_DEP_1) | instskip(NEXT) | instid1(VALU_DEP_3)
	v_sub_co_ci_u32_e64 v21, null, v38, v33, vcc_lo
	v_subrev_co_ci_u32_e64 v3, null, s83, v3, vcc_lo
	s_delay_alu instid0(VALU_DEP_3) | instskip(SKIP_1) | instid1(VALU_DEP_3)
	v_sub_co_u32 v19, s0, v17, s82
	v_add_nc_u64_e32 v[32:33], 1, v[22:23]
	v_subrev_co_ci_u32_e64 v3, null, 0, v3, s0
	s_delay_alu instid0(VALU_DEP_3) | instskip(SKIP_1) | instid1(VALU_DEP_3)
	v_cmp_le_u32_e32 vcc_lo, s82, v19
	v_cndmask_b32_e64 v19, 0, -1, vcc_lo
	v_cmp_le_u32_e32 vcc_lo, s83, v3
	v_cndmask_b32_e64 v30, 0, -1, vcc_lo
	;; [unrolled: 2-line block ×4, first 2 shown]
	v_cmp_eq_u32_e32 vcc_lo, s83, v3
	v_cndmask_b32_e32 v3, v30, v19, vcc_lo
	v_cmp_eq_u32_e32 vcc_lo, s83, v21
	v_add_nc_u64_e32 v[30:31], 2, v[22:23]
	v_cndmask_b32_e32 v17, v37, v17, vcc_lo
	s_delay_alu instid0(VALU_DEP_4) | instskip(NEXT) | instid1(VALU_DEP_2)
	v_cmp_ne_u32_e32 vcc_lo, 0, v3
	v_cmp_ne_u32_e64 s0, 0, v17
	s_delay_alu instid0(VALU_DEP_4) | instskip(NEXT) | instid1(VALU_DEP_1)
	v_dual_cndmask_b32 v3, v33, v31, vcc_lo :: v_dual_cndmask_b32 v17, v32, v30, vcc_lo
	v_dual_cndmask_b32 v3, v23, v3, s0 :: v_dual_bitop2_b32 v30, s80, v20 bitop3:0x14
	s_delay_alu instid0(VALU_DEP_2) | instskip(NEXT) | instid1(VALU_DEP_2)
	v_cndmask_b32_e64 v17, v22, v17, s0
	v_dual_mov_b32 v31, v30 :: v_dual_bitop2_b32 v23, v3, v30 bitop3:0x14
	s_delay_alu instid0(VALU_DEP_2) | instskip(NEXT) | instid1(VALU_DEP_1)
	v_xor_b32_e32 v22, v17, v30
	v_sub_nc_u64_e32 v[22:23], v[22:23], v[30:31]
.LBB7_17:                               ;   in Loop: Header=BB7_3 Depth=1
	s_and_not1_saveexec_b32 s0, s85
	s_cbranch_execz .LBB7_19
; %bb.18:                               ;   in Loop: Header=BB7_3 Depth=1
	v_rcp_iflag_f32_e32 v3, v7
	s_sub_co_i32 s2, 0, s36
	v_mov_b32_e32 v23, v2
	s_delay_alu instid0(TRANS32_DEP_1) | instskip(NEXT) | instid1(VALU_DEP_1)
	v_mul_f32_e32 v3, 0x4f7ffffe, v3
	v_cvt_u32_f32_e32 v3, v3
	s_delay_alu instid0(VALU_DEP_1) | instskip(NEXT) | instid1(VALU_DEP_1)
	v_mul_lo_u32 v17, s2, v3
	v_mul_hi_u32 v17, v3, v17
	s_delay_alu instid0(VALU_DEP_1) | instskip(NEXT) | instid1(VALU_DEP_1)
	v_add_nc_u32_e32 v3, v3, v17
	v_mul_hi_u32 v3, v28, v3
	s_delay_alu instid0(VALU_DEP_1) | instskip(NEXT) | instid1(VALU_DEP_1)
	v_mul_lo_u32 v17, v3, s36
	v_sub_nc_u32_e32 v17, v28, v17
	s_delay_alu instid0(VALU_DEP_1) | instskip(SKIP_1) | instid1(VALU_DEP_2)
	v_subrev_nc_u32_e32 v21, s36, v17
	v_cmp_le_u32_e32 vcc_lo, s36, v17
	v_dual_add_nc_u32 v19, 1, v3 :: v_dual_cndmask_b32 v17, v17, v21, vcc_lo
	s_delay_alu instid0(VALU_DEP_1) | instskip(NEXT) | instid1(VALU_DEP_2)
	v_cndmask_b32_e32 v3, v3, v19, vcc_lo
	v_cmp_le_u32_e32 vcc_lo, s36, v17
	s_delay_alu instid0(VALU_DEP_2) | instskip(NEXT) | instid1(VALU_DEP_1)
	v_add_nc_u32_e32 v19, 1, v3
	v_cndmask_b32_e32 v22, v3, v19, vcc_lo
.LBB7_19:                               ;   in Loop: Header=BB7_3 Depth=1
	s_or_b32 exec_lo, exec_lo, s0
	s_delay_alu instid0(VALU_DEP_1) | instskip(SKIP_3) | instid1(VALU_DEP_1)
	v_mul_u64_e32 v[30:31], s[36:37], v[22:23]
	v_mul_u64_e32 v[22:23], s[8:9], v[22:23]
	v_add_nc_u64_e32 v[14:15], 3, v[14:15]
                                        ; implicit-def: $vgpr32_vgpr33
	s_mov_b32 s0, exec_lo
	v_mul_u64_e32 v[14:15], s[4:5], v[14:15]
	s_delay_alu instid0(VALU_DEP_4) | instskip(NEXT) | instid1(VALU_DEP_4)
	v_sub_nc_u64_e32 v[30:31], v[12:13], v[30:31]
	v_lshl_add_u64 v[22:23], v[22:23], 2, s[34:35]
	s_delay_alu instid0(VALU_DEP_2) | instskip(NEXT) | instid1(VALU_DEP_1)
	v_add_nc_u64_e32 v[30:31], v[0:1], v[30:31]
	v_mul_u64_e32 v[30:31], s[10:11], v[30:31]
	s_delay_alu instid0(VALU_DEP_1) | instskip(SKIP_4) | instid1(VALU_DEP_1)
	v_lshl_add_u64 v[22:23], v[30:31], 2, v[22:23]
	v_add_nc_u64_e32 v[30:31], v[0:1], v[14:15]
	global_load_b32 v37, v[22:23], off
	s_wait_xcnt 0x0
	v_dual_ashrrev_i32 v22, 31, v31 :: v_dual_bitop2_b32 v3, s37, v31 bitop3:0x54
	v_cmpx_ne_u64_e32 0, v[2:3]
	s_xor_b32 s85, exec_lo, s0
	s_cbranch_execz .LBB7_21
; %bb.20:                               ;   in Loop: Header=BB7_3 Depth=1
	s_ashr_i32 s80, s37, 31
	v_dual_mov_b32 v23, v22 :: v_dual_mov_b32 v39, v2
	s_mov_b32 s81, s80
	v_mov_b32_e32 v43, v2
	s_add_nc_u64 s[82:83], s[36:37], s[80:81]
	s_delay_alu instid0(VALU_DEP_2)
	v_add_nc_u64_e32 v[32:33], v[30:31], v[22:23]
	s_xor_b64 s[82:83], s[82:83], s[80:81]
	v_mov_b32_e32 v47, v2
	s_cvt_f32_u32 s0, s82
	s_cvt_f32_u32 s2, s83
	s_sub_nc_u64 s[88:89], 0, s[82:83]
	s_delay_alu instid0(VALU_DEP_2) | instskip(NEXT) | instid1(SALU_CYCLE_1)
	v_xor_b32_e32 v38, v32, v22
	s_fmamk_f32 s0, s2, 0x4f800000, s0
	v_xor_b32_e32 v42, v33, v22
	s_delay_alu instid0(SALU_CYCLE_2) | instskip(NEXT) | instid1(TRANS32_DEP_1)
	v_s_rcp_f32 s0, s0
	s_mul_f32 s0, s0, 0x5f7ffffc
	s_delay_alu instid0(SALU_CYCLE_3) | instskip(NEXT) | instid1(SALU_CYCLE_3)
	s_mul_f32 s2, s0, 0x2f800000
	s_trunc_f32 s2, s2
	s_delay_alu instid0(SALU_CYCLE_3) | instskip(SKIP_1) | instid1(SALU_CYCLE_2)
	s_fmamk_f32 s0, s2, 0xcf800000, s0
	s_cvt_u32_f32 s87, s2
	s_cvt_u32_f32 s86, s0
	s_delay_alu instid0(SALU_CYCLE_3) | instskip(NEXT) | instid1(SALU_CYCLE_1)
	s_mul_u64 s[90:91], s[88:89], s[86:87]
	s_mul_hi_u32 s93, s86, s91
	s_mul_i32 s92, s86, s91
	s_mul_hi_u32 s2, s86, s90
	s_mul_i32 s81, s87, s90
	s_add_nc_u64 s[92:93], s[2:3], s[92:93]
	s_mul_hi_u32 s0, s87, s90
	s_mul_hi_u32 s94, s87, s91
	s_add_co_u32 s2, s92, s81
	s_add_co_ci_u32 s2, s93, s0
	s_mul_i32 s90, s87, s91
	s_add_co_ci_u32 s91, s94, 0
	s_delay_alu instid0(SALU_CYCLE_1) | instskip(NEXT) | instid1(SALU_CYCLE_1)
	s_add_nc_u64 s[90:91], s[2:3], s[90:91]
	s_add_co_u32 s86, s86, s90
	s_cselect_b32 s0, -1, 0
	s_delay_alu instid0(SALU_CYCLE_1) | instskip(SKIP_1) | instid1(SALU_CYCLE_1)
	s_cmp_lg_u32 s0, 0
	s_add_co_ci_u32 s87, s87, s91
	s_mul_u64 s[88:89], s[88:89], s[86:87]
	s_delay_alu instid0(SALU_CYCLE_1)
	s_mul_hi_u32 s91, s86, s89
	s_mul_i32 s90, s86, s89
	s_mul_hi_u32 s2, s86, s88
	s_mul_i32 s81, s87, s88
	s_add_nc_u64 s[90:91], s[2:3], s[90:91]
	s_mul_hi_u32 s0, s87, s88
	s_mul_hi_u32 s92, s87, s89
	s_add_co_u32 s2, s90, s81
	s_add_co_ci_u32 s2, s91, s0
	s_mul_i32 s88, s87, s89
	s_add_co_ci_u32 s89, s92, 0
	s_delay_alu instid0(SALU_CYCLE_1) | instskip(NEXT) | instid1(SALU_CYCLE_1)
	s_add_nc_u64 s[88:89], s[2:3], s[88:89]
	s_add_co_u32 s0, s86, s88
	s_cselect_b32 s2, -1, 0
	v_nop
	v_mul_hi_u32 v46, v38, s0
	s_cmp_lg_u32 s2, 0
	s_add_co_ci_u32 s2, s87, s89
	s_and_b64 s[86:87], s[0:1], s[74:75]
	v_mul_u64_e32 v[40:41], s[2:3], v[38:39]
	v_mul_u64_e32 v[32:33], s[86:87], v[42:43]
	v_mul_u64_e32 v[44:45], s[2:3], v[42:43]
	s_delay_alu instid0(VALU_DEP_3) | instskip(NEXT) | instid1(VALU_DEP_1)
	v_add_nc_u64_e32 v[40:41], v[46:47], v[40:41]
	v_add_co_u32 v3, vcc_lo, v40, v32
	s_delay_alu instid0(VALU_DEP_2) | instskip(NEXT) | instid1(VALU_DEP_4)
	v_add_co_ci_u32_e32 v46, vcc_lo, v41, v33, vcc_lo
	v_add_co_ci_u32_e32 v45, vcc_lo, 0, v45, vcc_lo
	s_delay_alu instid0(VALU_DEP_1) | instskip(NEXT) | instid1(VALU_DEP_1)
	v_add_nc_u64_e32 v[32:33], v[46:47], v[44:45]
	v_mul_u64_e32 v[40:41], s[82:83], v[32:33]
	s_delay_alu instid0(VALU_DEP_1) | instskip(NEXT) | instid1(VALU_DEP_2)
	v_sub_nc_u32_e32 v3, v42, v41
	v_sub_co_u32 v7, vcc_lo, v38, v40
	s_delay_alu instid0(VALU_DEP_1) | instskip(NEXT) | instid1(VALU_DEP_3)
	v_sub_co_ci_u32_e64 v19, null, v42, v41, vcc_lo
	v_subrev_co_ci_u32_e64 v3, null, s83, v3, vcc_lo
	s_delay_alu instid0(VALU_DEP_3) | instskip(SKIP_1) | instid1(VALU_DEP_3)
	v_sub_co_u32 v17, s0, v7, s82
	v_add_nc_u64_e32 v[38:39], 2, v[32:33]
	v_subrev_co_ci_u32_e64 v3, null, 0, v3, s0
	s_delay_alu instid0(VALU_DEP_3) | instskip(SKIP_2) | instid1(VALU_DEP_4)
	v_cmp_le_u32_e32 vcc_lo, s82, v17
	v_add_nc_u64_e32 v[40:41], 1, v[32:33]
	v_cndmask_b32_e64 v17, 0, -1, vcc_lo
	v_cmp_le_u32_e32 vcc_lo, s83, v3
	v_cndmask_b32_e64 v21, 0, -1, vcc_lo
	v_cmp_le_u32_e32 vcc_lo, s82, v7
	v_cndmask_b32_e64 v7, 0, -1, vcc_lo
	v_cmp_le_u32_e32 vcc_lo, s83, v19
	v_cndmask_b32_e64 v23, 0, -1, vcc_lo
	v_cmp_eq_u32_e32 vcc_lo, s83, v3
	v_cndmask_b32_e32 v3, v21, v17, vcc_lo
	v_cmp_eq_u32_e32 vcc_lo, s83, v19
	s_delay_alu instid0(VALU_DEP_4) | instskip(NEXT) | instid1(VALU_DEP_3)
	v_cndmask_b32_e32 v7, v23, v7, vcc_lo
	v_cmp_ne_u32_e32 vcc_lo, 0, v3
	s_delay_alu instid0(VALU_DEP_2) | instskip(SKIP_1) | instid1(VALU_DEP_1)
	v_cmp_ne_u32_e64 s0, 0, v7
	v_dual_cndmask_b32 v3, v41, v39, vcc_lo :: v_dual_cndmask_b32 v7, v40, v38, vcc_lo
	v_dual_cndmask_b32 v3, v33, v3, s0 :: v_dual_bitop2_b32 v38, s80, v22 bitop3:0x14
	s_delay_alu instid0(VALU_DEP_1) | instskip(NEXT) | instid1(VALU_DEP_2)
	v_dual_mov_b32 v39, v38 :: v_dual_cndmask_b32 v7, v32, v7, s0
	v_xor_b32_e32 v33, v3, v38
	s_delay_alu instid0(VALU_DEP_2) | instskip(NEXT) | instid1(VALU_DEP_1)
	v_xor_b32_e32 v32, v7, v38
                                        ; implicit-def: $vgpr7
	v_sub_nc_u64_e32 v[32:33], v[32:33], v[38:39]
.LBB7_21:                               ;   in Loop: Header=BB7_3 Depth=1
	s_and_not1_saveexec_b32 s0, s85
	s_cbranch_execz .LBB7_23
; %bb.22:                               ;   in Loop: Header=BB7_3 Depth=1
	v_rcp_iflag_f32_e32 v3, v7
	s_sub_co_i32 s2, 0, s36
	v_mov_b32_e32 v33, v2
	s_delay_alu instid0(TRANS32_DEP_1) | instskip(NEXT) | instid1(VALU_DEP_1)
	v_mul_f32_e32 v3, 0x4f7ffffe, v3
	v_cvt_u32_f32_e32 v3, v3
	s_delay_alu instid0(VALU_DEP_1) | instskip(NEXT) | instid1(VALU_DEP_1)
	v_mul_lo_u32 v7, s2, v3
	v_mul_hi_u32 v7, v3, v7
	s_delay_alu instid0(VALU_DEP_1) | instskip(NEXT) | instid1(VALU_DEP_1)
	v_add_nc_u32_e32 v3, v3, v7
	v_mul_hi_u32 v3, v30, v3
	s_delay_alu instid0(VALU_DEP_1) | instskip(SKIP_1) | instid1(VALU_DEP_2)
	v_mul_lo_u32 v7, v3, s36
	v_add_nc_u32_e32 v17, 1, v3
	v_sub_nc_u32_e32 v7, v30, v7
	s_delay_alu instid0(VALU_DEP_1) | instskip(SKIP_1) | instid1(VALU_DEP_2)
	v_subrev_nc_u32_e32 v19, s36, v7
	v_cmp_le_u32_e32 vcc_lo, s36, v7
	v_cndmask_b32_e32 v7, v7, v19, vcc_lo
	v_cndmask_b32_e32 v3, v3, v17, vcc_lo
	s_delay_alu instid0(VALU_DEP_2) | instskip(NEXT) | instid1(VALU_DEP_2)
	v_cmp_le_u32_e32 vcc_lo, s36, v7
	v_add_nc_u32_e32 v17, 1, v3
	s_delay_alu instid0(VALU_DEP_1)
	v_cndmask_b32_e32 v32, v3, v17, vcc_lo
.LBB7_23:                               ;   in Loop: Header=BB7_3 Depth=1
	s_or_b32 exec_lo, exec_lo, s0
	s_delay_alu instid0(VALU_DEP_1) | instskip(SKIP_3) | instid1(VALU_DEP_3)
	v_mul_u64_e32 v[38:39], s[36:37], v[32:33]
	v_mul_u64_e32 v[32:33], s[8:9], v[32:33]
	v_or_b32_e32 v3, s43, v25
	s_mov_b32 s0, exec_lo
	v_sub_nc_u64_e32 v[38:39], v[14:15], v[38:39]
	s_delay_alu instid0(VALU_DEP_3) | instskip(NEXT) | instid1(VALU_DEP_2)
	v_lshl_add_u64 v[32:33], v[32:33], 2, s[34:35]
	v_add_nc_u64_e32 v[38:39], v[0:1], v[38:39]
	s_delay_alu instid0(VALU_DEP_1) | instskip(NEXT) | instid1(VALU_DEP_1)
	v_mul_u64_e32 v[38:39], s[10:11], v[38:39]
	v_lshl_add_u64 v[32:33], v[38:39], 2, v[32:33]
	global_load_b32 v38, v[32:33], off
                                        ; implicit-def: $vgpr32_vgpr33
	s_wait_xcnt 0x0
	v_cmpx_ne_u64_e32 0, v[2:3]
	s_xor_b32 s85, exec_lo, s0
	s_cbranch_execz .LBB7_25
; %bb.24:                               ;   in Loop: Header=BB7_3 Depth=1
	s_ashr_i32 s80, s43, 31
	v_dual_mov_b32 v17, v16 :: v_dual_mov_b32 v41, v2
	s_mov_b32 s81, s80
	v_mov_b32_e32 v45, v2
	s_add_nc_u64 s[82:83], s[42:43], s[80:81]
	s_delay_alu instid0(VALU_DEP_2)
	v_add_nc_u64_e32 v[32:33], v[24:25], v[16:17]
	s_xor_b64 s[82:83], s[82:83], s[80:81]
	v_mov_b32_e32 v49, v2
	s_cvt_f32_u32 s0, s82
	s_cvt_f32_u32 s2, s83
	s_sub_nc_u64 s[88:89], 0, s[82:83]
	s_delay_alu instid0(VALU_DEP_2) | instskip(NEXT) | instid1(SALU_CYCLE_1)
	v_xor_b32_e32 v40, v32, v16
	s_fmamk_f32 s0, s2, 0x4f800000, s0
	v_xor_b32_e32 v44, v33, v16
	s_delay_alu instid0(SALU_CYCLE_2) | instskip(NEXT) | instid1(TRANS32_DEP_1)
	v_s_rcp_f32 s0, s0
	s_mul_f32 s0, s0, 0x5f7ffffc
	s_delay_alu instid0(SALU_CYCLE_3) | instskip(NEXT) | instid1(SALU_CYCLE_3)
	s_mul_f32 s2, s0, 0x2f800000
	s_trunc_f32 s2, s2
	s_delay_alu instid0(SALU_CYCLE_3) | instskip(SKIP_1) | instid1(SALU_CYCLE_2)
	s_fmamk_f32 s0, s2, 0xcf800000, s0
	s_cvt_u32_f32 s87, s2
	s_cvt_u32_f32 s86, s0
	s_delay_alu instid0(SALU_CYCLE_3) | instskip(NEXT) | instid1(SALU_CYCLE_1)
	s_mul_u64 s[90:91], s[88:89], s[86:87]
	s_mul_hi_u32 s93, s86, s91
	s_mul_i32 s92, s86, s91
	s_mul_hi_u32 s2, s86, s90
	s_mul_i32 s81, s87, s90
	s_add_nc_u64 s[92:93], s[2:3], s[92:93]
	s_mul_hi_u32 s0, s87, s90
	s_mul_hi_u32 s94, s87, s91
	s_add_co_u32 s2, s92, s81
	s_add_co_ci_u32 s2, s93, s0
	s_mul_i32 s90, s87, s91
	s_add_co_ci_u32 s91, s94, 0
	s_delay_alu instid0(SALU_CYCLE_1) | instskip(NEXT) | instid1(SALU_CYCLE_1)
	s_add_nc_u64 s[90:91], s[2:3], s[90:91]
	s_add_co_u32 s86, s86, s90
	s_cselect_b32 s0, -1, 0
	s_delay_alu instid0(SALU_CYCLE_1) | instskip(SKIP_1) | instid1(SALU_CYCLE_1)
	s_cmp_lg_u32 s0, 0
	s_add_co_ci_u32 s87, s87, s91
	s_mul_u64 s[88:89], s[88:89], s[86:87]
	s_delay_alu instid0(SALU_CYCLE_1)
	s_mul_hi_u32 s91, s86, s89
	s_mul_i32 s90, s86, s89
	s_mul_hi_u32 s2, s86, s88
	s_mul_i32 s81, s87, s88
	s_add_nc_u64 s[90:91], s[2:3], s[90:91]
	s_mul_hi_u32 s0, s87, s88
	s_mul_hi_u32 s92, s87, s89
	s_add_co_u32 s2, s90, s81
	s_add_co_ci_u32 s2, s91, s0
	s_mul_i32 s88, s87, s89
	s_add_co_ci_u32 s89, s92, 0
	s_delay_alu instid0(SALU_CYCLE_1) | instskip(NEXT) | instid1(SALU_CYCLE_1)
	s_add_nc_u64 s[88:89], s[2:3], s[88:89]
	s_add_co_u32 s0, s86, s88
	s_cselect_b32 s2, -1, 0
	v_nop
	v_mul_hi_u32 v48, v40, s0
	s_cmp_lg_u32 s2, 0
	s_add_co_ci_u32 s2, s87, s89
	s_and_b64 s[86:87], s[0:1], s[74:75]
	v_mul_u64_e32 v[42:43], s[2:3], v[40:41]
	v_mul_u64_e32 v[32:33], s[86:87], v[44:45]
	;; [unrolled: 1-line block ×3, first 2 shown]
	s_delay_alu instid0(VALU_DEP_3) | instskip(NEXT) | instid1(VALU_DEP_1)
	v_add_nc_u64_e32 v[42:43], v[48:49], v[42:43]
	v_add_co_u32 v3, vcc_lo, v42, v32
	s_delay_alu instid0(VALU_DEP_2) | instskip(NEXT) | instid1(VALU_DEP_4)
	v_add_co_ci_u32_e32 v48, vcc_lo, v43, v33, vcc_lo
	v_add_co_ci_u32_e32 v47, vcc_lo, 0, v47, vcc_lo
	s_delay_alu instid0(VALU_DEP_1) | instskip(NEXT) | instid1(VALU_DEP_1)
	v_add_nc_u64_e32 v[32:33], v[48:49], v[46:47]
	v_mul_u64_e32 v[42:43], s[82:83], v[32:33]
	s_delay_alu instid0(VALU_DEP_1) | instskip(SKIP_1) | instid1(VALU_DEP_3)
	v_sub_co_u32 v7, vcc_lo, v40, v42
	v_add_nc_u64_e32 v[40:41], 2, v[32:33]
	v_sub_nc_u32_e32 v3, v44, v43
	v_sub_co_ci_u32_e64 v19, null, v44, v43, vcc_lo
	s_delay_alu instid0(VALU_DEP_4) | instskip(NEXT) | instid1(VALU_DEP_3)
	v_sub_co_u32 v17, s0, v7, s82
	v_subrev_co_ci_u32_e64 v3, null, s83, v3, vcc_lo
	v_add_nc_u64_e32 v[42:43], 1, v[32:33]
	s_delay_alu instid0(VALU_DEP_3) | instskip(NEXT) | instid1(VALU_DEP_3)
	v_cmp_le_u32_e32 vcc_lo, s82, v17
	v_subrev_co_ci_u32_e64 v3, null, 0, v3, s0
	v_cndmask_b32_e64 v17, 0, -1, vcc_lo
	s_delay_alu instid0(VALU_DEP_2)
	v_cmp_le_u32_e32 vcc_lo, s83, v3
	v_cndmask_b32_e64 v21, 0, -1, vcc_lo
	v_cmp_le_u32_e32 vcc_lo, s82, v7
	v_cndmask_b32_e64 v7, 0, -1, vcc_lo
	;; [unrolled: 2-line block ×3, first 2 shown]
	v_cmp_eq_u32_e32 vcc_lo, s83, v3
	v_cndmask_b32_e32 v3, v21, v17, vcc_lo
	v_cmp_eq_u32_e32 vcc_lo, s83, v19
	s_delay_alu instid0(VALU_DEP_4) | instskip(NEXT) | instid1(VALU_DEP_3)
	v_cndmask_b32_e32 v7, v23, v7, vcc_lo
	v_cmp_ne_u32_e32 vcc_lo, 0, v3
	s_delay_alu instid0(VALU_DEP_2) | instskip(SKIP_1) | instid1(VALU_DEP_1)
	v_cmp_ne_u32_e64 s0, 0, v7
	v_dual_cndmask_b32 v3, v43, v41, vcc_lo :: v_dual_cndmask_b32 v7, v42, v40, vcc_lo
	v_dual_cndmask_b32 v3, v33, v3, s0 :: v_dual_bitop2_b32 v40, s80, v16 bitop3:0x14
	s_delay_alu instid0(VALU_DEP_1) | instskip(NEXT) | instid1(VALU_DEP_2)
	v_mov_b32_e32 v41, v40
	v_dual_cndmask_b32 v7, v32, v7, s0 :: v_dual_bitop2_b32 v33, v3, v40 bitop3:0x14
	s_delay_alu instid0(VALU_DEP_1) | instskip(NEXT) | instid1(VALU_DEP_1)
	v_xor_b32_e32 v32, v7, v40
	v_sub_nc_u64_e32 v[32:33], v[32:33], v[40:41]
.LBB7_25:                               ;   in Loop: Header=BB7_3 Depth=1
	s_or_saveexec_b32 s0, s85
	v_cvt_f32_u32_e32 v7, s42
	s_xor_b32 exec_lo, exec_lo, s0
	s_cbranch_execz .LBB7_27
; %bb.26:                               ;   in Loop: Header=BB7_3 Depth=1
	s_delay_alu instid0(VALU_DEP_1) | instskip(SKIP_2) | instid1(TRANS32_DEP_1)
	v_rcp_iflag_f32_e32 v3, v7
	s_sub_co_i32 s2, 0, s42
	v_mov_b32_e32 v33, v2
	v_mul_f32_e32 v3, 0x4f7ffffe, v3
	s_delay_alu instid0(VALU_DEP_1) | instskip(NEXT) | instid1(VALU_DEP_1)
	v_cvt_u32_f32_e32 v3, v3
	v_mul_lo_u32 v17, s2, v3
	s_delay_alu instid0(VALU_DEP_1) | instskip(NEXT) | instid1(VALU_DEP_1)
	v_mul_hi_u32 v17, v3, v17
	v_add_nc_u32_e32 v3, v3, v17
	s_delay_alu instid0(VALU_DEP_1) | instskip(NEXT) | instid1(VALU_DEP_1)
	v_mul_hi_u32 v3, v24, v3
	v_mul_lo_u32 v17, v3, s42
	s_delay_alu instid0(VALU_DEP_1) | instskip(NEXT) | instid1(VALU_DEP_1)
	v_sub_nc_u32_e32 v17, v24, v17
	v_subrev_nc_u32_e32 v21, s42, v17
	v_cmp_le_u32_e32 vcc_lo, s42, v17
	s_delay_alu instid0(VALU_DEP_2) | instskip(NEXT) | instid1(VALU_DEP_1)
	v_dual_add_nc_u32 v19, 1, v3 :: v_dual_cndmask_b32 v17, v17, v21, vcc_lo
	v_cndmask_b32_e32 v3, v3, v19, vcc_lo
	s_delay_alu instid0(VALU_DEP_2) | instskip(NEXT) | instid1(VALU_DEP_2)
	v_cmp_le_u32_e32 vcc_lo, s42, v17
	v_add_nc_u32_e32 v19, 1, v3
	s_delay_alu instid0(VALU_DEP_1)
	v_cndmask_b32_e32 v32, v3, v19, vcc_lo
.LBB7_27:                               ;   in Loop: Header=BB7_3 Depth=1
	s_or_b32 exec_lo, exec_lo, s0
	s_delay_alu instid0(VALU_DEP_1) | instskip(SKIP_3) | instid1(VALU_DEP_3)
	v_mul_u64_e32 v[40:41], s[42:43], v[32:33]
	v_mul_u64_e32 v[32:33], s[12:13], v[32:33]
	v_or_b32_e32 v3, s43, v27
	s_mov_b32 s0, exec_lo
	v_sub_nc_u64_e32 v[40:41], v[4:5], v[40:41]
	s_delay_alu instid0(VALU_DEP_3) | instskip(NEXT) | instid1(VALU_DEP_2)
	v_lshl_add_u64 v[32:33], v[32:33], 2, s[38:39]
	v_add_nc_u64_e32 v[40:41], v[0:1], v[40:41]
	s_delay_alu instid0(VALU_DEP_1) | instskip(NEXT) | instid1(VALU_DEP_1)
	v_mul_u64_e32 v[40:41], s[14:15], v[40:41]
	v_lshl_add_u64 v[32:33], v[40:41], 2, v[32:33]
	global_load_b32 v39, v[32:33], off
                                        ; implicit-def: $vgpr32_vgpr33
	s_wait_xcnt 0x0
	v_cmpx_ne_u64_e32 0, v[2:3]
	s_xor_b32 s85, exec_lo, s0
	s_cbranch_execz .LBB7_29
; %bb.28:                               ;   in Loop: Header=BB7_3 Depth=1
	s_ashr_i32 s80, s43, 31
	v_dual_mov_b32 v19, v18 :: v_dual_mov_b32 v41, v2
	s_mov_b32 s81, s80
	v_mov_b32_e32 v45, v2
	s_add_nc_u64 s[82:83], s[42:43], s[80:81]
	s_delay_alu instid0(VALU_DEP_2)
	v_add_nc_u64_e32 v[32:33], v[26:27], v[18:19]
	s_xor_b64 s[82:83], s[82:83], s[80:81]
	v_mov_b32_e32 v49, v2
	s_cvt_f32_u32 s0, s82
	s_cvt_f32_u32 s2, s83
	s_sub_nc_u64 s[88:89], 0, s[82:83]
	s_delay_alu instid0(VALU_DEP_2) | instskip(NEXT) | instid1(SALU_CYCLE_1)
	v_xor_b32_e32 v40, v32, v18
	s_fmamk_f32 s0, s2, 0x4f800000, s0
	v_xor_b32_e32 v44, v33, v18
	s_delay_alu instid0(SALU_CYCLE_2) | instskip(NEXT) | instid1(TRANS32_DEP_1)
	v_s_rcp_f32 s0, s0
	s_mul_f32 s0, s0, 0x5f7ffffc
	s_delay_alu instid0(SALU_CYCLE_3) | instskip(NEXT) | instid1(SALU_CYCLE_3)
	s_mul_f32 s2, s0, 0x2f800000
	s_trunc_f32 s2, s2
	s_delay_alu instid0(SALU_CYCLE_3) | instskip(SKIP_1) | instid1(SALU_CYCLE_2)
	s_fmamk_f32 s0, s2, 0xcf800000, s0
	s_cvt_u32_f32 s87, s2
	s_cvt_u32_f32 s86, s0
	s_delay_alu instid0(SALU_CYCLE_3) | instskip(NEXT) | instid1(SALU_CYCLE_1)
	s_mul_u64 s[90:91], s[88:89], s[86:87]
	s_mul_hi_u32 s93, s86, s91
	s_mul_i32 s92, s86, s91
	s_mul_hi_u32 s2, s86, s90
	s_mul_i32 s81, s87, s90
	s_add_nc_u64 s[92:93], s[2:3], s[92:93]
	s_mul_hi_u32 s0, s87, s90
	s_mul_hi_u32 s94, s87, s91
	s_add_co_u32 s2, s92, s81
	s_add_co_ci_u32 s2, s93, s0
	s_mul_i32 s90, s87, s91
	s_add_co_ci_u32 s91, s94, 0
	s_delay_alu instid0(SALU_CYCLE_1) | instskip(NEXT) | instid1(SALU_CYCLE_1)
	s_add_nc_u64 s[90:91], s[2:3], s[90:91]
	s_add_co_u32 s86, s86, s90
	s_cselect_b32 s0, -1, 0
	s_delay_alu instid0(SALU_CYCLE_1) | instskip(SKIP_1) | instid1(SALU_CYCLE_1)
	s_cmp_lg_u32 s0, 0
	s_add_co_ci_u32 s87, s87, s91
	s_mul_u64 s[88:89], s[88:89], s[86:87]
	s_delay_alu instid0(SALU_CYCLE_1)
	s_mul_hi_u32 s91, s86, s89
	s_mul_i32 s90, s86, s89
	s_mul_hi_u32 s2, s86, s88
	s_mul_i32 s81, s87, s88
	s_add_nc_u64 s[90:91], s[2:3], s[90:91]
	s_mul_hi_u32 s0, s87, s88
	s_mul_hi_u32 s92, s87, s89
	s_add_co_u32 s2, s90, s81
	s_add_co_ci_u32 s2, s91, s0
	s_mul_i32 s88, s87, s89
	s_add_co_ci_u32 s89, s92, 0
	s_delay_alu instid0(SALU_CYCLE_1) | instskip(NEXT) | instid1(SALU_CYCLE_1)
	s_add_nc_u64 s[88:89], s[2:3], s[88:89]
	s_add_co_u32 s0, s86, s88
	s_cselect_b32 s2, -1, 0
	v_nop
	v_mul_hi_u32 v48, v40, s0
	s_cmp_lg_u32 s2, 0
	s_add_co_ci_u32 s2, s87, s89
	s_and_b64 s[86:87], s[0:1], s[74:75]
	v_mul_u64_e32 v[42:43], s[2:3], v[40:41]
	v_mul_u64_e32 v[32:33], s[86:87], v[44:45]
	;; [unrolled: 1-line block ×3, first 2 shown]
	s_delay_alu instid0(VALU_DEP_3) | instskip(NEXT) | instid1(VALU_DEP_1)
	v_add_nc_u64_e32 v[42:43], v[48:49], v[42:43]
	v_add_co_u32 v3, vcc_lo, v42, v32
	s_delay_alu instid0(VALU_DEP_2) | instskip(NEXT) | instid1(VALU_DEP_4)
	v_add_co_ci_u32_e32 v48, vcc_lo, v43, v33, vcc_lo
	v_add_co_ci_u32_e32 v47, vcc_lo, 0, v47, vcc_lo
	s_delay_alu instid0(VALU_DEP_1) | instskip(NEXT) | instid1(VALU_DEP_1)
	v_add_nc_u64_e32 v[32:33], v[48:49], v[46:47]
	v_mul_u64_e32 v[42:43], s[82:83], v[32:33]
	s_delay_alu instid0(VALU_DEP_1) | instskip(NEXT) | instid1(VALU_DEP_2)
	v_sub_nc_u32_e32 v3, v44, v43
	v_sub_co_u32 v17, vcc_lo, v40, v42
	s_delay_alu instid0(VALU_DEP_1) | instskip(NEXT) | instid1(VALU_DEP_3)
	v_sub_co_ci_u32_e64 v21, null, v44, v43, vcc_lo
	v_subrev_co_ci_u32_e64 v3, null, s83, v3, vcc_lo
	s_delay_alu instid0(VALU_DEP_3) | instskip(SKIP_1) | instid1(VALU_DEP_3)
	v_sub_co_u32 v19, s0, v17, s82
	v_add_nc_u64_e32 v[40:41], 2, v[32:33]
	v_subrev_co_ci_u32_e64 v3, null, 0, v3, s0
	s_delay_alu instid0(VALU_DEP_3) | instskip(SKIP_2) | instid1(VALU_DEP_4)
	v_cmp_le_u32_e32 vcc_lo, s82, v19
	v_add_nc_u64_e32 v[42:43], 1, v[32:33]
	v_cndmask_b32_e64 v19, 0, -1, vcc_lo
	v_cmp_le_u32_e32 vcc_lo, s83, v3
	v_cndmask_b32_e64 v23, 0, -1, vcc_lo
	v_cmp_le_u32_e32 vcc_lo, s82, v17
	;; [unrolled: 2-line block ×3, first 2 shown]
	v_cndmask_b32_e64 v44, 0, -1, vcc_lo
	v_cmp_eq_u32_e32 vcc_lo, s83, v3
	v_cndmask_b32_e32 v3, v23, v19, vcc_lo
	v_cmp_eq_u32_e32 vcc_lo, s83, v21
	s_delay_alu instid0(VALU_DEP_4) | instskip(NEXT) | instid1(VALU_DEP_3)
	v_cndmask_b32_e32 v17, v44, v17, vcc_lo
	v_cmp_ne_u32_e32 vcc_lo, 0, v3
	s_delay_alu instid0(VALU_DEP_2) | instskip(SKIP_1) | instid1(VALU_DEP_1)
	v_cmp_ne_u32_e64 s0, 0, v17
	v_dual_cndmask_b32 v3, v43, v41, vcc_lo :: v_dual_cndmask_b32 v17, v42, v40, vcc_lo
	v_dual_cndmask_b32 v3, v33, v3, s0 :: v_dual_bitop2_b32 v40, s80, v18 bitop3:0x14
	s_delay_alu instid0(VALU_DEP_2) | instskip(NEXT) | instid1(VALU_DEP_2)
	v_cndmask_b32_e64 v17, v32, v17, s0
	v_dual_mov_b32 v41, v40 :: v_dual_bitop2_b32 v33, v3, v40 bitop3:0x14
	s_delay_alu instid0(VALU_DEP_2) | instskip(NEXT) | instid1(VALU_DEP_1)
	v_xor_b32_e32 v32, v17, v40
	v_sub_nc_u64_e32 v[32:33], v[32:33], v[40:41]
.LBB7_29:                               ;   in Loop: Header=BB7_3 Depth=1
	s_and_not1_saveexec_b32 s0, s85
	s_cbranch_execz .LBB7_31
; %bb.30:                               ;   in Loop: Header=BB7_3 Depth=1
	v_rcp_iflag_f32_e32 v3, v7
	s_sub_co_i32 s2, 0, s42
	v_mov_b32_e32 v33, v2
	s_delay_alu instid0(TRANS32_DEP_1) | instskip(NEXT) | instid1(VALU_DEP_1)
	v_mul_f32_e32 v3, 0x4f7ffffe, v3
	v_cvt_u32_f32_e32 v3, v3
	s_delay_alu instid0(VALU_DEP_1) | instskip(NEXT) | instid1(VALU_DEP_1)
	v_mul_lo_u32 v17, s2, v3
	v_mul_hi_u32 v17, v3, v17
	s_delay_alu instid0(VALU_DEP_1) | instskip(NEXT) | instid1(VALU_DEP_1)
	v_add_nc_u32_e32 v3, v3, v17
	v_mul_hi_u32 v3, v26, v3
	s_delay_alu instid0(VALU_DEP_1) | instskip(NEXT) | instid1(VALU_DEP_1)
	v_mul_lo_u32 v17, v3, s42
	v_sub_nc_u32_e32 v17, v26, v17
	s_delay_alu instid0(VALU_DEP_1) | instskip(SKIP_1) | instid1(VALU_DEP_2)
	v_subrev_nc_u32_e32 v21, s42, v17
	v_cmp_le_u32_e32 vcc_lo, s42, v17
	v_dual_add_nc_u32 v19, 1, v3 :: v_dual_cndmask_b32 v17, v17, v21, vcc_lo
	s_delay_alu instid0(VALU_DEP_1) | instskip(NEXT) | instid1(VALU_DEP_2)
	v_cndmask_b32_e32 v3, v3, v19, vcc_lo
	v_cmp_le_u32_e32 vcc_lo, s42, v17
	s_delay_alu instid0(VALU_DEP_2) | instskip(NEXT) | instid1(VALU_DEP_1)
	v_add_nc_u32_e32 v19, 1, v3
	v_cndmask_b32_e32 v32, v3, v19, vcc_lo
.LBB7_31:                               ;   in Loop: Header=BB7_3 Depth=1
	s_or_b32 exec_lo, exec_lo, s0
	s_delay_alu instid0(VALU_DEP_1) | instskip(SKIP_3) | instid1(VALU_DEP_3)
	v_mul_u64_e32 v[40:41], s[42:43], v[32:33]
	v_mul_u64_e32 v[32:33], s[12:13], v[32:33]
	v_or_b32_e32 v3, s43, v29
	s_mov_b32 s0, exec_lo
	v_sub_nc_u64_e32 v[40:41], v[8:9], v[40:41]
	s_delay_alu instid0(VALU_DEP_3) | instskip(NEXT) | instid1(VALU_DEP_2)
	v_lshl_add_u64 v[32:33], v[32:33], 2, s[38:39]
	v_add_nc_u64_e32 v[40:41], v[0:1], v[40:41]
	s_delay_alu instid0(VALU_DEP_1) | instskip(NEXT) | instid1(VALU_DEP_1)
	v_mul_u64_e32 v[40:41], s[14:15], v[40:41]
	v_lshl_add_u64 v[32:33], v[40:41], 2, v[32:33]
	global_load_b32 v40, v[32:33], off
                                        ; implicit-def: $vgpr32_vgpr33
	s_wait_xcnt 0x0
	v_cmpx_ne_u64_e32 0, v[2:3]
	s_xor_b32 s85, exec_lo, s0
	s_cbranch_execz .LBB7_33
; %bb.32:                               ;   in Loop: Header=BB7_3 Depth=1
	s_ashr_i32 s80, s43, 31
	v_dual_mov_b32 v21, v20 :: v_dual_mov_b32 v43, v2
	s_mov_b32 s81, s80
	v_mov_b32_e32 v47, v2
	s_add_nc_u64 s[82:83], s[42:43], s[80:81]
	s_delay_alu instid0(VALU_DEP_2)
	v_add_nc_u64_e32 v[32:33], v[28:29], v[20:21]
	s_xor_b64 s[82:83], s[82:83], s[80:81]
	v_mov_b32_e32 v51, v2
	s_cvt_f32_u32 s0, s82
	s_cvt_f32_u32 s2, s83
	s_sub_nc_u64 s[88:89], 0, s[82:83]
	s_delay_alu instid0(VALU_DEP_2) | instskip(NEXT) | instid1(SALU_CYCLE_1)
	v_xor_b32_e32 v42, v32, v20
	s_fmamk_f32 s0, s2, 0x4f800000, s0
	v_xor_b32_e32 v46, v33, v20
	s_delay_alu instid0(SALU_CYCLE_2) | instskip(NEXT) | instid1(TRANS32_DEP_1)
	v_s_rcp_f32 s0, s0
	s_mul_f32 s0, s0, 0x5f7ffffc
	s_delay_alu instid0(SALU_CYCLE_3) | instskip(NEXT) | instid1(SALU_CYCLE_3)
	s_mul_f32 s2, s0, 0x2f800000
	s_trunc_f32 s2, s2
	s_delay_alu instid0(SALU_CYCLE_3) | instskip(SKIP_1) | instid1(SALU_CYCLE_2)
	s_fmamk_f32 s0, s2, 0xcf800000, s0
	s_cvt_u32_f32 s87, s2
	s_cvt_u32_f32 s86, s0
	s_delay_alu instid0(SALU_CYCLE_3) | instskip(NEXT) | instid1(SALU_CYCLE_1)
	s_mul_u64 s[90:91], s[88:89], s[86:87]
	s_mul_hi_u32 s93, s86, s91
	s_mul_i32 s92, s86, s91
	s_mul_hi_u32 s2, s86, s90
	s_mul_i32 s81, s87, s90
	s_add_nc_u64 s[92:93], s[2:3], s[92:93]
	s_mul_hi_u32 s0, s87, s90
	s_mul_hi_u32 s94, s87, s91
	s_add_co_u32 s2, s92, s81
	s_add_co_ci_u32 s2, s93, s0
	s_mul_i32 s90, s87, s91
	s_add_co_ci_u32 s91, s94, 0
	s_delay_alu instid0(SALU_CYCLE_1) | instskip(NEXT) | instid1(SALU_CYCLE_1)
	s_add_nc_u64 s[90:91], s[2:3], s[90:91]
	s_add_co_u32 s86, s86, s90
	s_cselect_b32 s0, -1, 0
	s_delay_alu instid0(SALU_CYCLE_1) | instskip(SKIP_1) | instid1(SALU_CYCLE_1)
	s_cmp_lg_u32 s0, 0
	s_add_co_ci_u32 s87, s87, s91
	s_mul_u64 s[88:89], s[88:89], s[86:87]
	s_delay_alu instid0(SALU_CYCLE_1)
	s_mul_hi_u32 s91, s86, s89
	s_mul_i32 s90, s86, s89
	s_mul_hi_u32 s2, s86, s88
	s_mul_i32 s81, s87, s88
	s_add_nc_u64 s[90:91], s[2:3], s[90:91]
	s_mul_hi_u32 s0, s87, s88
	s_mul_hi_u32 s92, s87, s89
	s_add_co_u32 s2, s90, s81
	s_add_co_ci_u32 s2, s91, s0
	s_mul_i32 s88, s87, s89
	s_add_co_ci_u32 s89, s92, 0
	s_delay_alu instid0(SALU_CYCLE_1) | instskip(NEXT) | instid1(SALU_CYCLE_1)
	s_add_nc_u64 s[88:89], s[2:3], s[88:89]
	s_add_co_u32 s0, s86, s88
	s_cselect_b32 s2, -1, 0
	v_nop
	v_mul_hi_u32 v50, v42, s0
	s_cmp_lg_u32 s2, 0
	s_add_co_ci_u32 s2, s87, s89
	s_and_b64 s[86:87], s[0:1], s[74:75]
	v_mul_u64_e32 v[44:45], s[2:3], v[42:43]
	v_mul_u64_e32 v[32:33], s[86:87], v[46:47]
	;; [unrolled: 1-line block ×3, first 2 shown]
	s_delay_alu instid0(VALU_DEP_3) | instskip(NEXT) | instid1(VALU_DEP_1)
	v_add_nc_u64_e32 v[44:45], v[50:51], v[44:45]
	v_add_co_u32 v3, vcc_lo, v44, v32
	s_delay_alu instid0(VALU_DEP_2) | instskip(NEXT) | instid1(VALU_DEP_4)
	v_add_co_ci_u32_e32 v50, vcc_lo, v45, v33, vcc_lo
	v_add_co_ci_u32_e32 v49, vcc_lo, 0, v49, vcc_lo
	s_delay_alu instid0(VALU_DEP_1) | instskip(NEXT) | instid1(VALU_DEP_1)
	v_add_nc_u64_e32 v[32:33], v[50:51], v[48:49]
	v_mul_u64_e32 v[44:45], s[82:83], v[32:33]
	s_delay_alu instid0(VALU_DEP_1) | instskip(SKIP_1) | instid1(VALU_DEP_3)
	v_sub_co_u32 v17, vcc_lo, v42, v44
	v_add_nc_u64_e32 v[42:43], 2, v[32:33]
	v_sub_nc_u32_e32 v3, v46, v45
	v_sub_co_ci_u32_e64 v21, null, v46, v45, vcc_lo
	s_delay_alu instid0(VALU_DEP_4) | instskip(NEXT) | instid1(VALU_DEP_3)
	v_sub_co_u32 v19, s0, v17, s82
	v_subrev_co_ci_u32_e64 v3, null, s83, v3, vcc_lo
	v_add_nc_u64_e32 v[44:45], 1, v[32:33]
	s_delay_alu instid0(VALU_DEP_3) | instskip(NEXT) | instid1(VALU_DEP_3)
	v_cmp_le_u32_e32 vcc_lo, s82, v19
	v_subrev_co_ci_u32_e64 v3, null, 0, v3, s0
	v_cndmask_b32_e64 v19, 0, -1, vcc_lo
	s_delay_alu instid0(VALU_DEP_2)
	v_cmp_le_u32_e32 vcc_lo, s83, v3
	v_cndmask_b32_e64 v23, 0, -1, vcc_lo
	v_cmp_le_u32_e32 vcc_lo, s82, v17
	v_cndmask_b32_e64 v17, 0, -1, vcc_lo
	;; [unrolled: 2-line block ×3, first 2 shown]
	v_cmp_eq_u32_e32 vcc_lo, s83, v3
	v_cndmask_b32_e32 v3, v23, v19, vcc_lo
	v_cmp_eq_u32_e32 vcc_lo, s83, v21
	s_delay_alu instid0(VALU_DEP_4) | instskip(NEXT) | instid1(VALU_DEP_3)
	v_cndmask_b32_e32 v17, v41, v17, vcc_lo
	v_cmp_ne_u32_e32 vcc_lo, 0, v3
	s_delay_alu instid0(VALU_DEP_2) | instskip(SKIP_1) | instid1(VALU_DEP_1)
	v_cmp_ne_u32_e64 s0, 0, v17
	v_dual_cndmask_b32 v3, v45, v43, vcc_lo :: v_dual_cndmask_b32 v17, v44, v42, vcc_lo
	v_dual_cndmask_b32 v3, v33, v3, s0 :: v_dual_bitop2_b32 v42, s80, v20 bitop3:0x14
	s_delay_alu instid0(VALU_DEP_1) | instskip(NEXT) | instid1(VALU_DEP_2)
	v_dual_cndmask_b32 v17, v32, v17, s0 :: v_dual_mov_b32 v43, v42
	v_xor_b32_e32 v33, v3, v42
	s_delay_alu instid0(VALU_DEP_2) | instskip(NEXT) | instid1(VALU_DEP_1)
	v_xor_b32_e32 v32, v17, v42
	v_sub_nc_u64_e32 v[32:33], v[32:33], v[42:43]
.LBB7_33:                               ;   in Loop: Header=BB7_3 Depth=1
	s_and_not1_saveexec_b32 s0, s85
	s_cbranch_execz .LBB7_35
; %bb.34:                               ;   in Loop: Header=BB7_3 Depth=1
	v_rcp_iflag_f32_e32 v3, v7
	s_sub_co_i32 s2, 0, s42
	v_mov_b32_e32 v33, v2
	s_delay_alu instid0(TRANS32_DEP_1) | instskip(NEXT) | instid1(VALU_DEP_1)
	v_mul_f32_e32 v3, 0x4f7ffffe, v3
	v_cvt_u32_f32_e32 v3, v3
	s_delay_alu instid0(VALU_DEP_1) | instskip(NEXT) | instid1(VALU_DEP_1)
	v_mul_lo_u32 v17, s2, v3
	v_mul_hi_u32 v17, v3, v17
	s_delay_alu instid0(VALU_DEP_1) | instskip(NEXT) | instid1(VALU_DEP_1)
	v_add_nc_u32_e32 v3, v3, v17
	v_mul_hi_u32 v3, v28, v3
	s_delay_alu instid0(VALU_DEP_1) | instskip(NEXT) | instid1(VALU_DEP_1)
	v_mul_lo_u32 v17, v3, s42
	v_sub_nc_u32_e32 v17, v28, v17
	s_delay_alu instid0(VALU_DEP_1) | instskip(SKIP_1) | instid1(VALU_DEP_2)
	v_subrev_nc_u32_e32 v21, s42, v17
	v_cmp_le_u32_e32 vcc_lo, s42, v17
	v_dual_add_nc_u32 v19, 1, v3 :: v_dual_cndmask_b32 v17, v17, v21, vcc_lo
	s_delay_alu instid0(VALU_DEP_1) | instskip(NEXT) | instid1(VALU_DEP_2)
	v_cndmask_b32_e32 v3, v3, v19, vcc_lo
	v_cmp_le_u32_e32 vcc_lo, s42, v17
	s_delay_alu instid0(VALU_DEP_2) | instskip(NEXT) | instid1(VALU_DEP_1)
	v_add_nc_u32_e32 v19, 1, v3
	v_cndmask_b32_e32 v32, v3, v19, vcc_lo
.LBB7_35:                               ;   in Loop: Header=BB7_3 Depth=1
	s_or_b32 exec_lo, exec_lo, s0
	s_delay_alu instid0(VALU_DEP_1) | instskip(SKIP_3) | instid1(VALU_DEP_3)
	v_mul_u64_e32 v[42:43], s[42:43], v[32:33]
	v_mul_u64_e32 v[32:33], s[12:13], v[32:33]
	v_or_b32_e32 v3, s43, v31
	s_mov_b32 s0, exec_lo
	v_sub_nc_u64_e32 v[42:43], v[12:13], v[42:43]
	s_delay_alu instid0(VALU_DEP_3) | instskip(NEXT) | instid1(VALU_DEP_2)
	v_lshl_add_u64 v[32:33], v[32:33], 2, s[38:39]
	v_add_nc_u64_e32 v[42:43], v[0:1], v[42:43]
	s_delay_alu instid0(VALU_DEP_1) | instskip(NEXT) | instid1(VALU_DEP_1)
	v_mul_u64_e32 v[42:43], s[14:15], v[42:43]
	v_lshl_add_u64 v[32:33], v[42:43], 2, v[32:33]
	global_load_b32 v41, v[32:33], off
                                        ; implicit-def: $vgpr32_vgpr33
	s_wait_xcnt 0x0
	v_cmpx_ne_u64_e32 0, v[2:3]
	s_xor_b32 s85, exec_lo, s0
	s_cbranch_execz .LBB7_37
; %bb.36:                               ;   in Loop: Header=BB7_3 Depth=1
	s_ashr_i32 s80, s43, 31
	v_dual_mov_b32 v23, v22 :: v_dual_mov_b32 v43, v2
	s_mov_b32 s81, s80
	v_mov_b32_e32 v47, v2
	s_add_nc_u64 s[82:83], s[42:43], s[80:81]
	s_delay_alu instid0(VALU_DEP_2)
	v_add_nc_u64_e32 v[32:33], v[30:31], v[22:23]
	s_xor_b64 s[82:83], s[82:83], s[80:81]
	v_mov_b32_e32 v51, v2
	s_cvt_f32_u32 s0, s82
	s_cvt_f32_u32 s2, s83
	s_sub_nc_u64 s[88:89], 0, s[82:83]
	s_delay_alu instid0(VALU_DEP_2) | instskip(NEXT) | instid1(SALU_CYCLE_1)
	v_xor_b32_e32 v42, v32, v22
	s_fmamk_f32 s0, s2, 0x4f800000, s0
	v_xor_b32_e32 v46, v33, v22
	s_delay_alu instid0(SALU_CYCLE_2) | instskip(NEXT) | instid1(TRANS32_DEP_1)
	v_s_rcp_f32 s0, s0
	s_mul_f32 s0, s0, 0x5f7ffffc
	s_delay_alu instid0(SALU_CYCLE_3) | instskip(NEXT) | instid1(SALU_CYCLE_3)
	s_mul_f32 s2, s0, 0x2f800000
	s_trunc_f32 s2, s2
	s_delay_alu instid0(SALU_CYCLE_3) | instskip(SKIP_1) | instid1(SALU_CYCLE_2)
	s_fmamk_f32 s0, s2, 0xcf800000, s0
	s_cvt_u32_f32 s87, s2
	s_cvt_u32_f32 s86, s0
	s_delay_alu instid0(SALU_CYCLE_3) | instskip(NEXT) | instid1(SALU_CYCLE_1)
	s_mul_u64 s[90:91], s[88:89], s[86:87]
	s_mul_hi_u32 s93, s86, s91
	s_mul_i32 s92, s86, s91
	s_mul_hi_u32 s2, s86, s90
	s_mul_i32 s81, s87, s90
	s_add_nc_u64 s[92:93], s[2:3], s[92:93]
	s_mul_hi_u32 s0, s87, s90
	s_mul_hi_u32 s94, s87, s91
	s_add_co_u32 s2, s92, s81
	s_add_co_ci_u32 s2, s93, s0
	s_mul_i32 s90, s87, s91
	s_add_co_ci_u32 s91, s94, 0
	s_delay_alu instid0(SALU_CYCLE_1) | instskip(NEXT) | instid1(SALU_CYCLE_1)
	s_add_nc_u64 s[90:91], s[2:3], s[90:91]
	s_add_co_u32 s86, s86, s90
	s_cselect_b32 s0, -1, 0
	s_delay_alu instid0(SALU_CYCLE_1) | instskip(SKIP_1) | instid1(SALU_CYCLE_1)
	s_cmp_lg_u32 s0, 0
	s_add_co_ci_u32 s87, s87, s91
	s_mul_u64 s[88:89], s[88:89], s[86:87]
	s_delay_alu instid0(SALU_CYCLE_1)
	s_mul_hi_u32 s91, s86, s89
	s_mul_i32 s90, s86, s89
	s_mul_hi_u32 s2, s86, s88
	s_mul_i32 s81, s87, s88
	s_add_nc_u64 s[90:91], s[2:3], s[90:91]
	s_mul_hi_u32 s0, s87, s88
	s_mul_hi_u32 s92, s87, s89
	s_add_co_u32 s2, s90, s81
	s_add_co_ci_u32 s2, s91, s0
	s_mul_i32 s88, s87, s89
	s_add_co_ci_u32 s89, s92, 0
	s_delay_alu instid0(SALU_CYCLE_1) | instskip(NEXT) | instid1(SALU_CYCLE_1)
	s_add_nc_u64 s[88:89], s[2:3], s[88:89]
	s_add_co_u32 s0, s86, s88
	s_cselect_b32 s2, -1, 0
	v_nop
	v_mul_hi_u32 v50, v42, s0
	s_cmp_lg_u32 s2, 0
	s_add_co_ci_u32 s2, s87, s89
	s_and_b64 s[86:87], s[0:1], s[74:75]
	v_mul_u64_e32 v[44:45], s[2:3], v[42:43]
	v_mul_u64_e32 v[32:33], s[86:87], v[46:47]
	;; [unrolled: 1-line block ×3, first 2 shown]
	s_delay_alu instid0(VALU_DEP_3) | instskip(NEXT) | instid1(VALU_DEP_1)
	v_add_nc_u64_e32 v[44:45], v[50:51], v[44:45]
	v_add_co_u32 v3, vcc_lo, v44, v32
	s_delay_alu instid0(VALU_DEP_2) | instskip(NEXT) | instid1(VALU_DEP_4)
	v_add_co_ci_u32_e32 v50, vcc_lo, v45, v33, vcc_lo
	v_add_co_ci_u32_e32 v49, vcc_lo, 0, v49, vcc_lo
	s_delay_alu instid0(VALU_DEP_1) | instskip(NEXT) | instid1(VALU_DEP_1)
	v_add_nc_u64_e32 v[32:33], v[50:51], v[48:49]
	v_mul_u64_e32 v[44:45], s[82:83], v[32:33]
	s_delay_alu instid0(VALU_DEP_1) | instskip(NEXT) | instid1(VALU_DEP_2)
	v_sub_nc_u32_e32 v3, v46, v45
	v_sub_co_u32 v7, vcc_lo, v42, v44
	s_delay_alu instid0(VALU_DEP_1) | instskip(NEXT) | instid1(VALU_DEP_3)
	v_sub_co_ci_u32_e64 v19, null, v46, v45, vcc_lo
	v_subrev_co_ci_u32_e64 v3, null, s83, v3, vcc_lo
	s_delay_alu instid0(VALU_DEP_3) | instskip(SKIP_1) | instid1(VALU_DEP_3)
	v_sub_co_u32 v17, s0, v7, s82
	v_add_nc_u64_e32 v[42:43], 2, v[32:33]
	v_subrev_co_ci_u32_e64 v3, null, 0, v3, s0
	s_delay_alu instid0(VALU_DEP_3) | instskip(SKIP_2) | instid1(VALU_DEP_4)
	v_cmp_le_u32_e32 vcc_lo, s82, v17
	v_add_nc_u64_e32 v[44:45], 1, v[32:33]
	v_cndmask_b32_e64 v17, 0, -1, vcc_lo
	v_cmp_le_u32_e32 vcc_lo, s83, v3
	v_cndmask_b32_e64 v21, 0, -1, vcc_lo
	v_cmp_le_u32_e32 vcc_lo, s82, v7
	;; [unrolled: 2-line block ×3, first 2 shown]
	v_cndmask_b32_e64 v23, 0, -1, vcc_lo
	v_cmp_eq_u32_e32 vcc_lo, s83, v3
	v_cndmask_b32_e32 v3, v21, v17, vcc_lo
	v_cmp_eq_u32_e32 vcc_lo, s83, v19
	s_delay_alu instid0(VALU_DEP_4) | instskip(NEXT) | instid1(VALU_DEP_3)
	v_cndmask_b32_e32 v7, v23, v7, vcc_lo
	v_cmp_ne_u32_e32 vcc_lo, 0, v3
	s_delay_alu instid0(VALU_DEP_2) | instskip(SKIP_1) | instid1(VALU_DEP_1)
	v_cmp_ne_u32_e64 s0, 0, v7
	v_dual_cndmask_b32 v3, v45, v43, vcc_lo :: v_dual_cndmask_b32 v7, v44, v42, vcc_lo
	v_dual_cndmask_b32 v3, v33, v3, s0 :: v_dual_bitop2_b32 v42, s80, v22 bitop3:0x14
	s_delay_alu instid0(VALU_DEP_1) | instskip(NEXT) | instid1(VALU_DEP_2)
	v_dual_mov_b32 v43, v42 :: v_dual_cndmask_b32 v7, v32, v7, s0
	v_xor_b32_e32 v33, v3, v42
	s_delay_alu instid0(VALU_DEP_2) | instskip(NEXT) | instid1(VALU_DEP_1)
	v_xor_b32_e32 v32, v7, v42
                                        ; implicit-def: $vgpr7
	v_sub_nc_u64_e32 v[32:33], v[32:33], v[42:43]
.LBB7_37:                               ;   in Loop: Header=BB7_3 Depth=1
	s_and_not1_saveexec_b32 s0, s85
	s_cbranch_execz .LBB7_39
; %bb.38:                               ;   in Loop: Header=BB7_3 Depth=1
	v_rcp_iflag_f32_e32 v3, v7
	s_sub_co_i32 s2, 0, s42
	v_mov_b32_e32 v33, v2
	s_delay_alu instid0(TRANS32_DEP_1) | instskip(NEXT) | instid1(VALU_DEP_1)
	v_mul_f32_e32 v3, 0x4f7ffffe, v3
	v_cvt_u32_f32_e32 v3, v3
	s_delay_alu instid0(VALU_DEP_1) | instskip(NEXT) | instid1(VALU_DEP_1)
	v_mul_lo_u32 v7, s2, v3
	v_mul_hi_u32 v7, v3, v7
	s_delay_alu instid0(VALU_DEP_1) | instskip(NEXT) | instid1(VALU_DEP_1)
	v_add_nc_u32_e32 v3, v3, v7
	v_mul_hi_u32 v3, v30, v3
	s_delay_alu instid0(VALU_DEP_1) | instskip(SKIP_1) | instid1(VALU_DEP_2)
	v_mul_lo_u32 v7, v3, s42
	v_add_nc_u32_e32 v17, 1, v3
	v_sub_nc_u32_e32 v7, v30, v7
	s_delay_alu instid0(VALU_DEP_1) | instskip(SKIP_1) | instid1(VALU_DEP_2)
	v_subrev_nc_u32_e32 v19, s42, v7
	v_cmp_le_u32_e32 vcc_lo, s42, v7
	v_cndmask_b32_e32 v7, v7, v19, vcc_lo
	v_cndmask_b32_e32 v3, v3, v17, vcc_lo
	s_delay_alu instid0(VALU_DEP_2) | instskip(NEXT) | instid1(VALU_DEP_2)
	v_cmp_le_u32_e32 vcc_lo, s42, v7
	v_add_nc_u32_e32 v17, 1, v3
	s_delay_alu instid0(VALU_DEP_1)
	v_cndmask_b32_e32 v32, v3, v17, vcc_lo
.LBB7_39:                               ;   in Loop: Header=BB7_3 Depth=1
	s_or_b32 exec_lo, exec_lo, s0
	s_delay_alu instid0(VALU_DEP_1) | instskip(SKIP_3) | instid1(VALU_DEP_3)
	v_mul_u64_e32 v[42:43], s[42:43], v[32:33]
	v_mul_u64_e32 v[32:33], s[12:13], v[32:33]
	v_or_b32_e32 v3, s65, v25
	s_mov_b32 s0, exec_lo
	v_sub_nc_u64_e32 v[42:43], v[14:15], v[42:43]
	s_delay_alu instid0(VALU_DEP_3) | instskip(NEXT) | instid1(VALU_DEP_2)
	v_lshl_add_u64 v[32:33], v[32:33], 2, s[38:39]
	v_add_nc_u64_e32 v[42:43], v[0:1], v[42:43]
	s_delay_alu instid0(VALU_DEP_1) | instskip(NEXT) | instid1(VALU_DEP_1)
	v_mul_u64_e32 v[42:43], s[14:15], v[42:43]
	v_lshl_add_u64 v[32:33], v[42:43], 2, v[32:33]
	global_load_b32 v42, v[32:33], off
                                        ; implicit-def: $vgpr32_vgpr33
	s_wait_xcnt 0x0
	v_cmpx_ne_u64_e32 0, v[2:3]
	s_xor_b32 s85, exec_lo, s0
	s_cbranch_execz .LBB7_41
; %bb.40:                               ;   in Loop: Header=BB7_3 Depth=1
	s_ashr_i32 s80, s65, 31
	v_dual_mov_b32 v17, v16 :: v_dual_mov_b32 v33, v2
	s_mov_b32 s81, s80
	v_mov_b32_e32 v47, v2
	s_add_nc_u64 s[82:83], s[64:65], s[80:81]
	s_delay_alu instid0(VALU_DEP_2)
	v_add_nc_u64_e32 v[24:25], v[24:25], v[16:17]
	s_xor_b64 s[82:83], s[82:83], s[80:81]
	v_mov_b32_e32 v51, v2
	s_cvt_f32_u32 s0, s82
	s_cvt_f32_u32 s2, s83
	s_sub_nc_u64 s[88:89], 0, s[82:83]
	s_delay_alu instid0(VALU_DEP_2) | instskip(NEXT) | instid1(SALU_CYCLE_1)
	v_xor_b32_e32 v32, v24, v16
	s_fmamk_f32 s0, s2, 0x4f800000, s0
	v_xor_b32_e32 v46, v25, v16
	v_xor_b32_e32 v16, s80, v16
	s_delay_alu instid0(SALU_CYCLE_1) | instskip(NEXT) | instid1(TRANS32_DEP_1)
	v_s_rcp_f32 s0, s0
	s_mul_f32 s0, s0, 0x5f7ffffc
	s_delay_alu instid0(SALU_CYCLE_3) | instskip(NEXT) | instid1(SALU_CYCLE_3)
	s_mul_f32 s2, s0, 0x2f800000
	s_trunc_f32 s2, s2
	s_delay_alu instid0(SALU_CYCLE_3) | instskip(SKIP_1) | instid1(SALU_CYCLE_2)
	s_fmamk_f32 s0, s2, 0xcf800000, s0
	s_cvt_u32_f32 s87, s2
	s_cvt_u32_f32 s86, s0
	s_delay_alu instid0(SALU_CYCLE_3) | instskip(NEXT) | instid1(SALU_CYCLE_1)
	s_mul_u64 s[90:91], s[88:89], s[86:87]
	s_mul_hi_u32 s93, s86, s91
	s_mul_i32 s92, s86, s91
	s_mul_hi_u32 s2, s86, s90
	s_mul_i32 s81, s87, s90
	s_add_nc_u64 s[92:93], s[2:3], s[92:93]
	s_mul_hi_u32 s0, s87, s90
	s_mul_hi_u32 s94, s87, s91
	s_add_co_u32 s2, s92, s81
	s_add_co_ci_u32 s2, s93, s0
	s_mul_i32 s90, s87, s91
	s_add_co_ci_u32 s91, s94, 0
	s_delay_alu instid0(SALU_CYCLE_1) | instskip(NEXT) | instid1(SALU_CYCLE_1)
	s_add_nc_u64 s[90:91], s[2:3], s[90:91]
	s_add_co_u32 s86, s86, s90
	s_cselect_b32 s0, -1, 0
	s_delay_alu instid0(SALU_CYCLE_1) | instskip(SKIP_1) | instid1(SALU_CYCLE_1)
	s_cmp_lg_u32 s0, 0
	s_add_co_ci_u32 s87, s87, s91
	s_mul_u64 s[88:89], s[88:89], s[86:87]
	s_delay_alu instid0(SALU_CYCLE_1)
	s_mul_hi_u32 s91, s86, s89
	s_mul_i32 s90, s86, s89
	s_mul_hi_u32 s2, s86, s88
	s_mul_i32 s81, s87, s88
	s_add_nc_u64 s[90:91], s[2:3], s[90:91]
	s_mul_hi_u32 s0, s87, s88
	s_mul_hi_u32 s92, s87, s89
	s_add_co_u32 s2, s90, s81
	s_add_co_ci_u32 s2, s91, s0
	s_mul_i32 s88, s87, s89
	s_add_co_ci_u32 s89, s92, 0
	s_delay_alu instid0(SALU_CYCLE_1) | instskip(NEXT) | instid1(SALU_CYCLE_1)
	s_add_nc_u64 s[88:89], s[2:3], s[88:89]
	s_add_co_u32 s0, s86, s88
	s_cselect_b32 s2, -1, 0
	v_nop
	v_mul_hi_u32 v50, v32, s0
	s_cmp_lg_u32 s2, 0
	s_add_co_ci_u32 s2, s87, s89
	s_and_b64 s[86:87], s[0:1], s[74:75]
	v_mul_u64_e32 v[44:45], s[2:3], v[32:33]
	v_mul_u64_e32 v[24:25], s[86:87], v[46:47]
	;; [unrolled: 1-line block ×3, first 2 shown]
	s_delay_alu instid0(VALU_DEP_3) | instskip(NEXT) | instid1(VALU_DEP_1)
	v_add_nc_u64_e32 v[44:45], v[50:51], v[44:45]
	v_add_co_u32 v3, vcc_lo, v44, v24
	s_delay_alu instid0(VALU_DEP_2) | instskip(NEXT) | instid1(VALU_DEP_4)
	v_add_co_ci_u32_e32 v50, vcc_lo, v45, v25, vcc_lo
	v_add_co_ci_u32_e32 v49, vcc_lo, 0, v49, vcc_lo
	s_delay_alu instid0(VALU_DEP_1) | instskip(NEXT) | instid1(VALU_DEP_1)
	v_add_nc_u64_e32 v[24:25], v[50:51], v[48:49]
	v_mul_u64_e32 v[44:45], s[82:83], v[24:25]
	s_delay_alu instid0(VALU_DEP_1) | instskip(NEXT) | instid1(VALU_DEP_2)
	v_sub_nc_u32_e32 v3, v46, v45
	v_sub_co_u32 v7, vcc_lo, v32, v44
	s_delay_alu instid0(VALU_DEP_1) | instskip(NEXT) | instid1(VALU_DEP_3)
	v_sub_co_ci_u32_e64 v19, null, v46, v45, vcc_lo
	v_subrev_co_ci_u32_e64 v3, null, s83, v3, vcc_lo
	s_delay_alu instid0(VALU_DEP_3) | instskip(SKIP_1) | instid1(VALU_DEP_3)
	v_sub_co_u32 v17, s0, v7, s82
	v_add_nc_u64_e32 v[32:33], 2, v[24:25]
	v_subrev_co_ci_u32_e64 v3, null, 0, v3, s0
	s_delay_alu instid0(VALU_DEP_3) | instskip(SKIP_2) | instid1(VALU_DEP_4)
	v_cmp_le_u32_e32 vcc_lo, s82, v17
	v_add_nc_u64_e32 v[44:45], 1, v[24:25]
	v_cndmask_b32_e64 v17, 0, -1, vcc_lo
	v_cmp_le_u32_e32 vcc_lo, s83, v3
	v_cndmask_b32_e64 v21, 0, -1, vcc_lo
	v_cmp_le_u32_e32 vcc_lo, s82, v7
	;; [unrolled: 2-line block ×3, first 2 shown]
	v_cndmask_b32_e64 v23, 0, -1, vcc_lo
	v_cmp_eq_u32_e32 vcc_lo, s83, v3
	v_cndmask_b32_e32 v3, v21, v17, vcc_lo
	v_cmp_eq_u32_e32 vcc_lo, s83, v19
	s_delay_alu instid0(VALU_DEP_4) | instskip(NEXT) | instid1(VALU_DEP_3)
	v_dual_mov_b32 v17, v16 :: v_dual_cndmask_b32 v7, v23, v7, vcc_lo
	v_cmp_ne_u32_e32 vcc_lo, 0, v3
	s_delay_alu instid0(VALU_DEP_2) | instskip(SKIP_1) | instid1(VALU_DEP_1)
	v_cmp_ne_u32_e64 s0, 0, v7
	v_dual_cndmask_b32 v3, v45, v33, vcc_lo :: v_dual_cndmask_b32 v7, v44, v32, vcc_lo
	v_cndmask_b32_e64 v3, v25, v3, s0
	s_delay_alu instid0(VALU_DEP_1) | instskip(NEXT) | instid1(VALU_DEP_1)
	v_dual_cndmask_b32 v7, v24, v7, s0 :: v_dual_bitop2_b32 v25, v3, v16 bitop3:0x14
	v_xor_b32_e32 v24, v7, v16
	s_delay_alu instid0(VALU_DEP_1)
	v_sub_nc_u64_e32 v[32:33], v[24:25], v[16:17]
                                        ; implicit-def: $vgpr24_vgpr25
.LBB7_41:                               ;   in Loop: Header=BB7_3 Depth=1
	s_or_saveexec_b32 s0, s85
	v_cvt_f32_u32_e32 v7, s64
	s_xor_b32 exec_lo, exec_lo, s0
	s_cbranch_execz .LBB7_43
; %bb.42:                               ;   in Loop: Header=BB7_3 Depth=1
	s_delay_alu instid0(VALU_DEP_1) | instskip(SKIP_2) | instid1(TRANS32_DEP_1)
	v_rcp_iflag_f32_e32 v3, v7
	s_sub_co_i32 s2, 0, s64
	v_mov_b32_e32 v33, v2
	v_mul_f32_e32 v3, 0x4f7ffffe, v3
	s_delay_alu instid0(VALU_DEP_1) | instskip(NEXT) | instid1(VALU_DEP_1)
	v_cvt_u32_f32_e32 v3, v3
	v_mul_lo_u32 v16, s2, v3
	s_delay_alu instid0(VALU_DEP_1) | instskip(NEXT) | instid1(VALU_DEP_1)
	v_mul_hi_u32 v16, v3, v16
	v_add_nc_u32_e32 v3, v3, v16
	s_delay_alu instid0(VALU_DEP_1) | instskip(NEXT) | instid1(VALU_DEP_1)
	v_mul_hi_u32 v3, v24, v3
	v_mul_lo_u32 v16, v3, s64
	s_delay_alu instid0(VALU_DEP_1) | instskip(NEXT) | instid1(VALU_DEP_1)
	v_dual_add_nc_u32 v17, 1, v3 :: v_dual_sub_nc_u32 v16, v24, v16
	v_subrev_nc_u32_e32 v19, s64, v16
	v_cmp_le_u32_e32 vcc_lo, s64, v16
	s_delay_alu instid0(VALU_DEP_2) | instskip(NEXT) | instid1(VALU_DEP_1)
	v_dual_cndmask_b32 v16, v16, v19 :: v_dual_cndmask_b32 v3, v3, v17
	v_cmp_le_u32_e32 vcc_lo, s64, v16
	s_delay_alu instid0(VALU_DEP_2) | instskip(NEXT) | instid1(VALU_DEP_1)
	v_add_nc_u32_e32 v17, 1, v3
	v_cndmask_b32_e32 v32, v3, v17, vcc_lo
.LBB7_43:                               ;   in Loop: Header=BB7_3 Depth=1
	s_or_b32 exec_lo, exec_lo, s0
	v_or_b32_e32 v3, s65, v27
                                        ; implicit-def: $vgpr16_vgpr17
	s_mov_b32 s0, exec_lo
	s_delay_alu instid0(VALU_DEP_1)
	v_cmpx_ne_u64_e32 0, v[2:3]
	s_xor_b32 s85, exec_lo, s0
	s_cbranch_execz .LBB7_45
; %bb.44:                               ;   in Loop: Header=BB7_3 Depth=1
	s_ashr_i32 s80, s65, 31
	v_dual_mov_b32 v19, v18 :: v_dual_mov_b32 v25, v2
	s_mov_b32 s81, s80
	v_mov_b32_e32 v45, v2
	s_add_nc_u64 s[82:83], s[64:65], s[80:81]
	s_delay_alu instid0(VALU_DEP_2)
	v_add_nc_u64_e32 v[16:17], v[26:27], v[18:19]
	s_xor_b64 s[82:83], s[82:83], s[80:81]
	v_mov_b32_e32 v49, v2
	s_cvt_f32_u32 s0, s82
	s_cvt_f32_u32 s2, s83
	s_sub_nc_u64 s[88:89], 0, s[82:83]
	s_delay_alu instid0(VALU_DEP_2) | instskip(NEXT) | instid1(SALU_CYCLE_1)
	v_xor_b32_e32 v24, v16, v18
	s_fmamk_f32 s0, s2, 0x4f800000, s0
	v_xor_b32_e32 v44, v17, v18
	v_xor_b32_e32 v18, s80, v18
	s_delay_alu instid0(SALU_CYCLE_1) | instskip(NEXT) | instid1(TRANS32_DEP_1)
	v_s_rcp_f32 s0, s0
	s_mul_f32 s0, s0, 0x5f7ffffc
	s_delay_alu instid0(SALU_CYCLE_3) | instskip(NEXT) | instid1(SALU_CYCLE_3)
	s_mul_f32 s2, s0, 0x2f800000
	s_trunc_f32 s2, s2
	s_delay_alu instid0(SALU_CYCLE_3) | instskip(SKIP_1) | instid1(SALU_CYCLE_2)
	s_fmamk_f32 s0, s2, 0xcf800000, s0
	s_cvt_u32_f32 s87, s2
	s_cvt_u32_f32 s86, s0
	s_delay_alu instid0(SALU_CYCLE_3) | instskip(NEXT) | instid1(SALU_CYCLE_1)
	s_mul_u64 s[90:91], s[88:89], s[86:87]
	s_mul_hi_u32 s93, s86, s91
	s_mul_i32 s92, s86, s91
	s_mul_hi_u32 s2, s86, s90
	s_mul_i32 s81, s87, s90
	s_add_nc_u64 s[92:93], s[2:3], s[92:93]
	s_mul_hi_u32 s0, s87, s90
	s_mul_hi_u32 s94, s87, s91
	s_add_co_u32 s2, s92, s81
	s_add_co_ci_u32 s2, s93, s0
	s_mul_i32 s90, s87, s91
	s_add_co_ci_u32 s91, s94, 0
	s_delay_alu instid0(SALU_CYCLE_1) | instskip(NEXT) | instid1(SALU_CYCLE_1)
	s_add_nc_u64 s[90:91], s[2:3], s[90:91]
	s_add_co_u32 s86, s86, s90
	s_cselect_b32 s0, -1, 0
	s_delay_alu instid0(SALU_CYCLE_1) | instskip(SKIP_1) | instid1(SALU_CYCLE_1)
	s_cmp_lg_u32 s0, 0
	s_add_co_ci_u32 s87, s87, s91
	s_mul_u64 s[88:89], s[88:89], s[86:87]
	s_delay_alu instid0(SALU_CYCLE_1)
	s_mul_hi_u32 s91, s86, s89
	s_mul_i32 s90, s86, s89
	s_mul_hi_u32 s2, s86, s88
	s_mul_i32 s81, s87, s88
	s_add_nc_u64 s[90:91], s[2:3], s[90:91]
	s_mul_hi_u32 s0, s87, s88
	s_mul_hi_u32 s92, s87, s89
	s_add_co_u32 s2, s90, s81
	s_add_co_ci_u32 s2, s91, s0
	s_mul_i32 s88, s87, s89
	s_add_co_ci_u32 s89, s92, 0
	s_delay_alu instid0(SALU_CYCLE_1) | instskip(NEXT) | instid1(SALU_CYCLE_1)
	s_add_nc_u64 s[88:89], s[2:3], s[88:89]
	s_add_co_u32 s0, s86, s88
	s_cselect_b32 s2, -1, 0
	v_nop
	v_mul_hi_u32 v48, v24, s0
	s_cmp_lg_u32 s2, 0
	s_add_co_ci_u32 s2, s87, s89
	s_and_b64 s[86:87], s[0:1], s[74:75]
	v_mul_u64_e32 v[26:27], s[2:3], v[24:25]
	v_mul_u64_e32 v[16:17], s[86:87], v[44:45]
	;; [unrolled: 1-line block ×3, first 2 shown]
	s_delay_alu instid0(VALU_DEP_3) | instskip(NEXT) | instid1(VALU_DEP_1)
	v_add_nc_u64_e32 v[26:27], v[48:49], v[26:27]
	v_add_co_u32 v3, vcc_lo, v26, v16
	s_delay_alu instid0(VALU_DEP_2) | instskip(NEXT) | instid1(VALU_DEP_4)
	v_add_co_ci_u32_e32 v48, vcc_lo, v27, v17, vcc_lo
	v_add_co_ci_u32_e32 v47, vcc_lo, 0, v47, vcc_lo
	s_delay_alu instid0(VALU_DEP_1) | instskip(NEXT) | instid1(VALU_DEP_1)
	v_add_nc_u64_e32 v[16:17], v[48:49], v[46:47]
	v_mul_u64_e32 v[26:27], s[82:83], v[16:17]
	s_delay_alu instid0(VALU_DEP_1) | instskip(NEXT) | instid1(VALU_DEP_2)
	v_sub_nc_u32_e32 v3, v44, v27
	v_sub_co_u32 v19, vcc_lo, v24, v26
	s_delay_alu instid0(VALU_DEP_1) | instskip(NEXT) | instid1(VALU_DEP_3)
	v_sub_co_ci_u32_e64 v23, null, v44, v27, vcc_lo
	v_subrev_co_ci_u32_e64 v3, null, s83, v3, vcc_lo
	s_delay_alu instid0(VALU_DEP_3) | instskip(SKIP_1) | instid1(VALU_DEP_3)
	v_sub_co_u32 v21, s0, v19, s82
	v_add_nc_u64_e32 v[26:27], 1, v[16:17]
	v_subrev_co_ci_u32_e64 v3, null, 0, v3, s0
	s_delay_alu instid0(VALU_DEP_3) | instskip(SKIP_1) | instid1(VALU_DEP_3)
	v_cmp_le_u32_e32 vcc_lo, s82, v21
	v_cndmask_b32_e64 v21, 0, -1, vcc_lo
	v_cmp_le_u32_e32 vcc_lo, s83, v3
	v_cndmask_b32_e64 v24, 0, -1, vcc_lo
	;; [unrolled: 2-line block ×4, first 2 shown]
	v_cmp_eq_u32_e32 vcc_lo, s83, v3
	v_cndmask_b32_e32 v3, v24, v21, vcc_lo
	v_cmp_eq_u32_e32 vcc_lo, s83, v23
	v_add_nc_u64_e32 v[24:25], 2, v[16:17]
	v_cndmask_b32_e32 v19, v43, v19, vcc_lo
	s_delay_alu instid0(VALU_DEP_4) | instskip(NEXT) | instid1(VALU_DEP_2)
	v_cmp_ne_u32_e32 vcc_lo, 0, v3
	v_cmp_ne_u32_e64 s0, 0, v19
	s_delay_alu instid0(VALU_DEP_4) | instskip(NEXT) | instid1(VALU_DEP_1)
	v_dual_cndmask_b32 v3, v27, v25, vcc_lo :: v_dual_cndmask_b32 v19, v26, v24, vcc_lo
                                        ; implicit-def: $vgpr26_vgpr27
	v_cndmask_b32_e64 v3, v17, v3, s0
	s_delay_alu instid0(VALU_DEP_2) | instskip(NEXT) | instid1(VALU_DEP_2)
	v_dual_cndmask_b32 v16, v16, v19, s0 :: v_dual_mov_b32 v19, v18
	v_xor_b32_e32 v17, v3, v18
	s_delay_alu instid0(VALU_DEP_2) | instskip(NEXT) | instid1(VALU_DEP_1)
	v_xor_b32_e32 v16, v16, v18
	v_sub_nc_u64_e32 v[16:17], v[16:17], v[18:19]
.LBB7_45:                               ;   in Loop: Header=BB7_3 Depth=1
	s_and_not1_saveexec_b32 s0, s85
	s_cbranch_execz .LBB7_47
; %bb.46:                               ;   in Loop: Header=BB7_3 Depth=1
	v_rcp_iflag_f32_e32 v3, v7
	s_sub_co_i32 s2, 0, s64
	v_nop
	s_delay_alu instid0(TRANS32_DEP_1) | instskip(NEXT) | instid1(VALU_DEP_1)
	v_mul_f32_e32 v3, 0x4f7ffffe, v3
	v_cvt_u32_f32_e32 v3, v3
	s_delay_alu instid0(VALU_DEP_1) | instskip(NEXT) | instid1(VALU_DEP_1)
	v_mul_lo_u32 v16, s2, v3
	v_mul_hi_u32 v16, v3, v16
	s_delay_alu instid0(VALU_DEP_1) | instskip(NEXT) | instid1(VALU_DEP_1)
	v_add_nc_u32_e32 v3, v3, v16
	v_mul_hi_u32 v3, v26, v3
	s_delay_alu instid0(VALU_DEP_1) | instskip(NEXT) | instid1(VALU_DEP_1)
	v_mul_lo_u32 v16, v3, s64
	v_dual_add_nc_u32 v17, 1, v3 :: v_dual_sub_nc_u32 v16, v26, v16
	s_delay_alu instid0(VALU_DEP_1) | instskip(SKIP_1) | instid1(VALU_DEP_2)
	v_subrev_nc_u32_e32 v18, s64, v16
	v_cmp_le_u32_e32 vcc_lo, s64, v16
	v_dual_cndmask_b32 v16, v16, v18 :: v_dual_cndmask_b32 v3, v3, v17
	s_delay_alu instid0(VALU_DEP_1) | instskip(NEXT) | instid1(VALU_DEP_2)
	v_cmp_le_u32_e32 vcc_lo, s64, v16
	v_add_nc_u32_e32 v17, 1, v3
	s_delay_alu instid0(VALU_DEP_1)
	v_dual_cndmask_b32 v16, v3, v17 :: v_dual_mov_b32 v17, v2
.LBB7_47:                               ;   in Loop: Header=BB7_3 Depth=1
	s_or_b32 exec_lo, exec_lo, s0
	v_or_b32_e32 v3, s65, v29
                                        ; implicit-def: $vgpr18_vgpr19
	s_mov_b32 s0, exec_lo
	s_delay_alu instid0(VALU_DEP_1)
	v_cmpx_ne_u64_e32 0, v[2:3]
	s_xor_b32 s85, exec_lo, s0
	s_cbranch_execz .LBB7_49
; %bb.48:                               ;   in Loop: Header=BB7_3 Depth=1
	s_ashr_i32 s80, s65, 31
	v_dual_mov_b32 v21, v20 :: v_dual_mov_b32 v25, v2
	s_mov_b32 s81, s80
	v_mov_b32_e32 v47, v2
	s_add_nc_u64 s[82:83], s[64:65], s[80:81]
	s_delay_alu instid0(VALU_DEP_2)
	v_add_nc_u64_e32 v[18:19], v[28:29], v[20:21]
	s_xor_b64 s[82:83], s[82:83], s[80:81]
	v_mov_b32_e32 v29, v2
	s_cvt_f32_u32 s0, s82
	s_cvt_f32_u32 s2, s83
	s_sub_nc_u64 s[88:89], 0, s[82:83]
	s_delay_alu instid0(VALU_DEP_2) | instskip(NEXT) | instid1(SALU_CYCLE_1)
	v_xor_b32_e32 v28, v19, v20
	s_fmamk_f32 s0, s2, 0x4f800000, s0
	v_xor_b32_e32 v24, v18, v20
	v_xor_b32_e32 v20, s80, v20
	s_delay_alu instid0(SALU_CYCLE_1) | instskip(NEXT) | instid1(TRANS32_DEP_1)
	v_s_rcp_f32 s0, s0
	s_mul_f32 s0, s0, 0x5f7ffffc
	s_delay_alu instid0(SALU_CYCLE_3) | instskip(NEXT) | instid1(SALU_CYCLE_3)
	s_mul_f32 s2, s0, 0x2f800000
	s_trunc_f32 s2, s2
	s_delay_alu instid0(SALU_CYCLE_3) | instskip(SKIP_1) | instid1(SALU_CYCLE_2)
	s_fmamk_f32 s0, s2, 0xcf800000, s0
	s_cvt_u32_f32 s87, s2
	s_cvt_u32_f32 s86, s0
	s_delay_alu instid0(SALU_CYCLE_3) | instskip(NEXT) | instid1(SALU_CYCLE_1)
	s_mul_u64 s[90:91], s[88:89], s[86:87]
	s_mul_hi_u32 s93, s86, s91
	s_mul_i32 s92, s86, s91
	s_mul_hi_u32 s2, s86, s90
	s_mul_i32 s81, s87, s90
	s_add_nc_u64 s[92:93], s[2:3], s[92:93]
	s_mul_hi_u32 s0, s87, s90
	s_mul_hi_u32 s94, s87, s91
	s_add_co_u32 s2, s92, s81
	s_add_co_ci_u32 s2, s93, s0
	s_mul_i32 s90, s87, s91
	s_add_co_ci_u32 s91, s94, 0
	s_delay_alu instid0(SALU_CYCLE_1) | instskip(NEXT) | instid1(SALU_CYCLE_1)
	s_add_nc_u64 s[90:91], s[2:3], s[90:91]
	s_add_co_u32 s86, s86, s90
	s_cselect_b32 s0, -1, 0
	s_delay_alu instid0(SALU_CYCLE_1) | instskip(SKIP_1) | instid1(SALU_CYCLE_1)
	s_cmp_lg_u32 s0, 0
	s_add_co_ci_u32 s87, s87, s91
	s_mul_u64 s[88:89], s[88:89], s[86:87]
	s_delay_alu instid0(SALU_CYCLE_1)
	s_mul_hi_u32 s91, s86, s89
	s_mul_i32 s90, s86, s89
	s_mul_hi_u32 s2, s86, s88
	s_mul_i32 s81, s87, s88
	s_add_nc_u64 s[90:91], s[2:3], s[90:91]
	s_mul_hi_u32 s0, s87, s88
	s_mul_hi_u32 s92, s87, s89
	s_add_co_u32 s2, s90, s81
	s_add_co_ci_u32 s2, s91, s0
	s_mul_i32 s88, s87, s89
	s_add_co_ci_u32 s89, s92, 0
	s_delay_alu instid0(SALU_CYCLE_1) | instskip(NEXT) | instid1(SALU_CYCLE_1)
	s_add_nc_u64 s[88:89], s[2:3], s[88:89]
	s_add_co_u32 s0, s86, s88
	s_cselect_b32 s2, -1, 0
	v_nop
	v_mul_hi_u32 v46, v24, s0
	s_cmp_lg_u32 s2, 0
	s_add_co_ci_u32 s2, s87, s89
	s_and_b64 s[86:87], s[0:1], s[74:75]
	v_mul_u64_e32 v[26:27], s[2:3], v[24:25]
	v_mul_u64_e32 v[18:19], s[86:87], v[28:29]
	;; [unrolled: 1-line block ×3, first 2 shown]
	s_delay_alu instid0(VALU_DEP_3) | instskip(NEXT) | instid1(VALU_DEP_1)
	v_add_nc_u64_e32 v[26:27], v[46:47], v[26:27]
	v_add_co_u32 v3, vcc_lo, v26, v18
	s_delay_alu instid0(VALU_DEP_2) | instskip(NEXT) | instid1(VALU_DEP_4)
	v_add_co_ci_u32_e32 v46, vcc_lo, v27, v19, vcc_lo
	v_add_co_ci_u32_e32 v45, vcc_lo, 0, v45, vcc_lo
	s_delay_alu instid0(VALU_DEP_1) | instskip(NEXT) | instid1(VALU_DEP_1)
	v_add_nc_u64_e32 v[18:19], v[46:47], v[44:45]
	v_mul_u64_e32 v[26:27], s[82:83], v[18:19]
	s_delay_alu instid0(VALU_DEP_1) | instskip(NEXT) | instid1(VALU_DEP_2)
	v_sub_nc_u32_e32 v3, v28, v27
	v_sub_co_u32 v21, vcc_lo, v24, v26
	s_delay_alu instid0(VALU_DEP_1) | instskip(NEXT) | instid1(VALU_DEP_3)
	v_sub_co_ci_u32_e64 v28, null, v28, v27, vcc_lo
	v_subrev_co_ci_u32_e64 v3, null, s83, v3, vcc_lo
	s_delay_alu instid0(VALU_DEP_3) | instskip(SKIP_1) | instid1(VALU_DEP_3)
	v_sub_co_u32 v23, s0, v21, s82
	v_add_nc_u64_e32 v[26:27], 1, v[18:19]
	v_subrev_co_ci_u32_e64 v3, null, 0, v3, s0
	s_delay_alu instid0(VALU_DEP_3) | instskip(SKIP_1) | instid1(VALU_DEP_3)
	v_cmp_le_u32_e32 vcc_lo, s82, v23
	v_cndmask_b32_e64 v23, 0, -1, vcc_lo
	v_cmp_le_u32_e32 vcc_lo, s83, v3
	v_cndmask_b32_e64 v24, 0, -1, vcc_lo
	;; [unrolled: 2-line block ×4, first 2 shown]
	v_cmp_eq_u32_e32 vcc_lo, s83, v3
	v_cndmask_b32_e32 v3, v24, v23, vcc_lo
	v_cmp_eq_u32_e32 vcc_lo, s83, v28
	v_add_nc_u64_e32 v[24:25], 2, v[18:19]
	v_cndmask_b32_e32 v21, v29, v21, vcc_lo
	s_delay_alu instid0(VALU_DEP_4) | instskip(NEXT) | instid1(VALU_DEP_2)
	v_cmp_ne_u32_e32 vcc_lo, 0, v3
                                        ; implicit-def: $vgpr28_vgpr29
	v_cmp_ne_u32_e64 s0, 0, v21
	s_delay_alu instid0(VALU_DEP_4) | instskip(NEXT) | instid1(VALU_DEP_1)
	v_dual_cndmask_b32 v3, v27, v25, vcc_lo :: v_dual_cndmask_b32 v21, v26, v24, vcc_lo
	v_dual_cndmask_b32 v3, v19, v3, s0 :: v_dual_cndmask_b32 v18, v18, v21, s0
	s_delay_alu instid0(VALU_DEP_1) | instskip(NEXT) | instid1(VALU_DEP_2)
	v_dual_mov_b32 v21, v20 :: v_dual_bitop2_b32 v19, v3, v20 bitop3:0x14
	v_xor_b32_e32 v18, v18, v20
	s_delay_alu instid0(VALU_DEP_1)
	v_sub_nc_u64_e32 v[18:19], v[18:19], v[20:21]
.LBB7_49:                               ;   in Loop: Header=BB7_3 Depth=1
	s_and_not1_saveexec_b32 s0, s85
	s_cbranch_execz .LBB7_51
; %bb.50:                               ;   in Loop: Header=BB7_3 Depth=1
	v_rcp_iflag_f32_e32 v3, v7
	s_sub_co_i32 s2, 0, s64
	v_nop
	s_delay_alu instid0(TRANS32_DEP_1) | instskip(NEXT) | instid1(VALU_DEP_1)
	v_mul_f32_e32 v3, 0x4f7ffffe, v3
	v_cvt_u32_f32_e32 v3, v3
	s_delay_alu instid0(VALU_DEP_1) | instskip(NEXT) | instid1(VALU_DEP_1)
	v_mul_lo_u32 v18, s2, v3
	v_mul_hi_u32 v18, v3, v18
	s_delay_alu instid0(VALU_DEP_1) | instskip(NEXT) | instid1(VALU_DEP_1)
	v_add_nc_u32_e32 v3, v3, v18
	v_mul_hi_u32 v3, v28, v3
	s_delay_alu instid0(VALU_DEP_1) | instskip(NEXT) | instid1(VALU_DEP_1)
	v_mul_lo_u32 v18, v3, s64
	v_dual_add_nc_u32 v19, 1, v3 :: v_dual_sub_nc_u32 v18, v28, v18
	s_delay_alu instid0(VALU_DEP_1) | instskip(SKIP_1) | instid1(VALU_DEP_2)
	v_subrev_nc_u32_e32 v20, s64, v18
	v_cmp_le_u32_e32 vcc_lo, s64, v18
	v_dual_cndmask_b32 v18, v18, v20 :: v_dual_cndmask_b32 v3, v3, v19
	s_delay_alu instid0(VALU_DEP_1) | instskip(NEXT) | instid1(VALU_DEP_2)
	v_cmp_le_u32_e32 vcc_lo, s64, v18
	v_add_nc_u32_e32 v19, 1, v3
	s_delay_alu instid0(VALU_DEP_1)
	v_dual_cndmask_b32 v18, v3, v19 :: v_dual_mov_b32 v19, v2
.LBB7_51:                               ;   in Loop: Header=BB7_3 Depth=1
	s_or_b32 exec_lo, exec_lo, s0
	v_or_b32_e32 v3, s65, v31
                                        ; implicit-def: $vgpr20_vgpr21
	s_mov_b32 s0, exec_lo
	s_delay_alu instid0(VALU_DEP_1)
	v_cmpx_ne_u64_e32 0, v[2:3]
	s_xor_b32 s85, exec_lo, s0
	s_cbranch_execz .LBB7_53
; %bb.52:                               ;   in Loop: Header=BB7_3 Depth=1
	s_ashr_i32 s80, s65, 31
	v_dual_mov_b32 v23, v22 :: v_dual_mov_b32 v25, v2
	s_mov_b32 s81, s80
	v_mov_b32_e32 v29, v2
	s_add_nc_u64 s[82:83], s[64:65], s[80:81]
	s_delay_alu instid0(VALU_DEP_2)
	v_add_nc_u64_e32 v[20:21], v[30:31], v[22:23]
	s_xor_b64 s[82:83], s[82:83], s[80:81]
	v_mov_b32_e32 v45, v2
	s_cvt_f32_u32 s0, s82
	s_cvt_f32_u32 s2, s83
	s_sub_nc_u64 s[88:89], 0, s[82:83]
	s_delay_alu instid0(VALU_DEP_2) | instskip(NEXT) | instid1(SALU_CYCLE_1)
	v_xor_b32_e32 v24, v20, v22
	s_fmamk_f32 s0, s2, 0x4f800000, s0
	v_xor_b32_e32 v28, v21, v22
	v_xor_b32_e32 v22, s80, v22
	s_delay_alu instid0(SALU_CYCLE_1) | instskip(NEXT) | instid1(TRANS32_DEP_1)
	v_s_rcp_f32 s0, s0
	s_mul_f32 s0, s0, 0x5f7ffffc
	s_delay_alu instid0(SALU_CYCLE_3) | instskip(NEXT) | instid1(SALU_CYCLE_3)
	s_mul_f32 s2, s0, 0x2f800000
	s_trunc_f32 s2, s2
	s_delay_alu instid0(SALU_CYCLE_3) | instskip(SKIP_1) | instid1(SALU_CYCLE_2)
	s_fmamk_f32 s0, s2, 0xcf800000, s0
	s_cvt_u32_f32 s87, s2
	s_cvt_u32_f32 s86, s0
	s_delay_alu instid0(SALU_CYCLE_3) | instskip(NEXT) | instid1(SALU_CYCLE_1)
	s_mul_u64 s[90:91], s[88:89], s[86:87]
	s_mul_hi_u32 s93, s86, s91
	s_mul_i32 s92, s86, s91
	s_mul_hi_u32 s2, s86, s90
	s_mul_i32 s81, s87, s90
	s_add_nc_u64 s[92:93], s[2:3], s[92:93]
	s_mul_hi_u32 s0, s87, s90
	s_mul_hi_u32 s94, s87, s91
	s_add_co_u32 s2, s92, s81
	s_add_co_ci_u32 s2, s93, s0
	s_mul_i32 s90, s87, s91
	s_add_co_ci_u32 s91, s94, 0
	s_delay_alu instid0(SALU_CYCLE_1) | instskip(NEXT) | instid1(SALU_CYCLE_1)
	s_add_nc_u64 s[90:91], s[2:3], s[90:91]
	s_add_co_u32 s86, s86, s90
	s_cselect_b32 s0, -1, 0
	s_delay_alu instid0(SALU_CYCLE_1) | instskip(SKIP_1) | instid1(SALU_CYCLE_1)
	s_cmp_lg_u32 s0, 0
	s_add_co_ci_u32 s87, s87, s91
	s_mul_u64 s[88:89], s[88:89], s[86:87]
	s_delay_alu instid0(SALU_CYCLE_1)
	s_mul_hi_u32 s91, s86, s89
	s_mul_i32 s90, s86, s89
	s_mul_hi_u32 s2, s86, s88
	s_mul_i32 s81, s87, s88
	s_add_nc_u64 s[90:91], s[2:3], s[90:91]
	s_mul_hi_u32 s0, s87, s88
	s_mul_hi_u32 s92, s87, s89
	s_add_co_u32 s2, s90, s81
	s_add_co_ci_u32 s2, s91, s0
	s_mul_i32 s88, s87, s89
	s_add_co_ci_u32 s89, s92, 0
	s_delay_alu instid0(SALU_CYCLE_1) | instskip(NEXT) | instid1(SALU_CYCLE_1)
	s_add_nc_u64 s[88:89], s[2:3], s[88:89]
	s_add_co_u32 s0, s86, s88
	s_cselect_b32 s2, -1, 0
	v_nop
	v_mul_hi_u32 v44, v24, s0
	s_cmp_lg_u32 s2, 0
	s_add_co_ci_u32 s2, s87, s89
	s_and_b64 s[86:87], s[0:1], s[74:75]
	v_mul_u64_e32 v[26:27], s[2:3], v[24:25]
	v_mul_u64_e32 v[20:21], s[86:87], v[28:29]
	;; [unrolled: 1-line block ×3, first 2 shown]
	s_delay_alu instid0(VALU_DEP_3) | instskip(NEXT) | instid1(VALU_DEP_1)
	v_add_nc_u64_e32 v[26:27], v[44:45], v[26:27]
	v_add_co_u32 v3, vcc_lo, v26, v20
	s_delay_alu instid0(VALU_DEP_2) | instskip(NEXT) | instid1(VALU_DEP_4)
	v_add_co_ci_u32_e32 v44, vcc_lo, v27, v21, vcc_lo
	v_add_co_ci_u32_e32 v31, vcc_lo, 0, v31, vcc_lo
	s_delay_alu instid0(VALU_DEP_1) | instskip(NEXT) | instid1(VALU_DEP_1)
	v_add_nc_u64_e32 v[20:21], v[44:45], v[30:31]
                                        ; implicit-def: $vgpr30_vgpr31
	v_mul_u64_e32 v[26:27], s[82:83], v[20:21]
	s_delay_alu instid0(VALU_DEP_1) | instskip(NEXT) | instid1(VALU_DEP_2)
	v_sub_nc_u32_e32 v3, v28, v27
	v_sub_co_u32 v7, vcc_lo, v24, v26
	s_delay_alu instid0(VALU_DEP_1) | instskip(NEXT) | instid1(VALU_DEP_3)
	v_sub_co_ci_u32_e64 v28, null, v28, v27, vcc_lo
	v_subrev_co_ci_u32_e64 v3, null, s83, v3, vcc_lo
	s_delay_alu instid0(VALU_DEP_3) | instskip(SKIP_1) | instid1(VALU_DEP_3)
	v_sub_co_u32 v23, s0, v7, s82
	v_add_nc_u64_e32 v[26:27], 1, v[20:21]
	v_subrev_co_ci_u32_e64 v3, null, 0, v3, s0
	s_delay_alu instid0(VALU_DEP_3) | instskip(SKIP_1) | instid1(VALU_DEP_3)
	v_cmp_le_u32_e32 vcc_lo, s82, v23
	v_cndmask_b32_e64 v23, 0, -1, vcc_lo
	v_cmp_le_u32_e32 vcc_lo, s83, v3
	v_cndmask_b32_e64 v24, 0, -1, vcc_lo
	;; [unrolled: 2-line block ×4, first 2 shown]
	v_cmp_eq_u32_e32 vcc_lo, s83, v3
	v_cndmask_b32_e32 v3, v24, v23, vcc_lo
	v_cmp_eq_u32_e32 vcc_lo, s83, v28
	v_add_nc_u64_e32 v[24:25], 2, v[20:21]
	v_dual_mov_b32 v23, v22 :: v_dual_cndmask_b32 v7, v29, v7, vcc_lo
	s_delay_alu instid0(VALU_DEP_4) | instskip(NEXT) | instid1(VALU_DEP_3)
	v_cmp_ne_u32_e32 vcc_lo, 0, v3
	v_cndmask_b32_e32 v3, v27, v25, vcc_lo
	s_delay_alu instid0(VALU_DEP_3) | instskip(NEXT) | instid1(VALU_DEP_1)
	v_cmp_ne_u32_e64 s0, 0, v7
	v_dual_cndmask_b32 v7, v26, v24, vcc_lo :: v_dual_cndmask_b32 v3, v21, v3, s0
	s_delay_alu instid0(VALU_DEP_1) | instskip(NEXT) | instid1(VALU_DEP_1)
	v_dual_cndmask_b32 v7, v20, v7, s0 :: v_dual_bitop2_b32 v21, v3, v22 bitop3:0x14
	v_xor_b32_e32 v20, v7, v22
                                        ; implicit-def: $vgpr7
	s_delay_alu instid0(VALU_DEP_1)
	v_sub_nc_u64_e32 v[20:21], v[20:21], v[22:23]
.LBB7_53:                               ;   in Loop: Header=BB7_3 Depth=1
	s_and_not1_saveexec_b32 s0, s85
	s_cbranch_execz .LBB7_55
; %bb.54:                               ;   in Loop: Header=BB7_3 Depth=1
	v_rcp_iflag_f32_e32 v3, v7
	s_sub_co_i32 s2, 0, s64
	v_nop
	s_delay_alu instid0(TRANS32_DEP_1) | instskip(NEXT) | instid1(VALU_DEP_1)
	v_mul_f32_e32 v3, 0x4f7ffffe, v3
	v_cvt_u32_f32_e32 v3, v3
	s_delay_alu instid0(VALU_DEP_1) | instskip(NEXT) | instid1(VALU_DEP_1)
	v_mul_lo_u32 v7, s2, v3
	v_mul_hi_u32 v7, v3, v7
	s_delay_alu instid0(VALU_DEP_1) | instskip(NEXT) | instid1(VALU_DEP_1)
	v_add_nc_u32_e32 v3, v3, v7
	v_mul_hi_u32 v3, v30, v3
	s_delay_alu instid0(VALU_DEP_1) | instskip(NEXT) | instid1(VALU_DEP_1)
	v_mul_lo_u32 v7, v3, s64
	v_sub_nc_u32_e32 v7, v30, v7
	s_delay_alu instid0(VALU_DEP_1) | instskip(SKIP_1) | instid1(VALU_DEP_2)
	v_subrev_nc_u32_e32 v21, s64, v7
	v_cmp_le_u32_e32 vcc_lo, s64, v7
	v_dual_cndmask_b32 v7, v7, v21 :: v_dual_add_nc_u32 v20, 1, v3
	s_delay_alu instid0(VALU_DEP_1) | instskip(NEXT) | instid1(VALU_DEP_2)
	v_dual_cndmask_b32 v3, v3, v20, vcc_lo :: v_dual_mov_b32 v21, v2
	v_cmp_le_u32_e32 vcc_lo, s64, v7
	s_delay_alu instid0(VALU_DEP_2) | instskip(NEXT) | instid1(VALU_DEP_1)
	v_add_nc_u32_e32 v20, 1, v3
	v_cndmask_b32_e32 v20, v3, v20, vcc_lo
.LBB7_55:                               ;   in Loop: Header=BB7_3 Depth=1
	s_or_b32 exec_lo, exec_lo, s0
	v_or_b32_e32 v3, s53, v1
                                        ; implicit-def: $vgpr22_vgpr23
	s_mov_b32 s0, exec_lo
	s_delay_alu instid0(VALU_DEP_1)
	v_cmpx_ne_u64_e32 0, v[2:3]
	s_xor_b32 s85, exec_lo, s0
	s_cbranch_execz .LBB7_57
; %bb.56:                               ;   in Loop: Header=BB7_3 Depth=1
	s_ashr_i32 s80, s53, 31
	v_dual_mov_b32 v7, v6 :: v_dual_mov_b32 v25, v2
	s_mov_b32 s81, s80
	v_mov_b32_e32 v45, v2
	s_add_nc_u64 s[82:83], s[52:53], s[80:81]
	s_delay_alu instid0(VALU_DEP_2)
	v_add_nc_u64_e32 v[22:23], v[0:1], v[6:7]
	s_xor_b64 s[82:83], s[82:83], s[80:81]
	v_mov_b32_e32 v29, v2
	s_cvt_f32_u32 s0, s82
	s_cvt_f32_u32 s2, s83
	s_sub_nc_u64 s[88:89], 0, s[82:83]
	s_delay_alu instid0(VALU_DEP_2) | instskip(NEXT) | instid1(SALU_CYCLE_1)
	v_xor_b32_e32 v28, v23, v6
	s_fmamk_f32 s0, s2, 0x4f800000, s0
	v_xor_b32_e32 v24, v22, v6
	s_delay_alu instid0(SALU_CYCLE_2) | instskip(NEXT) | instid1(TRANS32_DEP_1)
	v_s_rcp_f32 s0, s0
	s_mul_f32 s0, s0, 0x5f7ffffc
	s_delay_alu instid0(SALU_CYCLE_3) | instskip(NEXT) | instid1(SALU_CYCLE_3)
	s_mul_f32 s2, s0, 0x2f800000
	s_trunc_f32 s2, s2
	s_delay_alu instid0(SALU_CYCLE_3) | instskip(SKIP_1) | instid1(SALU_CYCLE_2)
	s_fmamk_f32 s0, s2, 0xcf800000, s0
	s_cvt_u32_f32 s87, s2
	s_cvt_u32_f32 s86, s0
	s_delay_alu instid0(SALU_CYCLE_3) | instskip(NEXT) | instid1(SALU_CYCLE_1)
	s_mul_u64 s[90:91], s[88:89], s[86:87]
	s_mul_hi_u32 s93, s86, s91
	s_mul_i32 s92, s86, s91
	s_mul_hi_u32 s2, s86, s90
	s_mul_i32 s81, s87, s90
	s_add_nc_u64 s[92:93], s[2:3], s[92:93]
	s_mul_hi_u32 s0, s87, s90
	s_mul_hi_u32 s94, s87, s91
	s_add_co_u32 s2, s92, s81
	s_add_co_ci_u32 s2, s93, s0
	s_mul_i32 s90, s87, s91
	s_add_co_ci_u32 s91, s94, 0
	s_delay_alu instid0(SALU_CYCLE_1) | instskip(NEXT) | instid1(SALU_CYCLE_1)
	s_add_nc_u64 s[90:91], s[2:3], s[90:91]
	s_add_co_u32 s86, s86, s90
	s_cselect_b32 s0, -1, 0
	s_delay_alu instid0(SALU_CYCLE_1) | instskip(SKIP_1) | instid1(SALU_CYCLE_1)
	s_cmp_lg_u32 s0, 0
	s_add_co_ci_u32 s87, s87, s91
	s_mul_u64 s[88:89], s[88:89], s[86:87]
	s_delay_alu instid0(SALU_CYCLE_1)
	s_mul_hi_u32 s91, s86, s89
	s_mul_i32 s90, s86, s89
	s_mul_hi_u32 s2, s86, s88
	s_mul_i32 s81, s87, s88
	s_add_nc_u64 s[90:91], s[2:3], s[90:91]
	s_mul_hi_u32 s0, s87, s88
	s_mul_hi_u32 s92, s87, s89
	s_add_co_u32 s2, s90, s81
	s_add_co_ci_u32 s2, s91, s0
	s_mul_i32 s88, s87, s89
	s_add_co_ci_u32 s89, s92, 0
	s_delay_alu instid0(SALU_CYCLE_1) | instskip(NEXT) | instid1(SALU_CYCLE_1)
	s_add_nc_u64 s[88:89], s[2:3], s[88:89]
	s_add_co_u32 s0, s86, s88
	s_cselect_b32 s2, -1, 0
	v_nop
	v_mul_hi_u32 v44, v24, s0
	s_cmp_lg_u32 s2, 0
	s_add_co_ci_u32 s2, s87, s89
	s_and_b64 s[86:87], s[0:1], s[74:75]
	v_mul_u64_e32 v[26:27], s[2:3], v[24:25]
	v_mul_u64_e32 v[22:23], s[86:87], v[28:29]
	;; [unrolled: 1-line block ×3, first 2 shown]
	s_delay_alu instid0(VALU_DEP_3) | instskip(NEXT) | instid1(VALU_DEP_1)
	v_add_nc_u64_e32 v[26:27], v[44:45], v[26:27]
	v_add_co_u32 v3, vcc_lo, v26, v22
	s_delay_alu instid0(VALU_DEP_2) | instskip(NEXT) | instid1(VALU_DEP_4)
	v_add_co_ci_u32_e32 v44, vcc_lo, v27, v23, vcc_lo
	v_add_co_ci_u32_e32 v31, vcc_lo, 0, v31, vcc_lo
	s_delay_alu instid0(VALU_DEP_1) | instskip(NEXT) | instid1(VALU_DEP_1)
	v_add_nc_u64_e32 v[22:23], v[44:45], v[30:31]
	v_mul_u64_e32 v[26:27], s[82:83], v[22:23]
	s_delay_alu instid0(VALU_DEP_1) | instskip(NEXT) | instid1(VALU_DEP_2)
	v_sub_nc_u32_e32 v3, v28, v27
	v_sub_co_u32 v7, vcc_lo, v24, v26
	s_delay_alu instid0(VALU_DEP_1) | instskip(NEXT) | instid1(VALU_DEP_3)
	v_sub_co_ci_u32_e64 v28, null, v28, v27, vcc_lo
	v_subrev_co_ci_u32_e64 v3, null, s83, v3, vcc_lo
	s_delay_alu instid0(VALU_DEP_3) | instskip(SKIP_1) | instid1(VALU_DEP_3)
	v_sub_co_u32 v24, s0, v7, s82
	v_add_nc_u64_e32 v[26:27], 1, v[22:23]
	v_subrev_co_ci_u32_e64 v3, null, 0, v3, s0
	s_delay_alu instid0(VALU_DEP_3) | instskip(SKIP_1) | instid1(VALU_DEP_3)
	v_cmp_le_u32_e32 vcc_lo, s82, v24
	v_cndmask_b32_e64 v24, 0, -1, vcc_lo
	v_cmp_le_u32_e32 vcc_lo, s83, v3
	v_cndmask_b32_e64 v25, 0, -1, vcc_lo
	;; [unrolled: 2-line block ×4, first 2 shown]
	v_cmp_eq_u32_e32 vcc_lo, s83, v3
	v_cndmask_b32_e32 v3, v25, v24, vcc_lo
	v_cmp_eq_u32_e32 vcc_lo, s83, v28
	v_add_nc_u64_e32 v[24:25], 2, v[22:23]
	v_cndmask_b32_e32 v7, v29, v7, vcc_lo
	s_delay_alu instid0(VALU_DEP_4) | instskip(NEXT) | instid1(VALU_DEP_3)
	v_cmp_ne_u32_e32 vcc_lo, 0, v3
	v_cndmask_b32_e32 v3, v27, v25, vcc_lo
	s_delay_alu instid0(VALU_DEP_3) | instskip(SKIP_1) | instid1(VALU_DEP_1)
	v_cmp_ne_u32_e64 s0, 0, v7
	v_dual_cndmask_b32 v7, v26, v24, vcc_lo :: v_dual_bitop2_b32 v24, s80, v6 bitop3:0x14
	v_dual_cndmask_b32 v3, v23, v3, s0 :: v_dual_mov_b32 v25, v24
	s_delay_alu instid0(VALU_DEP_1) | instskip(NEXT) | instid1(VALU_DEP_1)
	v_dual_cndmask_b32 v7, v22, v7, s0 :: v_dual_bitop2_b32 v23, v3, v24 bitop3:0x14
	v_xor_b32_e32 v22, v7, v24
	s_delay_alu instid0(VALU_DEP_1)
	v_sub_nc_u64_e32 v[22:23], v[22:23], v[24:25]
.LBB7_57:                               ;   in Loop: Header=BB7_3 Depth=1
	s_and_not1_saveexec_b32 s0, s85
	s_cbranch_execz .LBB7_59
; %bb.58:                               ;   in Loop: Header=BB7_3 Depth=1
	v_cvt_f32_u32_e32 v3, s52
	s_sub_co_i32 s2, 0, s52
	s_delay_alu instid0(VALU_DEP_1) | instskip(SKIP_1) | instid1(TRANS32_DEP_1)
	v_rcp_iflag_f32_e32 v3, v3
	v_nop
	v_mul_f32_e32 v3, 0x4f7ffffe, v3
	s_delay_alu instid0(VALU_DEP_1) | instskip(NEXT) | instid1(VALU_DEP_1)
	v_cvt_u32_f32_e32 v3, v3
	v_mul_lo_u32 v7, s2, v3
	s_delay_alu instid0(VALU_DEP_1) | instskip(NEXT) | instid1(VALU_DEP_1)
	v_mul_hi_u32 v7, v3, v7
	v_add_nc_u32_e32 v3, v3, v7
	s_delay_alu instid0(VALU_DEP_1) | instskip(NEXT) | instid1(VALU_DEP_1)
	v_mul_hi_u32 v3, v0, v3
	v_mul_lo_u32 v7, v3, s52
	v_add_nc_u32_e32 v22, 1, v3
	s_delay_alu instid0(VALU_DEP_2) | instskip(NEXT) | instid1(VALU_DEP_1)
	v_sub_nc_u32_e32 v7, v0, v7
	v_subrev_nc_u32_e32 v23, s52, v7
	v_cmp_le_u32_e32 vcc_lo, s52, v7
	s_delay_alu instid0(VALU_DEP_2) | instskip(SKIP_1) | instid1(VALU_DEP_2)
	v_dual_cndmask_b32 v7, v7, v23, vcc_lo :: v_dual_mov_b32 v23, v2
	v_cndmask_b32_e32 v3, v3, v22, vcc_lo
	v_cmp_le_u32_e32 vcc_lo, s52, v7
	s_delay_alu instid0(VALU_DEP_2) | instskip(NEXT) | instid1(VALU_DEP_1)
	v_add_nc_u32_e32 v22, 1, v3
	v_cndmask_b32_e32 v22, v3, v22, vcc_lo
.LBB7_59:                               ;   in Loop: Header=BB7_3 Depth=1
	s_or_b32 exec_lo, exec_lo, s0
	s_delay_alu instid0(VALU_DEP_1) | instskip(SKIP_1) | instid1(VALU_DEP_1)
	v_mad_nc_u64_u32 v[24:25], s72, v22, v[0:1]
	s_mov_b32 s0, exec_lo
	v_mad_u32 v3, s73, v22, v25
	s_delay_alu instid0(VALU_DEP_1) | instskip(SKIP_2) | instid1(VALU_DEP_3)
	v_mad_u32 v25, s72, v23, v3
	v_mul_u64_e32 v[22:23], s[16:17], v[22:23]
	v_or_b32_e32 v3, s57, v1
	v_mul_u64_e32 v[24:25], s[18:19], v[24:25]
	s_delay_alu instid0(VALU_DEP_3) | instskip(NEXT) | instid1(VALU_DEP_1)
	v_lshl_add_u64 v[22:23], v[22:23], 2, s[50:51]
	v_lshl_add_u64 v[22:23], v[24:25], 2, v[22:23]
                                        ; implicit-def: $vgpr24_vgpr25
	global_load_b32 v22, v[22:23], off
	s_wait_xcnt 0x0
	v_cmpx_ne_u64_e32 0, v[2:3]
	s_xor_b32 s85, exec_lo, s0
	s_cbranch_execz .LBB7_61
; %bb.60:                               ;   in Loop: Header=BB7_3 Depth=1
	s_ashr_i32 s80, s57, 31
	v_dual_mov_b32 v7, v6 :: v_dual_mov_b32 v27, v2
	s_mov_b32 s81, s80
	v_mov_b32_e32 v31, v2
	s_add_nc_u64 s[82:83], s[56:57], s[80:81]
	s_delay_alu instid0(VALU_DEP_2)
	v_add_nc_u64_e32 v[24:25], v[0:1], v[6:7]
	s_xor_b64 s[82:83], s[82:83], s[80:81]
	v_mov_b32_e32 v47, v2
	s_cvt_f32_u32 s0, s82
	s_cvt_f32_u32 s2, s83
	s_sub_nc_u64 s[88:89], 0, s[82:83]
	s_delay_alu instid0(VALU_DEP_2) | instskip(NEXT) | instid1(SALU_CYCLE_1)
	v_xor_b32_e32 v26, v24, v6
	s_fmamk_f32 s0, s2, 0x4f800000, s0
	v_xor_b32_e32 v30, v25, v6
	s_delay_alu instid0(SALU_CYCLE_2) | instskip(NEXT) | instid1(TRANS32_DEP_1)
	v_s_rcp_f32 s0, s0
	s_mul_f32 s0, s0, 0x5f7ffffc
	s_delay_alu instid0(SALU_CYCLE_3) | instskip(NEXT) | instid1(SALU_CYCLE_3)
	s_mul_f32 s2, s0, 0x2f800000
	s_trunc_f32 s2, s2
	s_delay_alu instid0(SALU_CYCLE_3) | instskip(SKIP_1) | instid1(SALU_CYCLE_2)
	s_fmamk_f32 s0, s2, 0xcf800000, s0
	s_cvt_u32_f32 s87, s2
	s_cvt_u32_f32 s86, s0
	s_delay_alu instid0(SALU_CYCLE_3) | instskip(NEXT) | instid1(SALU_CYCLE_1)
	s_mul_u64 s[90:91], s[88:89], s[86:87]
	s_mul_hi_u32 s93, s86, s91
	s_mul_i32 s92, s86, s91
	s_mul_hi_u32 s2, s86, s90
	s_mul_i32 s81, s87, s90
	s_add_nc_u64 s[92:93], s[2:3], s[92:93]
	s_mul_hi_u32 s0, s87, s90
	s_mul_hi_u32 s94, s87, s91
	s_add_co_u32 s2, s92, s81
	s_add_co_ci_u32 s2, s93, s0
	s_mul_i32 s90, s87, s91
	s_add_co_ci_u32 s91, s94, 0
	s_delay_alu instid0(SALU_CYCLE_1) | instskip(NEXT) | instid1(SALU_CYCLE_1)
	s_add_nc_u64 s[90:91], s[2:3], s[90:91]
	s_add_co_u32 s86, s86, s90
	s_cselect_b32 s0, -1, 0
	s_delay_alu instid0(SALU_CYCLE_1) | instskip(SKIP_1) | instid1(SALU_CYCLE_1)
	s_cmp_lg_u32 s0, 0
	s_add_co_ci_u32 s87, s87, s91
	s_mul_u64 s[88:89], s[88:89], s[86:87]
	s_delay_alu instid0(SALU_CYCLE_1)
	s_mul_hi_u32 s91, s86, s89
	s_mul_i32 s90, s86, s89
	s_mul_hi_u32 s2, s86, s88
	s_mul_i32 s81, s87, s88
	s_add_nc_u64 s[90:91], s[2:3], s[90:91]
	s_mul_hi_u32 s0, s87, s88
	s_mul_hi_u32 s92, s87, s89
	s_add_co_u32 s2, s90, s81
	s_add_co_ci_u32 s2, s91, s0
	s_mul_i32 s88, s87, s89
	s_add_co_ci_u32 s89, s92, 0
	s_delay_alu instid0(SALU_CYCLE_1) | instskip(NEXT) | instid1(SALU_CYCLE_1)
	s_add_nc_u64 s[88:89], s[2:3], s[88:89]
	s_add_co_u32 s0, s86, s88
	s_cselect_b32 s2, -1, 0
	v_nop
	v_mul_hi_u32 v46, v26, s0
	s_cmp_lg_u32 s2, 0
	s_add_co_ci_u32 s2, s87, s89
	s_and_b64 s[86:87], s[0:1], s[74:75]
	v_mul_u64_e32 v[28:29], s[2:3], v[26:27]
	v_mul_u64_e32 v[24:25], s[86:87], v[30:31]
	;; [unrolled: 1-line block ×3, first 2 shown]
	s_delay_alu instid0(VALU_DEP_3) | instskip(NEXT) | instid1(VALU_DEP_1)
	v_add_nc_u64_e32 v[28:29], v[46:47], v[28:29]
	v_add_co_u32 v3, vcc_lo, v28, v24
	s_delay_alu instid0(VALU_DEP_2) | instskip(NEXT) | instid1(VALU_DEP_4)
	v_add_co_ci_u32_e32 v46, vcc_lo, v29, v25, vcc_lo
	v_add_co_ci_u32_e32 v45, vcc_lo, 0, v45, vcc_lo
	s_delay_alu instid0(VALU_DEP_1) | instskip(NEXT) | instid1(VALU_DEP_1)
	v_add_nc_u64_e32 v[24:25], v[46:47], v[44:45]
	v_mul_u64_e32 v[28:29], s[82:83], v[24:25]
	s_delay_alu instid0(VALU_DEP_1) | instskip(NEXT) | instid1(VALU_DEP_2)
	v_sub_nc_u32_e32 v3, v30, v29
	v_sub_co_u32 v7, vcc_lo, v26, v28
	s_delay_alu instid0(VALU_DEP_1) | instskip(NEXT) | instid1(VALU_DEP_3)
	v_sub_co_ci_u32_e64 v30, null, v30, v29, vcc_lo
	v_subrev_co_ci_u32_e64 v3, null, s83, v3, vcc_lo
	s_delay_alu instid0(VALU_DEP_3) | instskip(SKIP_1) | instid1(VALU_DEP_3)
	v_sub_co_u32 v23, s0, v7, s82
	v_add_nc_u64_e32 v[28:29], 1, v[24:25]
	v_subrev_co_ci_u32_e64 v3, null, 0, v3, s0
	s_delay_alu instid0(VALU_DEP_3) | instskip(SKIP_1) | instid1(VALU_DEP_3)
	v_cmp_le_u32_e32 vcc_lo, s82, v23
	v_cndmask_b32_e64 v23, 0, -1, vcc_lo
	v_cmp_le_u32_e32 vcc_lo, s83, v3
	v_cndmask_b32_e64 v26, 0, -1, vcc_lo
	;; [unrolled: 2-line block ×4, first 2 shown]
	v_cmp_eq_u32_e32 vcc_lo, s83, v3
	v_cndmask_b32_e32 v3, v26, v23, vcc_lo
	v_cmp_eq_u32_e32 vcc_lo, s83, v30
	v_add_nc_u64_e32 v[26:27], 2, v[24:25]
	v_cndmask_b32_e32 v7, v31, v7, vcc_lo
	s_delay_alu instid0(VALU_DEP_4) | instskip(NEXT) | instid1(VALU_DEP_2)
	v_cmp_ne_u32_e32 vcc_lo, 0, v3
	v_cmp_ne_u32_e64 s0, 0, v7
	s_delay_alu instid0(VALU_DEP_4) | instskip(NEXT) | instid1(VALU_DEP_1)
	v_dual_cndmask_b32 v3, v29, v27, vcc_lo :: v_dual_cndmask_b32 v7, v28, v26, vcc_lo
	v_dual_cndmask_b32 v3, v25, v3, s0 :: v_dual_bitop2_b32 v26, s80, v6 bitop3:0x14
	s_delay_alu instid0(VALU_DEP_1) | instskip(NEXT) | instid1(VALU_DEP_2)
	v_dual_mov_b32 v27, v26 :: v_dual_cndmask_b32 v7, v24, v7, s0
	v_xor_b32_e32 v25, v3, v26
	s_delay_alu instid0(VALU_DEP_2) | instskip(NEXT) | instid1(VALU_DEP_1)
	v_xor_b32_e32 v24, v7, v26
	v_sub_nc_u64_e32 v[24:25], v[24:25], v[26:27]
.LBB7_61:                               ;   in Loop: Header=BB7_3 Depth=1
	s_and_not1_saveexec_b32 s0, s85
	s_cbranch_execz .LBB7_63
; %bb.62:                               ;   in Loop: Header=BB7_3 Depth=1
	v_cvt_f32_u32_e32 v3, s56
	s_sub_co_i32 s2, 0, s56
	v_mov_b32_e32 v25, v2
	s_delay_alu instid0(VALU_DEP_2) | instskip(SKIP_1) | instid1(TRANS32_DEP_1)
	v_rcp_iflag_f32_e32 v3, v3
	v_nop
	v_mul_f32_e32 v3, 0x4f7ffffe, v3
	s_delay_alu instid0(VALU_DEP_1) | instskip(NEXT) | instid1(VALU_DEP_1)
	v_cvt_u32_f32_e32 v3, v3
	v_mul_lo_u32 v7, s2, v3
	s_delay_alu instid0(VALU_DEP_1) | instskip(NEXT) | instid1(VALU_DEP_1)
	v_mul_hi_u32 v7, v3, v7
	v_add_nc_u32_e32 v3, v3, v7
	s_delay_alu instid0(VALU_DEP_1) | instskip(NEXT) | instid1(VALU_DEP_1)
	v_mul_hi_u32 v3, v0, v3
	v_mul_lo_u32 v7, v3, s56
	s_delay_alu instid0(VALU_DEP_1) | instskip(NEXT) | instid1(VALU_DEP_1)
	v_sub_nc_u32_e32 v7, v0, v7
	v_subrev_nc_u32_e32 v24, s56, v7
	v_cmp_le_u32_e32 vcc_lo, s56, v7
	s_delay_alu instid0(VALU_DEP_2) | instskip(NEXT) | instid1(VALU_DEP_1)
	v_dual_add_nc_u32 v23, 1, v3 :: v_dual_cndmask_b32 v7, v7, v24, vcc_lo
	v_cndmask_b32_e32 v3, v3, v23, vcc_lo
	s_delay_alu instid0(VALU_DEP_2) | instskip(NEXT) | instid1(VALU_DEP_2)
	v_cmp_le_u32_e32 vcc_lo, s56, v7
	v_add_nc_u32_e32 v23, 1, v3
	s_delay_alu instid0(VALU_DEP_1)
	v_cndmask_b32_e32 v24, v3, v23, vcc_lo
.LBB7_63:                               ;   in Loop: Header=BB7_3 Depth=1
	s_or_b32 exec_lo, exec_lo, s0
	v_or_b32_e32 v3, s61, v1
                                        ; implicit-def: $vgpr26_vgpr27
	s_mov_b32 s0, exec_lo
	s_delay_alu instid0(VALU_DEP_1)
	v_cmpx_ne_u64_e32 0, v[2:3]
	s_xor_b32 s85, exec_lo, s0
	s_cbranch_execnz .LBB7_67
; %bb.64:                               ;   in Loop: Header=BB7_3 Depth=1
	s_and_not1_saveexec_b32 s0, s85
	s_cbranch_execnz .LBB7_68
.LBB7_65:                               ;   in Loop: Header=BB7_3 Depth=1
	s_or_b32 exec_lo, exec_lo, s0
	s_delay_alu instid0(SALU_CYCLE_1)
	s_and_not1_b32 vcc_lo, exec_lo, s1
	s_cbranch_vccnz .LBB7_69
.LBB7_66:                               ;   in Loop: Header=BB7_3 Depth=1
	v_sub_nc_u64_e32 v[6:7], 1, v[10:11]
	v_sub_nc_u64_e32 v[28:29], 2, v[10:11]
	;; [unrolled: 1-line block ×3, first 2 shown]
	v_mad_nc_u64_u32 v[44:45], s70, v10, v[0:1]
	s_delay_alu instid0(VALU_DEP_4) | instskip(NEXT) | instid1(VALU_DEP_4)
	v_mad_nc_u64_u32 v[46:47], s4, v6, v[0:1]
	v_mad_nc_u64_u32 v[48:49], s4, v28, v[0:1]
	s_delay_alu instid0(VALU_DEP_4) | instskip(NEXT) | instid1(VALU_DEP_4)
	v_mad_nc_u64_u32 v[50:51], s4, v30, v[0:1]
	v_mad_u32 v3, s71, v10, v45
	s_delay_alu instid0(VALU_DEP_4) | instskip(NEXT) | instid1(VALU_DEP_4)
	v_mad_u32 v6, s5, v6, v47
	v_mad_u32 v10, s5, v28, v49
	s_delay_alu instid0(VALU_DEP_4) | instskip(NEXT) | instid1(VALU_DEP_4)
	v_mad_u32 v23, s5, v30, v51
	v_mad_u32 v45, s70, v11, v3
	s_delay_alu instid0(VALU_DEP_4) | instskip(NEXT) | instid1(VALU_DEP_4)
	v_mad_u32 v47, s4, v7, v6
	v_mad_u32 v49, s4, v29, v10
	s_delay_alu instid0(VALU_DEP_4) | instskip(NEXT) | instid1(VALU_DEP_4)
	v_mad_u32 v51, s4, v31, v23
	v_mul_u64_e32 v[6:7], s[44:45], v[44:45]
	v_mul_u64_e32 v[10:11], s[48:49], v[44:45]
	;; [unrolled: 1-line block ×8, first 2 shown]
	v_lshl_add_u64 v[6:7], v[6:7], 2, s[40:41]
	v_lshl_add_u64 v[52:53], v[10:11], 2, s[46:47]
	;; [unrolled: 1-line block ×8, first 2 shown]
	s_clause 0x3
	global_load_b32 v29, v[6:7], off
	global_load_b32 v23, v[10:11], off
	;; [unrolled: 1-line block ×4, first 2 shown]
	s_clause 0x3
	global_load_b32 v11, v[52:53], off
	global_load_b32 v7, v[46:47], off
	;; [unrolled: 1-line block ×4, first 2 shown]
	s_branch .LBB7_70
.LBB7_67:                               ;   in Loop: Header=BB7_3 Depth=1
	s_ashr_i32 s80, s61, 31
	v_dual_mov_b32 v7, v6 :: v_dual_mov_b32 v29, v2
	s_mov_b32 s81, s80
	v_mov_b32_e32 v49, v2
	s_add_nc_u64 s[82:83], s[60:61], s[80:81]
	s_delay_alu instid0(VALU_DEP_2)
	v_add_nc_u64_e32 v[26:27], v[0:1], v[6:7]
	s_xor_b64 s[82:83], s[82:83], s[80:81]
	v_mov_b32_e32 v45, v2
	s_cvt_f32_u32 s0, s82
	s_cvt_f32_u32 s2, s83
	s_sub_nc_u64 s[88:89], 0, s[82:83]
	s_delay_alu instid0(VALU_DEP_2) | instskip(NEXT) | instid1(SALU_CYCLE_1)
	v_xor_b32_e32 v44, v27, v6
	s_fmamk_f32 s0, s2, 0x4f800000, s0
	v_xor_b32_e32 v28, v26, v6
	v_xor_b32_e32 v6, s80, v6
	s_delay_alu instid0(SALU_CYCLE_1) | instskip(NEXT) | instid1(TRANS32_DEP_1)
	v_s_rcp_f32 s0, s0
	s_mul_f32 s0, s0, 0x5f7ffffc
	s_delay_alu instid0(SALU_CYCLE_3) | instskip(NEXT) | instid1(SALU_CYCLE_3)
	s_mul_f32 s2, s0, 0x2f800000
	s_trunc_f32 s2, s2
	s_delay_alu instid0(SALU_CYCLE_3) | instskip(SKIP_1) | instid1(SALU_CYCLE_2)
	s_fmamk_f32 s0, s2, 0xcf800000, s0
	s_cvt_u32_f32 s87, s2
	s_cvt_u32_f32 s86, s0
	s_delay_alu instid0(SALU_CYCLE_3) | instskip(NEXT) | instid1(SALU_CYCLE_1)
	s_mul_u64 s[90:91], s[88:89], s[86:87]
	s_mul_hi_u32 s93, s86, s91
	s_mul_i32 s92, s86, s91
	s_mul_hi_u32 s2, s86, s90
	s_mul_i32 s81, s87, s90
	s_add_nc_u64 s[92:93], s[2:3], s[92:93]
	s_mul_hi_u32 s0, s87, s90
	s_mul_hi_u32 s94, s87, s91
	s_add_co_u32 s2, s92, s81
	s_add_co_ci_u32 s2, s93, s0
	s_mul_i32 s90, s87, s91
	s_add_co_ci_u32 s91, s94, 0
	s_delay_alu instid0(SALU_CYCLE_1) | instskip(NEXT) | instid1(SALU_CYCLE_1)
	s_add_nc_u64 s[90:91], s[2:3], s[90:91]
	s_add_co_u32 s86, s86, s90
	s_cselect_b32 s0, -1, 0
	s_delay_alu instid0(SALU_CYCLE_1) | instskip(SKIP_1) | instid1(SALU_CYCLE_1)
	s_cmp_lg_u32 s0, 0
	s_add_co_ci_u32 s87, s87, s91
	s_mul_u64 s[88:89], s[88:89], s[86:87]
	s_delay_alu instid0(SALU_CYCLE_1)
	s_mul_hi_u32 s91, s86, s89
	s_mul_i32 s90, s86, s89
	s_mul_hi_u32 s2, s86, s88
	s_mul_i32 s81, s87, s88
	s_add_nc_u64 s[90:91], s[2:3], s[90:91]
	s_mul_hi_u32 s0, s87, s88
	s_mul_hi_u32 s92, s87, s89
	s_add_co_u32 s2, s90, s81
	s_add_co_ci_u32 s2, s91, s0
	s_mul_i32 s88, s87, s89
	s_add_co_ci_u32 s89, s92, 0
	s_delay_alu instid0(SALU_CYCLE_1) | instskip(NEXT) | instid1(SALU_CYCLE_1)
	s_add_nc_u64 s[88:89], s[2:3], s[88:89]
	s_add_co_u32 s0, s86, s88
	s_cselect_b32 s2, -1, 0
	v_nop
	v_mul_hi_u32 v48, v28, s0
	s_cmp_lg_u32 s2, 0
	s_add_co_ci_u32 s2, s87, s89
	s_and_b64 s[86:87], s[0:1], s[74:75]
	v_mul_u64_e32 v[30:31], s[2:3], v[28:29]
	v_mul_u64_e32 v[26:27], s[86:87], v[44:45]
	;; [unrolled: 1-line block ×3, first 2 shown]
	s_delay_alu instid0(VALU_DEP_3) | instskip(NEXT) | instid1(VALU_DEP_1)
	v_add_nc_u64_e32 v[30:31], v[48:49], v[30:31]
	v_add_co_u32 v3, vcc_lo, v30, v26
	s_delay_alu instid0(VALU_DEP_2) | instskip(NEXT) | instid1(VALU_DEP_4)
	v_add_co_ci_u32_e32 v48, vcc_lo, v31, v27, vcc_lo
	v_add_co_ci_u32_e32 v47, vcc_lo, 0, v47, vcc_lo
	s_delay_alu instid0(VALU_DEP_1) | instskip(NEXT) | instid1(VALU_DEP_1)
	v_add_nc_u64_e32 v[26:27], v[48:49], v[46:47]
	v_mul_u64_e32 v[30:31], s[82:83], v[26:27]
	s_delay_alu instid0(VALU_DEP_1) | instskip(NEXT) | instid1(VALU_DEP_2)
	v_sub_nc_u32_e32 v3, v44, v31
	v_sub_co_u32 v7, vcc_lo, v28, v30
	s_delay_alu instid0(VALU_DEP_1) | instskip(NEXT) | instid1(VALU_DEP_3)
	v_sub_co_ci_u32_e64 v43, null, v44, v31, vcc_lo
	v_subrev_co_ci_u32_e64 v3, null, s83, v3, vcc_lo
	s_delay_alu instid0(VALU_DEP_3) | instskip(SKIP_1) | instid1(VALU_DEP_3)
	v_sub_co_u32 v23, s0, v7, s82
	v_add_nc_u64_e32 v[30:31], 1, v[26:27]
	v_subrev_co_ci_u32_e64 v3, null, 0, v3, s0
	s_delay_alu instid0(VALU_DEP_3) | instskip(SKIP_1) | instid1(VALU_DEP_3)
	v_cmp_le_u32_e32 vcc_lo, s82, v23
	v_cndmask_b32_e64 v23, 0, -1, vcc_lo
	v_cmp_le_u32_e32 vcc_lo, s83, v3
	v_cndmask_b32_e64 v28, 0, -1, vcc_lo
	;; [unrolled: 2-line block ×4, first 2 shown]
	v_cmp_eq_u32_e32 vcc_lo, s83, v3
	v_cndmask_b32_e32 v3, v28, v23, vcc_lo
	v_cmp_eq_u32_e32 vcc_lo, s83, v43
	v_add_nc_u64_e32 v[28:29], 2, v[26:27]
	v_cndmask_b32_e32 v7, v44, v7, vcc_lo
	s_delay_alu instid0(VALU_DEP_4) | instskip(NEXT) | instid1(VALU_DEP_3)
	v_cmp_ne_u32_e32 vcc_lo, 0, v3
	v_cndmask_b32_e32 v3, v31, v29, vcc_lo
	s_delay_alu instid0(VALU_DEP_3) | instskip(NEXT) | instid1(VALU_DEP_1)
	v_cmp_ne_u32_e64 s0, 0, v7
	v_dual_cndmask_b32 v7, v30, v28, vcc_lo :: v_dual_cndmask_b32 v3, v27, v3, s0
	s_delay_alu instid0(VALU_DEP_1) | instskip(NEXT) | instid1(VALU_DEP_2)
	v_cndmask_b32_e64 v23, v26, v7, s0
	v_dual_mov_b32 v7, v6 :: v_dual_bitop2_b32 v27, v3, v6 bitop3:0x14
	s_delay_alu instid0(VALU_DEP_2) | instskip(NEXT) | instid1(VALU_DEP_1)
	v_xor_b32_e32 v26, v23, v6
	v_sub_nc_u64_e32 v[26:27], v[26:27], v[6:7]
	s_and_not1_saveexec_b32 s0, s85
	s_cbranch_execz .LBB7_65
.LBB7_68:                               ;   in Loop: Header=BB7_3 Depth=1
	v_cvt_f32_u32_e32 v3, s60
	s_sub_co_i32 s2, 0, s60
	v_mov_b32_e32 v27, v2
	s_delay_alu instid0(VALU_DEP_2) | instskip(SKIP_1) | instid1(TRANS32_DEP_1)
	v_rcp_iflag_f32_e32 v3, v3
	v_nop
	v_mul_f32_e32 v3, 0x4f7ffffe, v3
	s_delay_alu instid0(VALU_DEP_1) | instskip(NEXT) | instid1(VALU_DEP_1)
	v_cvt_u32_f32_e32 v3, v3
	v_mul_lo_u32 v6, s2, v3
	s_delay_alu instid0(VALU_DEP_1) | instskip(NEXT) | instid1(VALU_DEP_1)
	v_mul_hi_u32 v6, v3, v6
	v_add_nc_u32_e32 v3, v3, v6
	s_delay_alu instid0(VALU_DEP_1) | instskip(NEXT) | instid1(VALU_DEP_1)
	v_mul_hi_u32 v3, v0, v3
	v_mul_lo_u32 v6, v3, s60
	s_delay_alu instid0(VALU_DEP_1) | instskip(NEXT) | instid1(VALU_DEP_1)
	v_dual_add_nc_u32 v7, 1, v3 :: v_dual_sub_nc_u32 v6, v0, v6
	v_subrev_nc_u32_e32 v23, s60, v6
	v_cmp_le_u32_e32 vcc_lo, s60, v6
	s_delay_alu instid0(VALU_DEP_2) | instskip(NEXT) | instid1(VALU_DEP_4)
	v_cndmask_b32_e32 v6, v6, v23, vcc_lo
	v_cndmask_b32_e32 v3, v3, v7, vcc_lo
	s_delay_alu instid0(VALU_DEP_2) | instskip(NEXT) | instid1(VALU_DEP_2)
	v_cmp_le_u32_e32 vcc_lo, s60, v6
	v_add_nc_u32_e32 v7, 1, v3
	s_delay_alu instid0(VALU_DEP_1) | instskip(SKIP_1) | instid1(SALU_CYCLE_1)
	v_cndmask_b32_e32 v26, v3, v7, vcc_lo
	s_or_b32 exec_lo, exec_lo, s0
	s_and_not1_b32 vcc_lo, exec_lo, s1
	s_cbranch_vccz .LBB7_66
.LBB7_69:                               ;   in Loop: Header=BB7_3 Depth=1
	v_dual_mov_b32 v7, 0 :: v_dual_mov_b32 v6, 0
	v_dual_mov_b32 v28, 0 :: v_dual_mov_b32 v11, 0
	;; [unrolled: 1-line block ×4, first 2 shown]
.LBB7_70:                               ;   in Loop: Header=BB7_3 Depth=1
	s_wait_loadcnt 0x2
	s_wait_xcnt 0x5
	v_add_f32_e32 v30, v37, v41
	s_delay_alu instid0(VALU_DEP_1) | instskip(SKIP_1) | instid1(VALU_DEP_1)
	v_add_f32_e32 v10, v30, v10
	s_wait_loadcnt 0x1
	v_add_f32_e32 v6, v6, v10
                                        ; implicit-def: $vgpr10
	s_delay_alu instid0(VALU_DEP_1) | instskip(SKIP_2) | instid1(SALU_CYCLE_1)
	v_cmp_ngt_f32_e64 s0, 0x3f200000, |v6|
	s_wait_xcnt 0x0
	s_and_saveexec_b32 s2, s0
	s_xor_b32 s0, exec_lo, s2
	s_cbranch_execz .LBB7_72
; %bb.71:                               ;   in Loop: Header=BB7_3 Depth=1
	v_add_f32_e64 v10, |v6|, |v6|
	s_delay_alu instid0(VALU_DEP_1) | instskip(SKIP_1) | instid1(VALU_DEP_2)
	v_mul_f32_e32 v30, 0x3fb8aa3b, v10
	v_cmp_ngt_f32_e32 vcc_lo, 0xc2ce8ed0, v10
	v_rndne_f32_e32 v31, v30
	v_fma_f32 v37, 0x3fb8aa3b, v10, -v30
	s_delay_alu instid0(VALU_DEP_1) | instskip(SKIP_1) | instid1(VALU_DEP_2)
	v_dual_sub_f32 v30, v30, v31 :: v_dual_fmac_f32 v37, 0x32a5705f, v10
	v_cvt_i32_f32_e32 v31, v31
	v_add_f32_e32 v30, v30, v37
	s_delay_alu instid0(VALU_DEP_1) | instskip(SKIP_1) | instid1(TRANS32_DEP_1)
	v_exp_f32_e32 v30, v30
	v_nop
	v_ldexp_f32 v30, v30, v31
	s_delay_alu instid0(VALU_DEP_1) | instskip(SKIP_1) | instid1(VALU_DEP_2)
	v_cndmask_b32_e32 v30, 0, v30, vcc_lo
	v_cmp_nlt_f32_e32 vcc_lo, 0x42b17218, v10
	v_cndmask_b32_e32 v10, 0x7f800000, v30, vcc_lo
	s_delay_alu instid0(VALU_DEP_1) | instskip(NEXT) | instid1(VALU_DEP_1)
	v_add_f32_e32 v10, 1.0, v10
	v_rcp_f32_e32 v10, v10
	v_nop
	s_delay_alu instid0(TRANS32_DEP_1)
	v_fma_f32 v10, v10, -2.0, 1.0
.LBB7_72:                               ;   in Loop: Header=BB7_3 Depth=1
	s_and_not1_saveexec_b32 s0, s0
	s_cbranch_execz .LBB7_74
; %bb.73:                               ;   in Loop: Header=BB7_3 Depth=1
	v_mul_f32_e32 v10, v6, v6
	s_delay_alu instid0(VALU_DEP_1) | instskip(NEXT) | instid1(VALU_DEP_1)
	v_fmaak_f32 v30, s33, v10, 0x3ca908c9
	v_fmaak_f32 v30, v10, v30, 0xbd5c1c4e
	s_delay_alu instid0(VALU_DEP_1) | instskip(NEXT) | instid1(VALU_DEP_1)
	v_fmaak_f32 v30, v10, v30, 0x3e088382
	v_fmaak_f32 v30, v10, v30, 0xbeaaaa99
	s_delay_alu instid0(VALU_DEP_1) | instskip(NEXT) | instid1(VALU_DEP_1)
	v_mul_f32_e64 v30, |v6|, v30
	v_fma_f32 v10, v10, v30, |v6|
.LBB7_74:                               ;   in Loop: Header=BB7_3 Depth=1
	s_or_b32 exec_lo, exec_lo, s0
	v_dual_add_f32 v30, v35, v39 :: v_dual_add_f32 v31, v36, v40
	s_delay_alu instid0(VALU_DEP_1) | instskip(NEXT) | instid1(VALU_DEP_1)
	v_dual_add_f32 v29, v30, v29 :: v_dual_add_f32 v23, v31, v23
	v_add_f32_e32 v11, v11, v29
	s_delay_alu instid0(VALU_DEP_2) | instskip(NEXT) | instid1(VALU_DEP_1)
	v_add_f32_e32 v7, v7, v23
	v_mul_f32_e32 v29, 0xbfb8aa3b, v7
	s_delay_alu instid0(VALU_DEP_1) | instskip(SKIP_1) | instid1(VALU_DEP_2)
	v_rndne_f32_e32 v36, v29
	v_fma_f32 v35, 0xbfb8aa3b, v7, -v29
	v_sub_f32_e32 v29, v29, v36
	v_mul_f32_e32 v23, 0xbfb8aa3b, v11
	v_cmp_nlt_f32_e32 vcc_lo, 0x42ce8ed0, v11
	s_delay_alu instid0(VALU_DEP_2) | instskip(SKIP_1) | instid1(VALU_DEP_2)
	v_fma_f32 v30, 0xbfb8aa3b, v11, -v23
	v_rndne_f32_e32 v31, v23
	v_fmac_f32_e32 v30, 0xb2a5705f, v11
	s_delay_alu instid0(VALU_DEP_2) | instskip(NEXT) | instid1(VALU_DEP_1)
	v_sub_f32_e32 v23, v23, v31
	v_add_f32_e32 v23, v23, v30
	v_cvt_i32_f32_e32 v30, v31
	v_cvt_i32_f32_e32 v31, v36
	s_delay_alu instid0(VALU_DEP_3) | instskip(SKIP_1) | instid1(TRANS32_DEP_1)
	v_exp_f32_e32 v23, v23
	v_nop
	v_ldexp_f32 v23, v23, v30
	s_delay_alu instid0(VALU_DEP_1) | instskip(SKIP_2) | instid1(VALU_DEP_2)
	v_cndmask_b32_e32 v23, 0, v23, vcc_lo
	v_fmac_f32_e32 v35, 0xb2a5705f, v7
	v_cmp_nlt_f32_e32 vcc_lo, 0x42ce8ed0, v7
	v_add_f32_e32 v29, v29, v35
	s_delay_alu instid0(VALU_DEP_1) | instskip(SKIP_1) | instid1(TRANS32_DEP_1)
	v_exp_f32_e32 v29, v29
	v_nop
	v_ldexp_f32 v29, v29, v31
	s_delay_alu instid0(VALU_DEP_1) | instskip(SKIP_3) | instid1(VALU_DEP_4)
	v_cndmask_b32_e32 v29, 0, v29, vcc_lo
	v_cmp_ngt_f32_e32 vcc_lo, 0xc2b17218, v11
	v_cndmask_b32_e32 v31, 0x7f800000, v23, vcc_lo
	v_cmp_ngt_f32_e32 vcc_lo, 0xc2b17218, v7
	v_cndmask_b32_e32 v30, 0x7f800000, v29, vcc_lo
	s_delay_alu instid0(VALU_DEP_1) | instskip(NEXT) | instid1(VALU_DEP_1)
	v_pk_add_f32 v[30:31], v[30:31], 1.0 op_sel_hi:[1,0]
	v_div_scale_f32 v7, null, v31, v31, 1.0
	s_delay_alu instid0(VALU_DEP_2) | instskip(SKIP_1) | instid1(VALU_DEP_3)
	v_div_scale_f32 v11, null, v30, v30, 1.0
	v_div_scale_f32 v37, vcc_lo, 1.0, v31, 1.0
	v_rcp_f32_e32 v23, v7
	s_delay_alu instid0(VALU_DEP_2) | instskip(NEXT) | instid1(TRANS32_DEP_2)
	v_rcp_f32_e32 v29, v11
	v_fma_f32 v35, -v7, v23, 1.0
	s_delay_alu instid0(TRANS32_DEP_1) | instskip(NEXT) | instid1(VALU_DEP_1)
	v_fma_f32 v36, -v11, v29, 1.0
	v_dual_fmac_f32 v23, v35, v23 :: v_dual_fmac_f32 v29, v36, v29
	v_div_scale_f32 v35, s0, 1.0, v30, 1.0
	s_delay_alu instid0(VALU_DEP_2) | instskip(NEXT) | instid1(VALU_DEP_1)
	v_mul_f32_e32 v36, v37, v23
	v_fma_f32 v40, -v7, v36, v37
	s_delay_alu instid0(VALU_DEP_1) | instskip(NEXT) | instid1(VALU_DEP_1)
	v_dual_mul_f32 v39, v35, v29 :: v_dual_fmac_f32 v36, v40, v23
	v_fma_f32 v41, -v11, v39, v35
	s_delay_alu instid0(VALU_DEP_1) | instskip(NEXT) | instid1(VALU_DEP_1)
	v_dual_fma_f32 v7, -v7, v36, v37 :: v_dual_fmac_f32 v39, v41, v29
	v_div_fmas_f32 v7, v7, v23, v36
	s_delay_alu instid0(VALU_DEP_2) | instskip(SKIP_2) | instid1(VALU_DEP_3)
	v_fma_f32 v11, -v11, v39, v35
	s_mov_b32 vcc_lo, s0
	v_bfi_b32 v23, 0x7fffffff, v10, v6
	v_div_fixup_f32 v7, v7, v31, 1.0
	s_delay_alu instid0(VALU_DEP_3) | instskip(NEXT) | instid1(VALU_DEP_2)
	v_div_fmas_f32 v11, v11, v29, v39
	v_mul_f32_e32 v10, v23, v7
	s_delay_alu instid0(VALU_DEP_2) | instskip(SKIP_1) | instid1(VALU_DEP_1)
	v_div_fixup_f32 v6, v11, v30, 1.0
	s_wait_loadcnt 0x0
	v_pk_fma_f32 v[10:11], v[22:23], v[6:7], v[10:11] op_sel_hi:[1,1,0]
                                        ; implicit-def: $vgpr11
	s_delay_alu instid0(VALU_DEP_1) | instskip(SKIP_1) | instid1(SALU_CYCLE_1)
	v_cmp_ngt_f32_e64 s0, 0x3f200000, |v10|
	s_and_saveexec_b32 s2, s0
	s_xor_b32 s0, exec_lo, s2
	s_cbranch_execz .LBB7_76
; %bb.75:                               ;   in Loop: Header=BB7_3 Depth=1
	v_add_f32_e64 v11, |v10|, |v10|
	s_delay_alu instid0(VALU_DEP_1) | instskip(SKIP_1) | instid1(VALU_DEP_2)
	v_mul_f32_e32 v22, 0x3fb8aa3b, v11
	v_cmp_ngt_f32_e32 vcc_lo, 0xc2ce8ed0, v11
	v_rndne_f32_e32 v29, v22
	v_fma_f32 v30, 0x3fb8aa3b, v11, -v22
	s_delay_alu instid0(VALU_DEP_2) | instskip(NEXT) | instid1(VALU_DEP_2)
	v_sub_f32_e32 v22, v22, v29
	v_fmac_f32_e32 v30, 0x32a5705f, v11
	v_cvt_i32_f32_e32 v29, v29
	s_delay_alu instid0(VALU_DEP_2) | instskip(NEXT) | instid1(VALU_DEP_1)
	v_add_f32_e32 v22, v22, v30
	v_exp_f32_e32 v22, v22
	v_nop
	s_delay_alu instid0(TRANS32_DEP_1) | instskip(NEXT) | instid1(VALU_DEP_1)
	v_ldexp_f32 v22, v22, v29
	v_cndmask_b32_e32 v22, 0, v22, vcc_lo
	v_cmp_nlt_f32_e32 vcc_lo, 0x42b17218, v11
	s_delay_alu instid0(VALU_DEP_2) | instskip(NEXT) | instid1(VALU_DEP_1)
	v_cndmask_b32_e32 v11, 0x7f800000, v22, vcc_lo
	v_add_f32_e32 v11, 1.0, v11
	s_delay_alu instid0(VALU_DEP_1) | instskip(SKIP_1) | instid1(TRANS32_DEP_1)
	v_rcp_f32_e32 v11, v11
	v_nop
	v_fma_f32 v11, v11, -2.0, 1.0
.LBB7_76:                               ;   in Loop: Header=BB7_3 Depth=1
	s_and_not1_saveexec_b32 s0, s0
	s_cbranch_execz .LBB7_2
; %bb.77:                               ;   in Loop: Header=BB7_3 Depth=1
	v_mul_f32_e32 v11, v10, v10
	s_delay_alu instid0(VALU_DEP_1) | instskip(NEXT) | instid1(VALU_DEP_1)
	v_fmaak_f32 v22, s33, v11, 0x3ca908c9
	v_fmaak_f32 v22, v11, v22, 0xbd5c1c4e
	s_delay_alu instid0(VALU_DEP_1) | instskip(NEXT) | instid1(VALU_DEP_1)
	v_fmaak_f32 v22, v11, v22, 0x3e088382
	v_fmaak_f32 v22, v11, v22, 0xbeaaaa99
	s_delay_alu instid0(VALU_DEP_1) | instskip(NEXT) | instid1(VALU_DEP_1)
	v_mul_f32_e64 v22, |v10|, v22
	v_fma_f32 v11, v11, v22, |v10|
	s_branch .LBB7_2
.LBB7_78:
	s_endpgm
	.section	.rodata,"a",@progbits
	.p2align	6, 0x0
	.amdhsa_kernel _ZN2at6native12_GLOBAL__N_16kernel17lstm_cell_forwardIfflLi2EEEvNS_4cuda6detail10TensorInfoIT_T1_EES9_S9_S9_S9_S9_S9_S9_S8_S8_
		.amdhsa_group_segment_fixed_size 0
		.amdhsa_private_segment_fixed_size 0
		.amdhsa_kernarg_size 3600
		.amdhsa_user_sgpr_count 2
		.amdhsa_user_sgpr_dispatch_ptr 0
		.amdhsa_user_sgpr_queue_ptr 0
		.amdhsa_user_sgpr_kernarg_segment_ptr 1
		.amdhsa_user_sgpr_dispatch_id 0
		.amdhsa_user_sgpr_kernarg_preload_length 0
		.amdhsa_user_sgpr_kernarg_preload_offset 0
		.amdhsa_user_sgpr_private_segment_size 0
		.amdhsa_wavefront_size32 1
		.amdhsa_uses_dynamic_stack 0
		.amdhsa_enable_private_segment 0
		.amdhsa_system_sgpr_workgroup_id_x 1
		.amdhsa_system_sgpr_workgroup_id_y 0
		.amdhsa_system_sgpr_workgroup_id_z 0
		.amdhsa_system_sgpr_workgroup_info 0
		.amdhsa_system_vgpr_workitem_id 0
		.amdhsa_next_free_vgpr 54
		.amdhsa_next_free_sgpr 95
		.amdhsa_named_barrier_count 0
		.amdhsa_reserve_vcc 1
		.amdhsa_float_round_mode_32 0
		.amdhsa_float_round_mode_16_64 0
		.amdhsa_float_denorm_mode_32 3
		.amdhsa_float_denorm_mode_16_64 3
		.amdhsa_fp16_overflow 0
		.amdhsa_memory_ordered 1
		.amdhsa_forward_progress 1
		.amdhsa_inst_pref_size 116
		.amdhsa_round_robin_scheduling 0
		.amdhsa_exception_fp_ieee_invalid_op 0
		.amdhsa_exception_fp_denorm_src 0
		.amdhsa_exception_fp_ieee_div_zero 0
		.amdhsa_exception_fp_ieee_overflow 0
		.amdhsa_exception_fp_ieee_underflow 0
		.amdhsa_exception_fp_ieee_inexact 0
		.amdhsa_exception_int_div_zero 0
	.end_amdhsa_kernel
	.section	.text._ZN2at6native12_GLOBAL__N_16kernel17lstm_cell_forwardIfflLi2EEEvNS_4cuda6detail10TensorInfoIT_T1_EES9_S9_S9_S9_S9_S9_S9_S8_S8_,"axG",@progbits,_ZN2at6native12_GLOBAL__N_16kernel17lstm_cell_forwardIfflLi2EEEvNS_4cuda6detail10TensorInfoIT_T1_EES9_S9_S9_S9_S9_S9_S9_S8_S8_,comdat
.Lfunc_end7:
	.size	_ZN2at6native12_GLOBAL__N_16kernel17lstm_cell_forwardIfflLi2EEEvNS_4cuda6detail10TensorInfoIT_T1_EES9_S9_S9_S9_S9_S9_S9_S8_S8_, .Lfunc_end7-_ZN2at6native12_GLOBAL__N_16kernel17lstm_cell_forwardIfflLi2EEEvNS_4cuda6detail10TensorInfoIT_T1_EES9_S9_S9_S9_S9_S9_S9_S8_S8_
                                        ; -- End function
	.set _ZN2at6native12_GLOBAL__N_16kernel17lstm_cell_forwardIfflLi2EEEvNS_4cuda6detail10TensorInfoIT_T1_EES9_S9_S9_S9_S9_S9_S9_S8_S8_.num_vgpr, 54
	.set _ZN2at6native12_GLOBAL__N_16kernel17lstm_cell_forwardIfflLi2EEEvNS_4cuda6detail10TensorInfoIT_T1_EES9_S9_S9_S9_S9_S9_S9_S8_S8_.num_agpr, 0
	.set _ZN2at6native12_GLOBAL__N_16kernel17lstm_cell_forwardIfflLi2EEEvNS_4cuda6detail10TensorInfoIT_T1_EES9_S9_S9_S9_S9_S9_S9_S8_S8_.numbered_sgpr, 95
	.set _ZN2at6native12_GLOBAL__N_16kernel17lstm_cell_forwardIfflLi2EEEvNS_4cuda6detail10TensorInfoIT_T1_EES9_S9_S9_S9_S9_S9_S9_S8_S8_.num_named_barrier, 0
	.set _ZN2at6native12_GLOBAL__N_16kernel17lstm_cell_forwardIfflLi2EEEvNS_4cuda6detail10TensorInfoIT_T1_EES9_S9_S9_S9_S9_S9_S9_S8_S8_.private_seg_size, 0
	.set _ZN2at6native12_GLOBAL__N_16kernel17lstm_cell_forwardIfflLi2EEEvNS_4cuda6detail10TensorInfoIT_T1_EES9_S9_S9_S9_S9_S9_S9_S8_S8_.uses_vcc, 1
	.set _ZN2at6native12_GLOBAL__N_16kernel17lstm_cell_forwardIfflLi2EEEvNS_4cuda6detail10TensorInfoIT_T1_EES9_S9_S9_S9_S9_S9_S9_S8_S8_.uses_flat_scratch, 0
	.set _ZN2at6native12_GLOBAL__N_16kernel17lstm_cell_forwardIfflLi2EEEvNS_4cuda6detail10TensorInfoIT_T1_EES9_S9_S9_S9_S9_S9_S9_S8_S8_.has_dyn_sized_stack, 0
	.set _ZN2at6native12_GLOBAL__N_16kernel17lstm_cell_forwardIfflLi2EEEvNS_4cuda6detail10TensorInfoIT_T1_EES9_S9_S9_S9_S9_S9_S9_S8_S8_.has_recursion, 0
	.set _ZN2at6native12_GLOBAL__N_16kernel17lstm_cell_forwardIfflLi2EEEvNS_4cuda6detail10TensorInfoIT_T1_EES9_S9_S9_S9_S9_S9_S9_S8_S8_.has_indirect_call, 0
	.section	.AMDGPU.csdata,"",@progbits
; Kernel info:
; codeLenInByte = 14792
; TotalNumSgprs: 97
; NumVgprs: 54
; ScratchSize: 0
; MemoryBound: 0
; FloatMode: 240
; IeeeMode: 1
; LDSByteSize: 0 bytes/workgroup (compile time only)
; SGPRBlocks: 0
; VGPRBlocks: 3
; NumSGPRsForWavesPerEU: 97
; NumVGPRsForWavesPerEU: 54
; NamedBarCnt: 0
; Occupancy: 16
; WaveLimiterHint : 1
; COMPUTE_PGM_RSRC2:SCRATCH_EN: 0
; COMPUTE_PGM_RSRC2:USER_SGPR: 2
; COMPUTE_PGM_RSRC2:TRAP_HANDLER: 0
; COMPUTE_PGM_RSRC2:TGID_X_EN: 1
; COMPUTE_PGM_RSRC2:TGID_Y_EN: 0
; COMPUTE_PGM_RSRC2:TGID_Z_EN: 0
; COMPUTE_PGM_RSRC2:TIDIG_COMP_CNT: 0
	.section	.text._ZN2at6native12_GLOBAL__N_16kernel17lstm_cell_forwardIN3c104HalfEfiLi1EEEvNS_4cuda6detail10TensorInfoIT_T1_EESB_SB_SB_SB_SB_SB_SB_SA_SA_,"axG",@progbits,_ZN2at6native12_GLOBAL__N_16kernel17lstm_cell_forwardIN3c104HalfEfiLi1EEEvNS_4cuda6detail10TensorInfoIT_T1_EESB_SB_SB_SB_SB_SB_SB_SA_SA_,comdat
	.globl	_ZN2at6native12_GLOBAL__N_16kernel17lstm_cell_forwardIN3c104HalfEfiLi1EEEvNS_4cuda6detail10TensorInfoIT_T1_EESB_SB_SB_SB_SB_SB_SB_SA_SA_ ; -- Begin function _ZN2at6native12_GLOBAL__N_16kernel17lstm_cell_forwardIN3c104HalfEfiLi1EEEvNS_4cuda6detail10TensorInfoIT_T1_EESB_SB_SB_SB_SB_SB_SB_SA_SA_
	.p2align	8
	.type	_ZN2at6native12_GLOBAL__N_16kernel17lstm_cell_forwardIN3c104HalfEfiLi1EEEvNS_4cuda6detail10TensorInfoIT_T1_EESB_SB_SB_SB_SB_SB_SB_SA_SA_,@function
_ZN2at6native12_GLOBAL__N_16kernel17lstm_cell_forwardIN3c104HalfEfiLi1EEEvNS_4cuda6detail10TensorInfoIT_T1_EESB_SB_SB_SB_SB_SB_SB_SA_SA_: ; @_ZN2at6native12_GLOBAL__N_16kernel17lstm_cell_forwardIN3c104HalfEfiLi1EEEvNS_4cuda6detail10TensorInfoIT_T1_EESB_SB_SB_SB_SB_SB_SB_SA_SA_
; %bb.0:
	s_clause 0x1
	s_load_b32 s4, s[0:1], 0x6d4
	s_load_b64 s[2:3], s[0:1], 0x6c0
	s_bfe_u32 s5, ttmp6, 0x4000c
	s_and_b32 s6, ttmp6, 15
	s_add_co_i32 s5, s5, 1
	s_getreg_b32 s7, hwreg(HW_REG_IB_STS2, 6, 4)
	s_mul_i32 s5, ttmp9, s5
	s_delay_alu instid0(SALU_CYCLE_1)
	s_add_co_i32 s6, s6, s5
	s_wait_kmcnt 0x0
	s_and_b32 s4, s4, 0xffff
	s_cmp_eq_u32 s7, 0
	s_cselect_b32 s5, ttmp9, s6
	s_mov_b32 s6, exec_lo
	v_mad_u32 v8, s5, s4, v0
	s_mov_b32 s5, 0
	s_delay_alu instid0(VALU_DEP_1)
	v_cmpx_gt_i32_e64 s3, v8
	s_cbranch_execz .LBB8_13
; %bb.1:
	s_clause 0x6
	s_load_b64 s[6:7], s[0:1], 0x1b0
	s_load_b32 s36, s[0:1], 0x57c
	s_load_b32 s22, s[0:1], 0x21c
	s_load_b64 s[8:9], s[0:1], 0x288
	s_load_b32 s23, s[0:1], 0x2f4
	s_load_b32 s34, s[0:1], 0x3cc
	;; [unrolled: 1-line block ×3, first 2 shown]
	s_add_nc_u64 s[10:11], s[0:1], 0x6c8
	v_mov_b32_e32 v1, 0
	s_load_b32 s30, s[10:11], 0x0
	s_wait_xcnt 0x0
	s_clause 0x1
	s_load_b64 s[10:11], s[0:1], 0x360
	s_load_b64 s[12:13], s[0:1], 0x438
	s_mov_b32 s29, 0xbbbac73d
	s_mov_b32 s37, s5
	s_wait_kmcnt 0x0
	s_cmp_lg_u64 s[6:7], 0
	v_mul_lo_u32 v9, v8, s34
	s_cselect_b32 s24, -1, 0
	s_abs_i32 s25, s2
	v_mul_lo_u32 v10, v8, s35
	s_cvt_f32_u32 s14, s25
	v_mul_lo_u32 v11, v8, s36
	s_mul_i32 s30, s30, s4
	s_sub_co_i32 s4, 0, s25
	v_rcp_iflag_f32_e32 v0, s14
	s_clause 0x6
	s_load_b64 s[14:15], s[0:1], 0x0
	s_load_b32 s26, s[0:1], 0x6c
	s_load_b64 s[16:17], s[0:1], 0xd8
	s_load_b32 s27, s[0:1], 0x144
	s_load_b64 s[18:19], s[0:1], 0x510
	s_load_b64 s[20:21], s[0:1], 0x5e8
	s_load_b32 s28, s[0:1], 0x654
	s_wait_xcnt 0x0
	s_mul_i32 s1, s2, 3
	s_ashr_i32 s31, s2, 31
	s_sub_co_i32 s33, 0, s2
	s_mul_i32 s34, s30, s34
	s_mul_i32 s35, s30, s35
	v_nop
	v_readfirstlane_b32 s0, v0
	s_mul_i32 s36, s30, s36
	s_mul_f32 s0, s0, 0x4f7ffffe
	s_delay_alu instid0(SALU_CYCLE_3) | instskip(NEXT) | instid1(SALU_CYCLE_3)
	s_cvt_u32_f32 s0, s0
	s_mul_i32 s4, s4, s0
	s_delay_alu instid0(SALU_CYCLE_1) | instskip(NEXT) | instid1(SALU_CYCLE_1)
	s_mul_hi_u32 s4, s0, s4
	s_add_co_i32 s4, s0, s4
	s_branch .LBB8_3
.LBB8_2:                                ;   in Loop: Header=BB8_3 Depth=1
	s_or_b32 exec_lo, exec_lo, s0
	v_cvt_f32_f16_e32 v7, v15
	v_cvt_f32_f16_e32 v15, v16
	v_bfi_b32 v4, 0x7fffffff, v4, v6
	v_mul_lo_u32 v13, v13, s28
	v_mul_lo_u32 v14, v14, s28
	;; [unrolled: 1-line block ×3, first 2 shown]
	v_add_f32_e32 v7, v7, v15
	v_mul_lo_u32 v12, v12, s28
	v_cvt_f16_f32_e32 v6, v6
	v_cvt_f16_f32_e32 v3, v3
	;; [unrolled: 1-line block ×3, first 2 shown]
	v_add_f32_e32 v7, v7, v18
	v_cvt_f16_f32_e32 v5, v5
	v_dual_add_nc_u32 v8, s30, v8 :: v_dual_add_nc_u32 v9, s34, v9
	s_delay_alu instid0(VALU_DEP_3) | instskip(NEXT) | instid1(VALU_DEP_1)
	v_add_f32_e32 v7, v17, v7
	v_mul_f32_e32 v15, 0xbfb8aa3b, v7
	s_delay_alu instid0(VALU_DEP_1) | instskip(SKIP_1) | instid1(VALU_DEP_1)
	v_fma_f32 v16, 0xbfb8aa3b, v7, -v15
	v_rndne_f32_e32 v17, v15
	v_dual_sub_f32 v15, v15, v17 :: v_dual_fmac_f32 v16, 0xb2a5705f, v7
	v_cmp_nlt_f32_e32 vcc_lo, 0x42ce8ed0, v7
	s_delay_alu instid0(VALU_DEP_2) | instskip(SKIP_1) | instid1(VALU_DEP_2)
	v_add_f32_e32 v15, v15, v16
	v_cvt_i32_f32_e32 v16, v17
	v_exp_f32_e32 v15, v15
	v_nop
	s_delay_alu instid0(TRANS32_DEP_1) | instskip(NEXT) | instid1(VALU_DEP_1)
	v_ldexp_f32 v15, v15, v16
	v_cndmask_b32_e32 v15, 0, v15, vcc_lo
	v_cmp_ngt_f32_e32 vcc_lo, 0xc2b17218, v7
	s_delay_alu instid0(VALU_DEP_2) | instskip(NEXT) | instid1(VALU_DEP_1)
	v_cndmask_b32_e32 v7, 0x7f800000, v15, vcc_lo
	v_add_f32_e32 v7, 1.0, v7
	s_delay_alu instid0(VALU_DEP_1) | instskip(SKIP_1) | instid1(VALU_DEP_2)
	v_div_scale_f32 v15, null, v7, v7, 1.0
	v_div_scale_f32 v18, vcc_lo, 1.0, v7, 1.0
	v_rcp_f32_e32 v16, v15
	v_nop
	s_delay_alu instid0(TRANS32_DEP_1) | instskip(NEXT) | instid1(VALU_DEP_1)
	v_fma_f32 v17, -v15, v16, 1.0
	v_fmac_f32_e32 v16, v17, v16
	s_delay_alu instid0(VALU_DEP_1) | instskip(NEXT) | instid1(VALU_DEP_1)
	v_mul_f32_e32 v17, v18, v16
	v_fma_f32 v19, -v15, v17, v18
	s_delay_alu instid0(VALU_DEP_1) | instskip(NEXT) | instid1(VALU_DEP_1)
	v_fmac_f32_e32 v17, v19, v16
	v_fma_f32 v15, -v15, v17, v18
	s_delay_alu instid0(VALU_DEP_1) | instskip(SKIP_1) | instid1(VALU_DEP_2)
	v_div_fmas_f32 v15, v15, v16, v17
	v_cmp_le_i32_e32 vcc_lo, s3, v8
	v_div_fixup_f32 v7, v15, v7, 1.0
	s_or_b32 s37, vcc_lo, s37
	s_delay_alu instid0(VALU_DEP_1)
	v_fma_mixlo_f16 v4, v7, v4, 0
	global_store_b16 v10, v4, s[12:13] scale_offset
	global_store_b16 v11, v6, s[18:19] scale_offset
	;; [unrolled: 1-line block ×3, first 2 shown]
	s_wait_xcnt 0x1
	v_dual_add_nc_u32 v10, s35, v10 :: v_dual_add_nc_u32 v11, s36, v11
	v_cvt_f16_f32_e32 v7, v7
	s_clause 0x2
	global_store_b16 v14, v2, s[20:21] scale_offset
	global_store_b16 v0, v5, s[20:21] scale_offset
	;; [unrolled: 1-line block ×3, first 2 shown]
	s_wait_xcnt 0x0
	s_and_not1_b32 exec_lo, exec_lo, s37
	s_cbranch_execz .LBB8_13
.LBB8_3:                                ; =>This Inner Loop Header: Depth=1
	v_sub_nc_u32_e32 v0, 0, v8
	s_delay_alu instid0(VALU_DEP_1) | instskip(NEXT) | instid1(VALU_DEP_1)
	v_max_i32_e32 v0, v8, v0
	v_mul_u64_e32 v[2:3], s[4:5], v[0:1]
	s_delay_alu instid0(VALU_DEP_1) | instskip(NEXT) | instid1(VALU_DEP_1)
	v_mul_lo_u32 v2, v3, s25
	v_dual_sub_nc_u32 v0, v0, v2 :: v_dual_add_nc_u32 v2, 1, v3
	s_delay_alu instid0(VALU_DEP_1) | instskip(NEXT) | instid1(VALU_DEP_2)
	v_cmp_le_u32_e32 vcc_lo, s25, v0
	v_dual_cndmask_b32 v2, v3, v2 :: v_dual_ashrrev_i32 v3, 31, v8
	v_subrev_nc_u32_e32 v4, s25, v0
	s_delay_alu instid0(VALU_DEP_1) | instskip(NEXT) | instid1(VALU_DEP_1)
	v_dual_cndmask_b32 v0, v0, v4, vcc_lo :: v_dual_add_nc_u32 v4, 1, v2
	v_cmp_le_u32_e32 vcc_lo, s25, v0
	s_delay_alu instid0(VALU_DEP_2) | instskip(SKIP_1) | instid1(VALU_DEP_1)
	v_dual_cndmask_b32 v0, v2, v4, vcc_lo :: v_dual_bitop2_b32 v24, s31, v3 bitop3:0x14
	s_and_not1_b32 vcc_lo, exec_lo, s24
	v_xor_b32_e32 v25, v0, v24
	v_mul_i32_i24_e32 v0, 3, v24
	s_delay_alu instid0(VALU_DEP_2) | instskip(SKIP_1) | instid1(VALU_DEP_2)
	v_lshl_add_u32 v2, v25, 1, v25
	v_sub_nc_u32_e32 v26, v25, v24
	v_sub_nc_u32_e32 v0, v2, v0
	s_delay_alu instid0(VALU_DEP_2) | instskip(NEXT) | instid1(VALU_DEP_2)
	v_mad_u32 v13, s1, v26, v8
	v_mul_lo_u32 v2, s2, v0
	v_dual_add_nc_u32 v3, 2, v0 :: v_dual_add_nc_u32 v4, 3, v0
	s_delay_alu instid0(VALU_DEP_1) | instskip(NEXT) | instid1(VALU_DEP_2)
	v_mad_u32 v0, s2, v3, v8
	v_mad_u32 v12, s2, v4, v8
	s_wait_kmcnt 0x0
	v_mul_lo_u32 v17, v13, s26
	v_mul_lo_u32 v22, v13, s27
	v_add3_u32 v14, v2, s2, v8
	s_delay_alu instid0(VALU_DEP_1)
	v_mul_lo_u32 v18, v14, s26
	v_mul_lo_u32 v20, v0, s26
	;; [unrolled: 1-line block ×6, first 2 shown]
	s_clause 0x3
	global_load_u16 v5, v17, s[14:15] scale_offset
	global_load_u16 v2, v18, s[14:15] scale_offset
	global_load_u16 v7, v20, s[14:15] scale_offset
	global_load_u16 v15, v21, s[14:15] scale_offset
	s_clause 0x3
	global_load_u16 v6, v22, s[16:17] scale_offset
	global_load_u16 v3, v23, s[16:17] scale_offset
	;; [unrolled: 1-line block ×5, first 2 shown]
	s_wait_xcnt 0x2
	v_dual_mov_b32 v17, 0 :: v_dual_mov_b32 v27, 0
	v_dual_mov_b32 v20, 0 :: v_dual_mov_b32 v21, 0
	s_wait_xcnt 0x1
	v_dual_mov_b32 v18, 0 :: v_dual_mov_b32 v28, 0
	v_dual_mov_b32 v22, 0 :: v_dual_mov_b32 v23, 0
	s_cbranch_vccnz .LBB8_5
; %bb.4:                                ;   in Loop: Header=BB8_3 Depth=1
	v_sub_nc_u32_e32 v17, v24, v25
	v_mad_u32 v21, s33, v26, v8
	s_delay_alu instid0(VALU_DEP_2) | instskip(SKIP_1) | instid1(VALU_DEP_1)
	v_mul_lo_u32 v18, s2, v17
	v_dual_add_nc_u32 v20, 2, v17 :: v_dual_add_nc_u32 v17, 3, v17
	v_mad_u32 v20, s2, v20, v8
	s_delay_alu instid0(VALU_DEP_2) | instskip(SKIP_3) | instid1(VALU_DEP_1)
	v_mad_u32 v17, s2, v17, v8
	v_mul_lo_u32 v22, v21, s22
	v_mul_lo_u32 v21, v21, s23
	v_add3_u32 v18, v18, s2, v8
	v_mul_lo_u32 v23, v18, s22
	v_mul_lo_u32 v18, v18, s23
	;; [unrolled: 1-line block ×6, first 2 shown]
	global_load_u16 v26, v22, s[6:7] scale_offset
	global_load_u16 v27, v21, s[8:9] scale_offset
	;; [unrolled: 1-line block ×8, first 2 shown]
	s_wait_loadcnt 0x7
	s_wait_xcnt 0x5
	v_cvt_f32_f16_e32 v23, v26
	s_wait_loadcnt 0x6
	v_cvt_f32_f16_e32 v21, v27
	s_wait_loadcnt 0x5
	;; [unrolled: 2-line block ×3, first 2 shown]
	s_wait_xcnt 0x2
	v_cvt_f32_f16_e32 v20, v29
	s_wait_loadcnt 0x3
	v_cvt_f32_f16_e32 v28, v30
	s_wait_loadcnt 0x2
	;; [unrolled: 2-line block ×4, first 2 shown]
	s_wait_xcnt 0x0
	v_cvt_f32_f16_e32 v17, v33
.LBB8_5:                                ;   in Loop: Header=BB8_3 Depth=1
	s_wait_loadcnt 0x6
	v_cvt_f32_f16_e32 v7, v7
	s_wait_loadcnt 0x2
	v_cvt_f32_f16_e32 v19, v19
	s_delay_alu instid0(VALU_DEP_1) | instskip(NEXT) | instid1(VALU_DEP_1)
	v_add_f32_e32 v7, v7, v19
                                        ; implicit-def: $vgpr19
	v_add_f32_e32 v7, v7, v28
	s_delay_alu instid0(VALU_DEP_1) | instskip(NEXT) | instid1(VALU_DEP_1)
	v_add_f32_e32 v7, v27, v7
	v_cmp_ngt_f32_e64 s0, 0x3f200000, |v7|
	s_wait_xcnt 0x0
	s_and_saveexec_b32 s38, s0
	s_delay_alu instid0(SALU_CYCLE_1)
	s_xor_b32 s0, exec_lo, s38
	s_cbranch_execz .LBB8_7
; %bb.6:                                ;   in Loop: Header=BB8_3 Depth=1
	v_add_f32_e64 v19, |v7|, |v7|
	s_delay_alu instid0(VALU_DEP_1) | instskip(SKIP_1) | instid1(VALU_DEP_2)
	v_mul_f32_e32 v24, 0x3fb8aa3b, v19
	v_cmp_ngt_f32_e32 vcc_lo, 0xc2ce8ed0, v19
	v_rndne_f32_e32 v25, v24
	v_fma_f32 v26, 0x3fb8aa3b, v19, -v24
	s_delay_alu instid0(VALU_DEP_2) | instskip(NEXT) | instid1(VALU_DEP_2)
	v_sub_f32_e32 v24, v24, v25
	v_fmac_f32_e32 v26, 0x32a5705f, v19
	v_cvt_i32_f32_e32 v25, v25
	s_delay_alu instid0(VALU_DEP_2) | instskip(NEXT) | instid1(VALU_DEP_1)
	v_add_f32_e32 v24, v24, v26
	v_exp_f32_e32 v24, v24
	v_nop
	s_delay_alu instid0(TRANS32_DEP_1) | instskip(NEXT) | instid1(VALU_DEP_1)
	v_ldexp_f32 v24, v24, v25
	v_cndmask_b32_e32 v24, 0, v24, vcc_lo
	v_cmp_nlt_f32_e32 vcc_lo, 0x42b17218, v19
	s_delay_alu instid0(VALU_DEP_2) | instskip(NEXT) | instid1(VALU_DEP_1)
	v_cndmask_b32_e32 v19, 0x7f800000, v24, vcc_lo
	v_add_f32_e32 v19, 1.0, v19
	s_delay_alu instid0(VALU_DEP_1) | instskip(SKIP_1) | instid1(TRANS32_DEP_1)
	v_rcp_f32_e32 v19, v19
	v_nop
	v_fma_f32 v19, v19, -2.0, 1.0
.LBB8_7:                                ;   in Loop: Header=BB8_3 Depth=1
	s_and_not1_saveexec_b32 s0, s0
	s_cbranch_execz .LBB8_9
; %bb.8:                                ;   in Loop: Header=BB8_3 Depth=1
	v_mul_f32_e32 v19, v7, v7
	s_delay_alu instid0(VALU_DEP_1) | instskip(NEXT) | instid1(VALU_DEP_1)
	v_fmaak_f32 v24, s29, v19, 0x3ca908c9
	v_fmaak_f32 v24, v19, v24, 0xbd5c1c4e
	s_delay_alu instid0(VALU_DEP_1) | instskip(NEXT) | instid1(VALU_DEP_1)
	v_fmaak_f32 v24, v19, v24, 0x3e088382
	v_fmaak_f32 v24, v19, v24, 0xbeaaaa99
	s_delay_alu instid0(VALU_DEP_1) | instskip(NEXT) | instid1(VALU_DEP_1)
	v_mul_f32_e64 v24, |v7|, v24
	v_fma_f32 v19, v19, v24, |v7|
.LBB8_9:                                ;   in Loop: Header=BB8_3 Depth=1
	s_or_b32 exec_lo, exec_lo, s0
	v_cvt_f32_f16_e32 v5, v5
	v_cvt_f32_f16_e32 v6, v6
	;; [unrolled: 1-line block ×4, first 2 shown]
	s_wait_loadcnt 0x0
	v_cvt_f32_f16_e32 v4, v4
	s_delay_alu instid0(VALU_DEP_2) | instskip(NEXT) | instid1(VALU_DEP_1)
	v_dual_add_f32 v5, v5, v6 :: v_dual_add_f32 v2, v2, v3
	v_dual_add_f32 v3, v5, v23 :: v_dual_add_f32 v2, v2, v22
	s_delay_alu instid0(VALU_DEP_1) | instskip(NEXT) | instid1(VALU_DEP_1)
	v_dual_add_f32 v3, v21, v3 :: v_dual_add_f32 v2, v20, v2
	v_mul_f32_e32 v5, 0xbfb8aa3b, v3
	v_cmp_nlt_f32_e32 vcc_lo, 0x42ce8ed0, v3
	s_delay_alu instid0(VALU_DEP_3) | instskip(NEXT) | instid1(VALU_DEP_3)
	v_mul_f32_e32 v6, 0xbfb8aa3b, v2
	v_fma_f32 v20, 0xbfb8aa3b, v3, -v5
	v_rndne_f32_e32 v21, v5
	s_delay_alu instid0(VALU_DEP_3) | instskip(SKIP_1) | instid1(VALU_DEP_3)
	v_fma_f32 v22, 0xbfb8aa3b, v2, -v6
	v_rndne_f32_e32 v23, v6
	v_dual_fmac_f32 v20, 0xb2a5705f, v3 :: v_dual_sub_f32 v5, v5, v21
	s_delay_alu instid0(VALU_DEP_1) | instskip(SKIP_1) | instid1(VALU_DEP_4)
	v_dual_fmac_f32 v22, 0xb2a5705f, v2 :: v_dual_add_f32 v5, v5, v20
	v_cvt_i32_f32_e32 v20, v21
	v_cvt_i32_f32_e32 v21, v23
	s_delay_alu instid0(VALU_DEP_3) | instskip(SKIP_1) | instid1(TRANS32_DEP_1)
	v_exp_f32_e32 v5, v5
	v_nop
	v_ldexp_f32 v5, v5, v20
	s_delay_alu instid0(VALU_DEP_1) | instskip(NEXT) | instid1(VALU_DEP_1)
	v_dual_sub_f32 v6, v6, v23 :: v_dual_cndmask_b32 v5, 0, v5
	v_add_f32_e32 v6, v6, v22
	v_cmp_nlt_f32_e32 vcc_lo, 0x42ce8ed0, v2
	s_delay_alu instid0(VALU_DEP_2) | instskip(SKIP_1) | instid1(TRANS32_DEP_1)
	v_exp_f32_e32 v6, v6
	v_nop
	v_ldexp_f32 v6, v6, v21
	s_delay_alu instid0(VALU_DEP_1) | instskip(SKIP_3) | instid1(VALU_DEP_4)
	v_cndmask_b32_e32 v6, 0, v6, vcc_lo
	v_cmp_ngt_f32_e32 vcc_lo, 0xc2b17218, v3
	v_cndmask_b32_e32 v3, 0x7f800000, v5, vcc_lo
	v_cmp_ngt_f32_e32 vcc_lo, 0xc2b17218, v2
	v_cndmask_b32_e32 v2, 0x7f800000, v6, vcc_lo
	s_delay_alu instid0(VALU_DEP_1) | instskip(NEXT) | instid1(VALU_DEP_1)
	v_pk_add_f32 v[2:3], v[2:3], 1.0 op_sel_hi:[1,0]
	v_div_scale_f32 v5, null, v3, v3, 1.0
	s_delay_alu instid0(VALU_DEP_2) | instskip(SKIP_1) | instid1(VALU_DEP_3)
	v_div_scale_f32 v6, null, v2, v2, 1.0
	v_div_scale_f32 v24, vcc_lo, 1.0, v3, 1.0
	v_rcp_f32_e32 v20, v5
	s_delay_alu instid0(VALU_DEP_2) | instskip(NEXT) | instid1(TRANS32_DEP_2)
	v_rcp_f32_e32 v21, v6
	v_fma_f32 v22, -v5, v20, 1.0
	s_delay_alu instid0(TRANS32_DEP_1) | instskip(NEXT) | instid1(VALU_DEP_2)
	v_fma_f32 v23, -v6, v21, 1.0
	v_fmac_f32_e32 v20, v22, v20
	v_div_scale_f32 v22, s0, 1.0, v2, 1.0
	s_delay_alu instid0(VALU_DEP_2) | instskip(NEXT) | instid1(VALU_DEP_1)
	v_dual_fmac_f32 v21, v23, v21 :: v_dual_mul_f32 v23, v24, v20
	v_dual_mul_f32 v25, v22, v21 :: v_dual_fma_f32 v26, -v5, v23, v24
	s_delay_alu instid0(VALU_DEP_1) | instskip(NEXT) | instid1(VALU_DEP_1)
	v_fma_f32 v27, -v6, v25, v22
	v_dual_fmac_f32 v23, v26, v20 :: v_dual_fmac_f32 v25, v27, v21
	s_delay_alu instid0(VALU_DEP_1) | instskip(NEXT) | instid1(VALU_DEP_1)
	v_dual_fma_f32 v5, -v5, v23, v24 :: v_dual_fma_f32 v6, -v6, v25, v22
	v_div_fmas_f32 v5, v5, v20, v23
	s_mov_b32 vcc_lo, s0
	s_delay_alu instid0(VALU_DEP_2) | instskip(NEXT) | instid1(VALU_DEP_2)
	v_div_fmas_f32 v6, v6, v21, v25
	v_div_fixup_f32 v3, v5, v3, 1.0
	v_bfi_b32 v5, 0x7fffffff, v19, v7
	s_delay_alu instid0(VALU_DEP_3) | instskip(NEXT) | instid1(VALU_DEP_2)
	v_div_fixup_f32 v2, v6, v2, 1.0
	v_mul_f32_e32 v6, v3, v5
	s_delay_alu instid0(VALU_DEP_1) | instskip(NEXT) | instid1(VALU_DEP_1)
	v_pk_fma_f32 v[6:7], v[2:3], v[4:5], v[6:7] op_sel_hi:[1,1,0]
                                        ; implicit-def: $vgpr4
	v_cmp_ngt_f32_e64 s0, 0x3f200000, |v6|
	s_and_saveexec_b32 s38, s0
	s_delay_alu instid0(SALU_CYCLE_1)
	s_xor_b32 s0, exec_lo, s38
	s_cbranch_execz .LBB8_11
; %bb.10:                               ;   in Loop: Header=BB8_3 Depth=1
	v_add_f32_e64 v4, |v6|, |v6|
	s_delay_alu instid0(VALU_DEP_1) | instskip(SKIP_1) | instid1(VALU_DEP_2)
	v_mul_f32_e32 v7, 0x3fb8aa3b, v4
	v_cmp_ngt_f32_e32 vcc_lo, 0xc2ce8ed0, v4
	v_rndne_f32_e32 v19, v7
	v_fma_f32 v20, 0x3fb8aa3b, v4, -v7
	s_delay_alu instid0(VALU_DEP_1) | instskip(SKIP_1) | instid1(VALU_DEP_2)
	v_dual_sub_f32 v7, v7, v19 :: v_dual_fmac_f32 v20, 0x32a5705f, v4
	v_cvt_i32_f32_e32 v19, v19
	v_add_f32_e32 v7, v7, v20
	s_delay_alu instid0(VALU_DEP_1) | instskip(SKIP_1) | instid1(TRANS32_DEP_1)
	v_exp_f32_e32 v7, v7
	v_nop
	v_ldexp_f32 v7, v7, v19
	s_delay_alu instid0(VALU_DEP_1) | instskip(SKIP_1) | instid1(VALU_DEP_2)
	v_cndmask_b32_e32 v7, 0, v7, vcc_lo
	v_cmp_nlt_f32_e32 vcc_lo, 0x42b17218, v4
	v_cndmask_b32_e32 v4, 0x7f800000, v7, vcc_lo
	s_delay_alu instid0(VALU_DEP_1) | instskip(NEXT) | instid1(VALU_DEP_1)
	v_add_f32_e32 v4, 1.0, v4
	v_rcp_f32_e32 v4, v4
	v_nop
	s_delay_alu instid0(TRANS32_DEP_1)
	v_fma_f32 v4, v4, -2.0, 1.0
.LBB8_11:                               ;   in Loop: Header=BB8_3 Depth=1
	s_and_not1_saveexec_b32 s0, s0
	s_cbranch_execz .LBB8_2
; %bb.12:                               ;   in Loop: Header=BB8_3 Depth=1
	v_mul_f32_e32 v4, v6, v6
	s_delay_alu instid0(VALU_DEP_1) | instskip(NEXT) | instid1(VALU_DEP_1)
	v_fmaak_f32 v7, s29, v4, 0x3ca908c9
	v_fmaak_f32 v7, v4, v7, 0xbd5c1c4e
	s_delay_alu instid0(VALU_DEP_1) | instskip(NEXT) | instid1(VALU_DEP_1)
	v_fmaak_f32 v7, v4, v7, 0x3e088382
	v_fmaak_f32 v7, v4, v7, 0xbeaaaa99
	s_delay_alu instid0(VALU_DEP_1) | instskip(NEXT) | instid1(VALU_DEP_1)
	v_mul_f32_e64 v7, |v6|, v7
	v_fma_f32 v4, v4, v7, |v6|
	s_branch .LBB8_2
.LBB8_13:
	s_endpgm
	.section	.rodata,"a",@progbits
	.p2align	6, 0x0
	.amdhsa_kernel _ZN2at6native12_GLOBAL__N_16kernel17lstm_cell_forwardIN3c104HalfEfiLi1EEEvNS_4cuda6detail10TensorInfoIT_T1_EESB_SB_SB_SB_SB_SB_SB_SA_SA_
		.amdhsa_group_segment_fixed_size 0
		.amdhsa_private_segment_fixed_size 0
		.amdhsa_kernarg_size 1992
		.amdhsa_user_sgpr_count 2
		.amdhsa_user_sgpr_dispatch_ptr 0
		.amdhsa_user_sgpr_queue_ptr 0
		.amdhsa_user_sgpr_kernarg_segment_ptr 1
		.amdhsa_user_sgpr_dispatch_id 0
		.amdhsa_user_sgpr_kernarg_preload_length 0
		.amdhsa_user_sgpr_kernarg_preload_offset 0
		.amdhsa_user_sgpr_private_segment_size 0
		.amdhsa_wavefront_size32 1
		.amdhsa_uses_dynamic_stack 0
		.amdhsa_enable_private_segment 0
		.amdhsa_system_sgpr_workgroup_id_x 1
		.amdhsa_system_sgpr_workgroup_id_y 0
		.amdhsa_system_sgpr_workgroup_id_z 0
		.amdhsa_system_sgpr_workgroup_info 0
		.amdhsa_system_vgpr_workitem_id 0
		.amdhsa_next_free_vgpr 34
		.amdhsa_next_free_sgpr 39
		.amdhsa_named_barrier_count 0
		.amdhsa_reserve_vcc 1
		.amdhsa_float_round_mode_32 0
		.amdhsa_float_round_mode_16_64 0
		.amdhsa_float_denorm_mode_32 3
		.amdhsa_float_denorm_mode_16_64 3
		.amdhsa_fp16_overflow 0
		.amdhsa_memory_ordered 1
		.amdhsa_forward_progress 1
		.amdhsa_inst_pref_size 21
		.amdhsa_round_robin_scheduling 0
		.amdhsa_exception_fp_ieee_invalid_op 0
		.amdhsa_exception_fp_denorm_src 0
		.amdhsa_exception_fp_ieee_div_zero 0
		.amdhsa_exception_fp_ieee_overflow 0
		.amdhsa_exception_fp_ieee_underflow 0
		.amdhsa_exception_fp_ieee_inexact 0
		.amdhsa_exception_int_div_zero 0
	.end_amdhsa_kernel
	.section	.text._ZN2at6native12_GLOBAL__N_16kernel17lstm_cell_forwardIN3c104HalfEfiLi1EEEvNS_4cuda6detail10TensorInfoIT_T1_EESB_SB_SB_SB_SB_SB_SB_SA_SA_,"axG",@progbits,_ZN2at6native12_GLOBAL__N_16kernel17lstm_cell_forwardIN3c104HalfEfiLi1EEEvNS_4cuda6detail10TensorInfoIT_T1_EESB_SB_SB_SB_SB_SB_SB_SA_SA_,comdat
.Lfunc_end8:
	.size	_ZN2at6native12_GLOBAL__N_16kernel17lstm_cell_forwardIN3c104HalfEfiLi1EEEvNS_4cuda6detail10TensorInfoIT_T1_EESB_SB_SB_SB_SB_SB_SB_SA_SA_, .Lfunc_end8-_ZN2at6native12_GLOBAL__N_16kernel17lstm_cell_forwardIN3c104HalfEfiLi1EEEvNS_4cuda6detail10TensorInfoIT_T1_EESB_SB_SB_SB_SB_SB_SB_SA_SA_
                                        ; -- End function
	.set _ZN2at6native12_GLOBAL__N_16kernel17lstm_cell_forwardIN3c104HalfEfiLi1EEEvNS_4cuda6detail10TensorInfoIT_T1_EESB_SB_SB_SB_SB_SB_SB_SA_SA_.num_vgpr, 34
	.set _ZN2at6native12_GLOBAL__N_16kernel17lstm_cell_forwardIN3c104HalfEfiLi1EEEvNS_4cuda6detail10TensorInfoIT_T1_EESB_SB_SB_SB_SB_SB_SB_SA_SA_.num_agpr, 0
	.set _ZN2at6native12_GLOBAL__N_16kernel17lstm_cell_forwardIN3c104HalfEfiLi1EEEvNS_4cuda6detail10TensorInfoIT_T1_EESB_SB_SB_SB_SB_SB_SB_SA_SA_.numbered_sgpr, 39
	.set _ZN2at6native12_GLOBAL__N_16kernel17lstm_cell_forwardIN3c104HalfEfiLi1EEEvNS_4cuda6detail10TensorInfoIT_T1_EESB_SB_SB_SB_SB_SB_SB_SA_SA_.num_named_barrier, 0
	.set _ZN2at6native12_GLOBAL__N_16kernel17lstm_cell_forwardIN3c104HalfEfiLi1EEEvNS_4cuda6detail10TensorInfoIT_T1_EESB_SB_SB_SB_SB_SB_SB_SA_SA_.private_seg_size, 0
	.set _ZN2at6native12_GLOBAL__N_16kernel17lstm_cell_forwardIN3c104HalfEfiLi1EEEvNS_4cuda6detail10TensorInfoIT_T1_EESB_SB_SB_SB_SB_SB_SB_SA_SA_.uses_vcc, 1
	.set _ZN2at6native12_GLOBAL__N_16kernel17lstm_cell_forwardIN3c104HalfEfiLi1EEEvNS_4cuda6detail10TensorInfoIT_T1_EESB_SB_SB_SB_SB_SB_SB_SA_SA_.uses_flat_scratch, 0
	.set _ZN2at6native12_GLOBAL__N_16kernel17lstm_cell_forwardIN3c104HalfEfiLi1EEEvNS_4cuda6detail10TensorInfoIT_T1_EESB_SB_SB_SB_SB_SB_SB_SA_SA_.has_dyn_sized_stack, 0
	.set _ZN2at6native12_GLOBAL__N_16kernel17lstm_cell_forwardIN3c104HalfEfiLi1EEEvNS_4cuda6detail10TensorInfoIT_T1_EESB_SB_SB_SB_SB_SB_SB_SA_SA_.has_recursion, 0
	.set _ZN2at6native12_GLOBAL__N_16kernel17lstm_cell_forwardIN3c104HalfEfiLi1EEEvNS_4cuda6detail10TensorInfoIT_T1_EESB_SB_SB_SB_SB_SB_SB_SA_SA_.has_indirect_call, 0
	.section	.AMDGPU.csdata,"",@progbits
; Kernel info:
; codeLenInByte = 2584
; TotalNumSgprs: 41
; NumVgprs: 34
; ScratchSize: 0
; MemoryBound: 0
; FloatMode: 240
; IeeeMode: 1
; LDSByteSize: 0 bytes/workgroup (compile time only)
; SGPRBlocks: 0
; VGPRBlocks: 2
; NumSGPRsForWavesPerEU: 41
; NumVGPRsForWavesPerEU: 34
; NamedBarCnt: 0
; Occupancy: 16
; WaveLimiterHint : 1
; COMPUTE_PGM_RSRC2:SCRATCH_EN: 0
; COMPUTE_PGM_RSRC2:USER_SGPR: 2
; COMPUTE_PGM_RSRC2:TRAP_HANDLER: 0
; COMPUTE_PGM_RSRC2:TGID_X_EN: 1
; COMPUTE_PGM_RSRC2:TGID_Y_EN: 0
; COMPUTE_PGM_RSRC2:TGID_Z_EN: 0
; COMPUTE_PGM_RSRC2:TIDIG_COMP_CNT: 0
	.section	.text._ZN2at6native12_GLOBAL__N_16kernel17lstm_cell_forwardIN3c104HalfEfiLi2EEEvNS_4cuda6detail10TensorInfoIT_T1_EESB_SB_SB_SB_SB_SB_SB_SA_SA_,"axG",@progbits,_ZN2at6native12_GLOBAL__N_16kernel17lstm_cell_forwardIN3c104HalfEfiLi2EEEvNS_4cuda6detail10TensorInfoIT_T1_EESB_SB_SB_SB_SB_SB_SB_SA_SA_,comdat
	.globl	_ZN2at6native12_GLOBAL__N_16kernel17lstm_cell_forwardIN3c104HalfEfiLi2EEEvNS_4cuda6detail10TensorInfoIT_T1_EESB_SB_SB_SB_SB_SB_SB_SA_SA_ ; -- Begin function _ZN2at6native12_GLOBAL__N_16kernel17lstm_cell_forwardIN3c104HalfEfiLi2EEEvNS_4cuda6detail10TensorInfoIT_T1_EESB_SB_SB_SB_SB_SB_SB_SA_SA_
	.p2align	8
	.type	_ZN2at6native12_GLOBAL__N_16kernel17lstm_cell_forwardIN3c104HalfEfiLi2EEEvNS_4cuda6detail10TensorInfoIT_T1_EESB_SB_SB_SB_SB_SB_SB_SA_SA_,@function
_ZN2at6native12_GLOBAL__N_16kernel17lstm_cell_forwardIN3c104HalfEfiLi2EEEvNS_4cuda6detail10TensorInfoIT_T1_EESB_SB_SB_SB_SB_SB_SB_SA_SA_: ; @_ZN2at6native12_GLOBAL__N_16kernel17lstm_cell_forwardIN3c104HalfEfiLi2EEEvNS_4cuda6detail10TensorInfoIT_T1_EESB_SB_SB_SB_SB_SB_SB_SA_SA_
; %bb.0:
	s_clause 0x1
	s_load_b32 s2, s[0:1], 0x6d4
	s_load_b64 s[6:7], s[0:1], 0x6c0
	s_bfe_u32 s3, ttmp6, 0x4000c
	s_and_b32 s4, ttmp6, 15
	s_add_co_i32 s3, s3, 1
	s_getreg_b32 s5, hwreg(HW_REG_IB_STS2, 6, 4)
	s_mul_i32 s3, ttmp9, s3
	s_mov_b32 s9, 0
	s_add_co_i32 s4, s4, s3
	s_wait_kmcnt 0x0
	s_and_b32 s2, s2, 0xffff
	s_cmp_eq_u32 s5, 0
	s_cselect_b32 s3, ttmp9, s4
	s_delay_alu instid0(SALU_CYCLE_1) | instskip(SKIP_1) | instid1(VALU_DEP_1)
	v_mad_u32 v16, s3, s2, v0
	s_mov_b32 s3, exec_lo
	v_cmpx_gt_i32_e64 s7, v16
	s_cbranch_execz .LBB9_13
; %bb.1:
	s_clause 0x1
	s_load_b64 s[10:11], s[0:1], 0x1b0
	s_load_b32 s5, s[0:1], 0xc
	s_add_nc_u64 s[24:25], s[0:1], 0x6c8
	s_clause 0x5
	s_load_b64 s[12:13], s[0:1], 0x0
	s_load_b64 s[14:15], s[0:1], 0x6c
	;; [unrolled: 1-line block ×3, first 2 shown]
	s_load_b32 s33, s[0:1], 0xe4
	s_load_b64 s[18:19], s[0:1], 0x144
	s_load_b32 s52, s[0:1], 0x21c
	s_load_b32 s58, s[24:25], 0x0
	s_clause 0x4
	s_load_b64 s[20:21], s[0:1], 0x288
	s_load_b32 s53, s[0:1], 0x2f4
	s_load_b64 s[22:23], s[0:1], 0x360
	s_load_b32 s3, s[0:1], 0x36c
	s_load_b32 s54, s[0:1], 0x5f4
	s_wait_xcnt 0x0
	s_clause 0x3
	s_load_b64 s[24:25], s[0:1], 0x3cc
	s_load_b64 s[26:27], s[0:1], 0x438
	s_load_b32 s74, s[0:1], 0x444
	s_load_b64 s[28:29], s[0:1], 0x4a4
	s_mov_b32 s43, s9
	s_mov_b32 s47, s9
	;; [unrolled: 1-line block ×3, first 2 shown]
	s_mul_i32 s71, s6, 3
	s_mov_b32 s76, 0xbbbac73d
	s_mov_b32 s77, s9
	s_wait_kmcnt 0x0
	s_mul_i32 s58, s58, s2
	s_cmp_lg_u64 s[10:11], 0
	s_cselect_b32 s55, -1, 0
	s_abs_i32 s56, s6
	s_abs_i32 s57, s5
	s_cvt_f32_u32 s4, s56
	s_cvt_f32_u32 s8, s57
	s_abs_i32 s60, s33
	s_abs_i32 s62, s54
	v_rcp_iflag_f32_e32 v0, s4
	v_rcp_iflag_f32_e32 v1, s8
	s_clause 0x4
	s_load_b64 s[30:31], s[0:1], 0x510
	s_load_b32 s4, s[0:1], 0x51c
	s_load_b64 s[34:35], s[0:1], 0x57c
	s_load_b64 s[36:37], s[0:1], 0x5e8
	;; [unrolled: 1-line block ×3, first 2 shown]
	s_wait_xcnt 0x0
	s_cvt_f32_u32 s1, s60
	s_sub_co_i32 s8, 0, s56
	s_cvt_f32_u32 s41, s62
	s_abs_i32 s63, s3
	v_readfirstlane_b32 s0, v0
	v_readfirstlane_b32 s2, v1
	v_rcp_iflag_f32_e32 v0, s1
	s_abs_i32 s65, s74
	s_sub_co_i32 s44, 0, s62
	s_mul_f32 s0, s0, 0x4f7ffffe
	s_mul_f32 s1, s2, 0x4f7ffffe
	s_sub_co_i32 s2, 0, s57
	s_sub_co_i32 s45, 0, s63
	s_cvt_u32_f32 s0, s0
	s_cvt_u32_f32 s1, s1
	v_nop
	v_readfirstlane_b32 s40, v0
	v_rcp_iflag_f32_e32 v0, s41
	s_mul_i32 s8, s8, s0
	s_mul_i32 s2, s2, s1
	s_mul_hi_u32 s8, s0, s8
	s_wait_kmcnt 0x0
	s_abs_i32 s67, s4
	s_add_co_i32 s8, s0, s8
	s_mul_hi_u32 s0, s1, s2
	s_mul_f32 s2, s40, 0x4f7ffffe
	s_add_co_i32 s40, s1, s0
	s_cvt_f32_u32 s1, s63
	s_sub_co_i32 s49, 0, s67
	s_cvt_u32_f32 s0, s2
	s_sub_co_i32 s2, 0, s60
	v_rcp_iflag_f32_e32 v1, s1
	v_nop
	v_readfirstlane_b32 s1, v0
	s_mul_i32 s2, s2, s0
	s_ashr_i32 s59, s6, 31
	s_mul_hi_u32 s2, s0, s2
	s_ashr_i32 s61, s5, 31
	s_add_co_i32 s42, s0, s2
	s_cvt_f32_u32 s2, s65
	s_mul_f32 s0, s1, 0x4f7ffffe
	v_readfirstlane_b32 s1, v1
	s_mov_b32 s41, s9
	v_rcp_iflag_f32_e32 v0, s2
	s_cvt_f32_u32 s2, s67
	s_cvt_u32_f32 s0, s0
	s_mul_f32 s1, s1, 0x4f7ffffe
	s_ashr_i32 s64, s33, 31
	v_rcp_iflag_f32_e32 v1, s2
	s_mul_i32 s44, s44, s0
	v_nop
	v_readfirstlane_b32 s2, v0
	s_cvt_u32_f32 s1, s1
	s_mul_hi_u32 s44, s0, s44
	s_ashr_i32 s66, s54, 31
	s_add_co_i32 s44, s0, s44
	v_readfirstlane_b32 s48, v1
	s_mul_i32 s0, s45, s1
	s_mul_f32 s2, s2, 0x4f7ffffe
	s_mul_hi_u32 s0, s1, s0
	v_mov_b32_e32 v1, 0
	s_add_co_i32 s46, s1, s0
	s_cvt_u32_f32 s0, s2
	s_mul_f32 s1, s48, 0x4f7ffffe
	s_sub_co_i32 s2, 0, s65
	s_mov_b32 s45, s9
	s_mul_i32 s2, s2, s0
	s_cvt_u32_f32 s1, s1
	s_mul_hi_u32 s2, s0, s2
	s_ashr_i32 s68, s3, 31
	s_add_co_i32 s48, s0, s2
	s_mul_i32 s0, s49, s1
	s_ashr_i32 s69, s74, 31
	s_mul_hi_u32 s0, s1, s0
	s_mov_b32 s49, s9
	s_ashr_i32 s70, s4, 31
	s_add_co_i32 s50, s1, s0
	s_sub_co_i32 s72, 0, s6
	s_sub_co_i32 s73, 0, s3
	;; [unrolled: 1-line block ×4, first 2 shown]
	s_branch .LBB9_3
.LBB9_2:                                ;   in Loop: Header=BB9_3 Depth=1
	s_or_b32 exec_lo, exec_lo, s0
	v_cvt_f32_f16_e32 v15, v28
	v_cvt_f32_f16_e32 v34, v29
	v_mul_u64_e32 v[28:29], s[44:45], v[2:3]
	v_mul_u64_e32 v[30:31], s[44:45], v[6:7]
	;; [unrolled: 1-line block ×4, first 2 shown]
	v_add_f32_e32 v3, v15, v34
	v_mul_u64_e32 v[34:35], s[44:45], v[8:9]
	v_xor_b32_e32 v7, s66, v22
	v_xor_b32_e32 v22, s66, v23
	v_mul_u64_e32 v[32:33], s[44:45], v[4:5]
	v_dual_add_f32 v3, v3, v27 :: v_dual_bitop2_b32 v23, s66, v24 bitop3:0x14
	v_bfi_b32 v12, 0x7fffffff, v12, v14
	s_delay_alu instid0(VALU_DEP_2) | instskip(NEXT) | instid1(VALU_DEP_1)
	v_dual_add_f32 v3, v26, v3 :: v_dual_bitop2_b32 v24, s66, v25 bitop3:0x14
	v_mul_f32_e32 v5, 0xbfb8aa3b, v3
	v_cmp_nlt_f32_e64 s2, 0x42ce8ed0, v3
	v_cmp_ngt_f32_e64 s3, 0xc2b17218, v3
	v_add_nc_u32_e32 v26, 1, v29
	s_delay_alu instid0(VALU_DEP_4)
	v_fma_f32 v9, 0xbfb8aa3b, v3, -v5
	v_rndne_f32_e32 v15, v5
	v_mul_lo_u32 v25, v29, s62
	v_add_nc_u32_e32 v40, 1, v37
	v_mul_lo_u32 v32, v35, s62
	v_fmac_f32_e32 v9, 0xb2a5705f, v3
	v_sub_f32_e32 v5, v5, v15
	v_add_nc_u32_e32 v28, 1, v31
	v_mul_lo_u32 v27, v31, s62
	v_mul_lo_u32 v34, v37, s65
	v_cvt_i32_f32_e32 v15, v15
	v_dual_add_f32 v5, v5, v9 :: v_dual_add_nc_u32 v41, 1, v39
	v_sub_nc_u32_e32 v2, v2, v25
	v_mul_lo_u32 v30, v33, s62
	v_mul_lo_u32 v36, v39, s67
	s_delay_alu instid0(VALU_DEP_4) | instskip(SKIP_4) | instid1(TRANS32_DEP_1)
	v_exp_f32_e32 v5, v5
	v_dual_add_nc_u32 v9, 1, v33 :: v_dual_add_nc_u32 v38, 1, v35
	v_cmp_le_u32_e32 vcc_lo, s62, v2
	v_dual_sub_nc_u32 v8, v8, v32 :: v_dual_sub_nc_u32 v6, v6, v27
	v_sub_nc_u32_e32 v25, v0, v34
	v_ldexp_f32 v5, v5, v15
	v_cndmask_b32_e32 v15, v29, v26, vcc_lo
	v_sub_nc_u32_e32 v4, v4, v30
	v_sub_nc_u32_e32 v0, v0, v36
	v_cmp_le_u32_e64 s0, s62, v6
	v_cndmask_b32_e64 v5, 0, v5, s2
	v_cmp_le_u32_e64 s2, s62, v8
	v_subrev_nc_u32_e32 v26, s62, v2
	v_cmp_le_u32_e64 s1, s62, v4
	v_cmp_le_u32_e64 s4, s67, v0
	v_cndmask_b32_e64 v27, v31, v28, s0
	v_cndmask_b32_e64 v30, v35, v38, s2
	;; [unrolled: 1-line block ×3, first 2 shown]
	v_cmp_le_u32_e64 s3, s65, v25
	v_subrev_nc_u32_e32 v28, s62, v6
	v_cndmask_b32_e64 v9, v33, v9, s1
	v_dual_cndmask_b32 v33, v39, v41, s4 :: v_dual_cndmask_b32 v2, v2, v26, vcc_lo
	s_delay_alu instid0(VALU_DEP_4) | instskip(SKIP_2) | instid1(VALU_DEP_4)
	v_dual_cndmask_b32 v31, v37, v40, s3 :: v_dual_add_f32 v3, 1.0, v3
	v_subrev_nc_u32_e32 v29, s62, v4
	v_dual_add_nc_u32 v26, 1, v15 :: v_dual_cndmask_b32 v6, v6, v28, s0
	v_cmp_le_u32_e32 vcc_lo, s62, v2
	s_delay_alu instid0(VALU_DEP_4) | instskip(SKIP_3) | instid1(VALU_DEP_4)
	v_div_scale_f32 v35, null, v3, v3, 1.0
	v_subrev_nc_u32_e32 v5, s62, v8
	v_subrev_nc_u32_e32 v32, s65, v25
	v_dual_add_nc_u32 v28, 1, v27 :: v_dual_cndmask_b32 v4, v4, v29, s1
	v_rcp_f32_e32 v36, v35
	v_dual_cndmask_b32 v2, v15, v26 :: v_dual_add_nc_u32 v29, 1, v9
	v_cmp_le_u32_e64 s0, s62, v6
	v_dual_cndmask_b32 v5, v8, v5, s2 :: v_dual_add_nc_u32 v8, 1, v30
	s_delay_alu instid0(VALU_DEP_3) | instskip(NEXT) | instid1(TRANS32_DEP_1)
	v_dual_cndmask_b32 v25, v25, v32, s3 :: v_dual_bitop2_b32 v2, v2, v7 bitop3:0x14
	v_fma_f32 v15, -v35, v36, 1.0
	s_delay_alu instid0(VALU_DEP_4) | instskip(SKIP_3) | instid1(VALU_DEP_3)
	v_cndmask_b32_e64 v6, v27, v28, s0
	v_cmp_le_u32_e64 s0, s62, v4
	v_subrev_nc_u32_e32 v34, s67, v0
	v_div_scale_f32 v26, vcc_lo, 1.0, v3, 1.0
	v_dual_fmac_f32 v36, v15, v36 :: v_dual_cndmask_b32 v4, v9, v29, s0
	v_cmp_le_u32_e64 s0, s62, v5
	v_sub_nc_u32_e32 v2, v2, v7
	s_delay_alu instid0(VALU_DEP_3) | instskip(SKIP_1) | instid1(VALU_DEP_4)
	v_dual_add_nc_u32 v15, 1, v31 :: v_dual_mul_f32 v7, v26, v36
	v_dual_cndmask_b32 v0, v0, v34, s4 :: v_dual_bitop2_b32 v27, s69, v21 bitop3:0x14
	v_cndmask_b32_e64 v5, v30, v8, s0
	v_cmp_le_u32_e64 s0, s65, v25
	v_dual_add_nc_u32 v28, 1, v33 :: v_dual_bitop2_b32 v6, v6, v22 bitop3:0x14
	v_dual_fma_f32 v9, -v35, v7, v26 :: v_dual_bitop2_b32 v21, s70, v21 bitop3:0x14
	s_delay_alu instid0(VALU_DEP_3) | instskip(SKIP_4) | instid1(VALU_DEP_4)
	v_cndmask_b32_e64 v15, v31, v15, s0
	v_cmp_le_u32_e64 s0, s67, v0
	v_xor_b32_e32 v5, v5, v24
	v_dual_sub_nc_u32 v6, v6, v22 :: v_dual_bitop2_b32 v4, v4, v23 bitop3:0x14
	v_mul_lo_u32 v8, v2, s54
	v_cndmask_b32_e64 v0, v33, v28, s0
	s_delay_alu instid0(VALU_DEP_3) | instskip(NEXT) | instid1(VALU_DEP_4)
	v_dual_sub_nc_u32 v5, v5, v24 :: v_dual_sub_nc_u32 v4, v4, v23
	v_mul_lo_u32 v22, v6, s54
	s_delay_alu instid0(VALU_DEP_3) | instskip(SKIP_1) | instid1(VALU_DEP_4)
	v_dual_fmac_f32 v7, v9, v36 :: v_dual_bitop2_b32 v0, v0, v21 bitop3:0x14
	v_xor_b32_e32 v15, v15, v27
	v_mul_lo_u32 v9, v4, s54
	s_delay_alu instid0(VALU_DEP_2) | instskip(SKIP_2) | instid1(VALU_DEP_3)
	v_dual_sub_nc_u32 v0, v0, v21 :: v_dual_sub_nc_u32 v15, v15, v27
	v_mul_lo_u32 v21, v5, s54
	v_dual_sub_nc_u32 v8, v17, v8 :: v_dual_sub_nc_u32 v17, v18, v22
	v_mad_u32 v24, s75, v0, v16
	s_delay_alu instid0(VALU_DEP_4) | instskip(SKIP_1) | instid1(VALU_DEP_4)
	v_mad_u32 v23, s74, v15, v16
	v_fma_f32 v18, -v35, v7, v26
	v_dual_sub_nc_u32 v9, v19, v9 :: v_dual_add_nc_u32 v8, v16, v8
	v_add_nc_u32_e32 v17, v16, v17
	s_delay_alu instid0(VALU_DEP_3) | instskip(SKIP_1) | instid1(VALU_DEP_4)
	v_div_fmas_f32 v7, v18, v36, v7
	v_sub_nc_u32_e32 v19, v20, v21
	v_mul_lo_u32 v8, v8, s39
	s_delay_alu instid0(VALU_DEP_4)
	v_mul_lo_u32 v17, v17, s39
	v_mul_lo_u32 v21, v24, s35
	;; [unrolled: 1-line block ×3, first 2 shown]
	v_dual_add_nc_u32 v18, v16, v19 :: v_dual_add_nc_u32 v9, v16, v9
	v_div_fixup_f32 v3, v7, v3, 1.0
	v_add_nc_u32_e32 v16, s58, v16
	s_delay_alu instid0(VALU_DEP_3) | instskip(NEXT) | instid1(VALU_DEP_4)
	v_mul_lo_u32 v7, v9, s39
	v_mul_lo_u32 v9, v18, s39
	v_mad_u32 v2, v2, s38, v8
	v_mad_u32 v0, v0, s34, v21
	v_mad_u32 v15, v15, s28, v20
	v_mad_u32 v6, v6, s38, v17
	v_fma_mixlo_f16 v8, v3, v12, 0
	v_cvt_f16_f32_e32 v12, v14
	v_cmp_le_i32_e32 vcc_lo, s7, v16
	global_store_b16 v15, v8, s[26:27] scale_offset
	global_store_b16 v0, v12, s[30:31] scale_offset
	v_mad_u32 v4, v4, s38, v7
	v_mad_u32 v5, v5, s38, v9
	s_wait_xcnt 0x0
	v_cvt_f16_f32_e32 v0, v11
	v_cvt_f16_f32_e32 v8, v13
	;; [unrolled: 1-line block ×4, first 2 shown]
	s_or_b32 s77, vcc_lo, s77
	s_clause 0x3
	global_store_b16 v2, v0, s[36:37] scale_offset
	global_store_b16 v6, v7, s[36:37] scale_offset
	;; [unrolled: 1-line block ×4, first 2 shown]
	s_wait_xcnt 0x0
	s_and_not1_b32 exec_lo, exec_lo, s77
	s_cbranch_execz .LBB9_13
.LBB9_3:                                ; =>This Inner Loop Header: Depth=1
	v_dual_mov_b32 v7, v1 :: v_dual_sub_nc_u32 v0, 0, v16
	s_delay_alu instid0(VALU_DEP_1) | instskip(NEXT) | instid1(VALU_DEP_1)
	v_dual_mov_b32 v9, v1 :: v_dual_max_i32 v0, v16, v0
	v_mul_u64_e32 v[2:3], s[8:9], v[0:1]
	s_delay_alu instid0(VALU_DEP_1) | instskip(NEXT) | instid1(VALU_DEP_1)
	v_mul_lo_u32 v2, v3, s56
	v_dual_add_nc_u32 v4, 1, v3 :: v_dual_sub_nc_u32 v2, v0, v2
	s_delay_alu instid0(VALU_DEP_1) | instskip(NEXT) | instid1(VALU_DEP_2)
	v_cmp_le_u32_e32 vcc_lo, s56, v2
	v_cndmask_b32_e32 v3, v3, v4, vcc_lo
	v_subrev_nc_u32_e32 v5, s56, v2
	s_delay_alu instid0(VALU_DEP_2) | instskip(NEXT) | instid1(VALU_DEP_2)
	v_dual_ashrrev_i32 v21, 31, v16 :: v_dual_add_nc_u32 v4, 1, v3
	v_cndmask_b32_e32 v2, v2, v5, vcc_lo
	v_mul_u64_e32 v[14:15], s[46:47], v[0:1]
	s_delay_alu instid0(VALU_DEP_2) | instskip(NEXT) | instid1(VALU_DEP_4)
	v_cmp_le_u32_e32 vcc_lo, s56, v2
	v_dual_cndmask_b32 v2, v3, v4, vcc_lo :: v_dual_bitop2_b32 v11, s59, v21 bitop3:0x14
	s_delay_alu instid0(VALU_DEP_1) | instskip(SKIP_1) | instid1(VALU_DEP_2)
	v_xor_b32_e32 v13, v2, v11
	v_mul_i32_i24_e32 v2, 3, v11
	v_lshl_add_u32 v3, v13, 1, v13
	s_delay_alu instid0(VALU_DEP_1) | instskip(NEXT) | instid1(VALU_DEP_1)
	v_dual_sub_nc_u32 v2, v3, v2 :: v_dual_sub_nc_u32 v10, v13, v11
	v_dual_mov_b32 v3, v1 :: v_dual_add_nc_u32 v4, 2, v2
	s_delay_alu instid0(VALU_DEP_2)
	v_mul_lo_u32 v17, s71, v10
	v_mad_u32 v18, s6, v2, s6
	v_add_nc_u32_e32 v2, 3, v2
	v_mul_lo_u32 v6, v15, s63
	v_mul_lo_u32 v19, s6, v4
	v_add_nc_u32_e32 v4, 1, v15
	s_delay_alu instid0(VALU_DEP_4) | instskip(SKIP_1) | instid1(VALU_DEP_4)
	v_mul_lo_u32 v20, s6, v2
	v_dual_mov_b32 v5, v1 :: v_dual_add_nc_u32 v8, v16, v17
	v_dual_add_nc_u32 v2, v16, v18 :: v_dual_add_nc_u32 v12, v16, v19
	s_delay_alu instid0(VALU_DEP_2) | instskip(NEXT) | instid1(VALU_DEP_2)
	v_dual_ashrrev_i32 v22, 31, v8 :: v_dual_sub_nc_u32 v8, v0, v6
	v_ashrrev_i32_e32 v23, 31, v2
	s_delay_alu instid0(VALU_DEP_2) | instskip(SKIP_1) | instid1(VALU_DEP_4)
	v_add3_u32 v6, v22, v17, v16
	v_add_nc_u32_e32 v14, v16, v20
	v_cmp_le_u32_e32 vcc_lo, s63, v8
	s_delay_alu instid0(VALU_DEP_3) | instskip(NEXT) | instid1(VALU_DEP_3)
	v_xor_b32_e32 v2, v6, v22
	v_dual_cndmask_b32 v36, v15, v4 :: v_dual_ashrrev_i32 v25, 31, v14
	v_add3_u32 v4, v23, v18, v16
	v_ashrrev_i32_e32 v24, 31, v12
	s_delay_alu instid0(VALU_DEP_4)
	v_mul_u64_e32 v[14:15], s[40:41], v[2:3]
	v_mul_u64_e32 v[26:27], s[42:43], v[2:3]
	v_subrev_nc_u32_e32 v12, s63, v8
	v_xor_b32_e32 v6, v4, v23
	v_add3_u32 v4, v24, v19, v16
	v_add3_u32 v14, v25, v20, v16
	s_delay_alu instid0(VALU_DEP_4) | instskip(NEXT) | instid1(VALU_DEP_4)
	v_dual_cndmask_b32 v12, v8, v12, vcc_lo :: v_dual_bitop2_b32 v26, s68, v21 bitop3:0x14
	v_mul_u64_e32 v[28:29], s[40:41], v[6:7]
	v_mul_u64_e32 v[30:31], s[42:43], v[6:7]
	v_xor_b32_e32 v4, v4, v24
	v_dual_add_nc_u32 v14, 1, v36 :: v_dual_bitop2_b32 v8, v14, v25 bitop3:0x14
	v_cmp_le_u32_e32 vcc_lo, s63, v12
	v_xor_b32_e32 v28, s61, v23
	v_xor_b32_e32 v30, s64, v23
	s_delay_alu instid0(VALU_DEP_4) | instskip(SKIP_4) | instid1(VALU_DEP_3)
	v_mul_u64_e32 v[34:35], s[40:41], v[8:9]
	v_mul_u64_e32 v[38:39], s[42:43], v[8:9]
	v_cndmask_b32_e32 v12, v36, v14, vcc_lo
	v_xor_b32_e32 v14, s61, v22
	v_xor_b32_e32 v40, s64, v25
	v_dual_add_nc_u32 v42, 1, v15 :: v_dual_bitop2_b32 v12, v12, v26 bitop3:0x14
	v_mul_u64_e32 v[32:33], s[40:41], v[4:5]
	v_mul_u64_e32 v[36:37], s[42:43], v[4:5]
	v_mul_lo_u32 v41, v27, s60
	v_mul_lo_u32 v34, v15, s57
	v_dual_add_nc_u32 v43, 1, v27 :: v_dual_bitop2_b32 v32, s61, v24 bitop3:0x14
	v_sub_nc_u32_e32 v12, v12, v26
	v_mul_lo_u32 v44, v29, s57
	v_mul_lo_u32 v46, v31, s60
	v_dual_add_nc_u32 v45, 1, v29 :: v_dual_bitop2_b32 v26, s64, v22 bitop3:0x14
	v_dual_add_nc_u32 v47, 1, v31 :: v_dual_bitop2_b32 v38, s64, v24 bitop3:0x14
	v_dual_sub_nc_u32 v41, v2, v41 :: v_dual_sub_nc_u32 v34, v2, v34
	v_mul_lo_u32 v50, v35, s57
	v_sub_nc_u32_e32 v44, v6, v44
	s_delay_alu instid0(VALU_DEP_3) | instskip(NEXT) | instid1(VALU_DEP_4)
	v_cmp_le_u32_e64 s0, s60, v41
	v_cmp_le_u32_e32 vcc_lo, s57, v34
	v_subrev_nc_u32_e32 v52, s57, v34
	v_dual_add_nc_u32 v53, 1, v39 :: v_dual_bitop2_b32 v36, s61, v25 bitop3:0x14
	s_delay_alu instid0(VALU_DEP_4) | instskip(NEXT) | instid1(VALU_DEP_3)
	v_cndmask_b32_e64 v27, v27, v43, s0
	v_dual_cndmask_b32 v15, v15, v42 :: v_dual_cndmask_b32 v34, v34, v52
	v_subrev_nc_u32_e32 v52, s60, v41
	v_dual_add_nc_u32 v42, 1, v35 :: v_dual_sub_nc_u32 v50, v8, v50
	v_mul_lo_u32 v48, v33, s57
	v_add_nc_u32_e32 v43, 1, v37
	v_cmp_le_u32_e64 s1, s57, v44
	v_sub_nc_u32_e32 v46, v6, v46
	v_mul_lo_u32 v51, v37, s60
	v_dual_cndmask_b32 v41, v41, v52, s0 :: v_dual_add_nc_u32 v52, 1, v27
	s_delay_alu instid0(VALU_DEP_4)
	v_cndmask_b32_e64 v29, v29, v45, s1
	v_mul_lo_u32 v45, v39, s60
	v_cmp_le_u32_e32 vcc_lo, s60, v46
	v_cmp_le_u32_e64 s0, s57, v34
	v_dual_sub_nc_u32 v48, v4, v48 :: v_dual_add_nc_u32 v49, 1, v33
	v_subrev_nc_u32_e32 v54, s57, v44
	v_cndmask_b32_e32 v31, v31, v47, vcc_lo
	v_add_nc_u32_e32 v47, 1, v15
	v_subrev_nc_u32_e32 v34, s60, v46
	v_sub_nc_u32_e32 v51, v4, v51
	v_cmp_le_u32_e64 s2, s60, v41
	s_delay_alu instid0(VALU_DEP_4) | instskip(SKIP_4) | instid1(VALU_DEP_4)
	v_dual_sub_nc_u32 v45, v8, v45 :: v_dual_cndmask_b32 v15, v15, v47, s0
	v_cmp_le_u32_e64 s0, s57, v48
	v_dual_cndmask_b32 v44, v44, v54, s1 :: v_dual_add_nc_u32 v47, 1, v29
	v_cmp_le_u32_e64 s1, s57, v50
	v_dual_cndmask_b32 v27, v27, v52, s2 :: v_dual_cndmask_b32 v34, v46, v34, vcc_lo
	v_cndmask_b32_e64 v33, v33, v49, s0
	v_subrev_nc_u32_e32 v49, s57, v48
	v_cmp_le_u32_e32 vcc_lo, s60, v51
	v_dual_cndmask_b32 v35, v35, v42, s1 :: v_dual_add_nc_u32 v41, 1, v31
	v_subrev_nc_u32_e32 v42, s57, v50
	v_cmp_le_u32_e64 s2, s60, v45
	v_cndmask_b32_e32 v37, v37, v43, vcc_lo
	v_subrev_nc_u32_e32 v43, s60, v51
	v_cmp_le_u32_e64 s3, s57, v44
	v_dual_cndmask_b32 v44, v48, v49, s0 :: v_dual_cndmask_b32 v42, v50, v42, s1
	v_cndmask_b32_e64 v39, v39, v53, s2
	v_subrev_nc_u32_e32 v46, s60, v45
	s_delay_alu instid0(VALU_DEP_4)
	v_dual_cndmask_b32 v29, v29, v47, s3 :: v_dual_bitop2_b32 v15, v15, v14 bitop3:0x14
	v_dual_add_nc_u32 v47, 1, v33 :: v_dual_add_nc_u32 v48, 1, v35
	v_cmp_le_u32_e64 s0, s60, v34
	v_cndmask_b32_e32 v34, v51, v43, vcc_lo
	v_cmp_le_u32_e32 vcc_lo, s57, v44
	v_dual_cndmask_b32 v43, v45, v46, s2 :: v_dual_add_nc_u32 v45, 1, v39
	v_sub_nc_u32_e32 v14, v15, v14
	v_dual_cndmask_b32 v31, v31, v41, s0 :: v_dual_bitop2_b32 v15, v29, v28 bitop3:0x14
	v_cndmask_b32_e32 v29, v33, v47, vcc_lo
	v_cmp_le_u32_e32 vcc_lo, s57, v42
	v_dual_add_nc_u32 v41, 1, v37 :: v_dual_bitop2_b32 v27, v27, v26 bitop3:0x14
	s_delay_alu instid0(VALU_DEP_4) | instskip(SKIP_2) | instid1(VALU_DEP_4)
	v_sub_nc_u32_e32 v15, v15, v28
	v_cndmask_b32_e32 v33, v35, v48, vcc_lo
	v_cmp_le_u32_e32 vcc_lo, s60, v34
	v_dual_sub_nc_u32 v26, v27, v26 :: v_dual_bitop2_b32 v28, v29, v32 bitop3:0x14
	v_xor_b32_e32 v27, v31, v30
	v_mul_lo_u32 v35, v14, s5
	v_cndmask_b32_e32 v31, v37, v41, vcc_lo
	v_cmp_le_u32_e32 vcc_lo, s60, v43
	v_xor_b32_e32 v29, v33, v36
	v_dual_sub_nc_u32 v28, v28, v32 :: v_dual_sub_nc_u32 v27, v27, v30
	s_delay_alu instid0(VALU_DEP_4)
	v_xor_b32_e32 v30, v31, v38
	v_cndmask_b32_e32 v34, v39, v45, vcc_lo
	v_mul_lo_u32 v33, v26, s33
	v_sub_nc_u32_e32 v29, v29, v36
	v_mul_lo_u32 v32, v27, s33
	v_sub_nc_u32_e32 v30, v30, v38
	v_dual_sub_nc_u32 v35, v17, v35 :: v_dual_bitop2_b32 v31, v34, v40 bitop3:0x14
	v_mul_lo_u32 v34, v15, s5
	v_mul_lo_u32 v36, v28, s5
	;; [unrolled: 1-line block ×4, first 2 shown]
	v_dual_sub_nc_u32 v31, v31, v40 :: v_dual_sub_nc_u32 v33, v17, v33
	v_dual_add_nc_u32 v35, v16, v35 :: v_dual_sub_nc_u32 v32, v18, v32
	v_mad_u32 v40, s73, v12, v16
	s_delay_alu instid0(VALU_DEP_3) | instskip(NEXT) | instid1(VALU_DEP_4)
	v_mul_lo_u32 v39, v31, s33
	v_dual_add_nc_u32 v33, v16, v33 :: v_dual_sub_nc_u32 v34, v18, v34
	v_dual_sub_nc_u32 v36, v19, v36 :: v_dual_sub_nc_u32 v37, v20, v37
	v_dual_sub_nc_u32 v38, v19, v38 :: v_dual_add_nc_u32 v32, v16, v32
	s_delay_alu instid0(VALU_DEP_2) | instskip(NEXT) | instid1(VALU_DEP_2)
	v_dual_add_nc_u32 v34, v16, v34 :: v_dual_add_nc_u32 v36, v16, v36
	v_dual_add_nc_u32 v37, v16, v37 :: v_dual_add_nc_u32 v38, v16, v38
	s_delay_alu instid0(VALU_DEP_3)
	v_mul_lo_u32 v32, v32, s19
	v_sub_nc_u32_e32 v39, v20, v39
	v_mul_lo_u32 v35, v35, s15
	v_mul_lo_u32 v34, v34, s15
	;; [unrolled: 1-line block ×4, first 2 shown]
	v_add_nc_u32_e32 v39, v16, v39
	v_mul_lo_u32 v37, v37, s15
	v_mul_lo_u32 v33, v33, s19
	;; [unrolled: 1-line block ×3, first 2 shown]
	s_and_not1_b32 vcc_lo, exec_lo, s55
	v_mad_u32 v27, v27, s18, v32
	v_mad_u32 v14, v14, s14, v35
	;; [unrolled: 1-line block ×4, first 2 shown]
	v_mov_b32_e32 v38, v1
	v_mul_lo_u32 v39, v39, s19
	v_mad_u32 v28, v28, s14, v36
	v_mad_u32 v29, v29, s14, v37
	;; [unrolled: 1-line block ×4, first 2 shown]
	v_dual_mov_b32 v34, v1 :: v_dual_mov_b32 v35, v1
	v_mad_u32 v33, v31, s18, v39
	s_clause 0x3
	global_load_u16 v30, v14, s[12:13] scale_offset
	global_load_u16 v14, v15, s[12:13] scale_offset
	;; [unrolled: 1-line block ×4, first 2 shown]
	s_clause 0x3
	global_load_u16 v31, v26, s[16:17] scale_offset
	global_load_u16 v15, v27, s[16:17] scale_offset
	;; [unrolled: 1-line block ×5, first 2 shown]
	s_wait_xcnt 0x2
	v_dual_mov_b32 v26, v1 :: v_dual_mov_b32 v32, v1
	s_wait_xcnt 0x1
	v_dual_mov_b32 v33, v1 :: v_dual_mov_b32 v27, v1
	v_mov_b32_e32 v39, v1
	s_cbranch_vccnz .LBB9_5
; %bb.4:                                ;   in Loop: Header=BB9_3 Depth=1
	v_sub_nc_u32_e32 v11, v11, v13
	v_mad_u32 v10, s72, v10, v16
	s_delay_alu instid0(VALU_DEP_2) | instskip(SKIP_1) | instid1(VALU_DEP_1)
	v_mul_lo_u32 v13, s6, v11
	v_dual_add_nc_u32 v26, 2, v11 :: v_dual_add_nc_u32 v11, 3, v11
	v_mad_u32 v26, s6, v26, v16
	s_delay_alu instid0(VALU_DEP_2) | instskip(SKIP_3) | instid1(VALU_DEP_1)
	v_mad_u32 v11, s6, v11, v16
	v_mul_lo_u32 v27, v10, s52
	v_mul_lo_u32 v10, v10, s53
	v_add3_u32 v13, v13, s6, v16
	v_mul_lo_u32 v32, v13, s52
	v_mul_lo_u32 v13, v13, s53
	;; [unrolled: 1-line block ×6, first 2 shown]
	global_load_u16 v27, v27, s[10:11] scale_offset
	global_load_u16 v10, v10, s[20:21] scale_offset
	;; [unrolled: 1-line block ×8, first 2 shown]
	s_wait_loadcnt 0x7
	v_cvt_f32_f16_e32 v35, v27
	s_wait_loadcnt 0x6
	s_wait_xcnt 0x3
	v_cvt_f32_f16_e32 v33, v10
	s_wait_loadcnt 0x5
	s_wait_xcnt 0x1
	v_cvt_f32_f16_e32 v34, v32
	s_wait_loadcnt 0x4
	v_cvt_f32_f16_e32 v32, v13
	s_wait_loadcnt 0x3
	;; [unrolled: 2-line block ×5, first 2 shown]
	v_cvt_f32_f16_e32 v26, v11
.LBB9_5:                                ;   in Loop: Header=BB9_3 Depth=1
	s_wait_loadcnt 0x6
	v_cvt_f32_f16_e32 v10, v36
	s_wait_loadcnt 0x2
	s_wait_xcnt 0x0
	v_cvt_f32_f16_e32 v11, v37
                                        ; implicit-def: $vgpr13
	s_delay_alu instid0(VALU_DEP_1) | instskip(NEXT) | instid1(VALU_DEP_1)
	v_add_f32_e32 v10, v10, v11
	v_add_f32_e32 v10, v10, v39
	s_delay_alu instid0(VALU_DEP_1) | instskip(NEXT) | instid1(VALU_DEP_1)
	v_add_f32_e32 v10, v38, v10
	v_cmp_ngt_f32_e64 s0, 0x3f200000, |v10|
	s_wait_xcnt 0x0
	s_and_saveexec_b32 s1, s0
	s_delay_alu instid0(SALU_CYCLE_1)
	s_xor_b32 s0, exec_lo, s1
	s_cbranch_execz .LBB9_7
; %bb.6:                                ;   in Loop: Header=BB9_3 Depth=1
	v_add_f32_e64 v11, |v10|, |v10|
	s_delay_alu instid0(VALU_DEP_1) | instskip(SKIP_1) | instid1(VALU_DEP_2)
	v_mul_f32_e32 v13, 0x3fb8aa3b, v11
	v_cmp_ngt_f32_e32 vcc_lo, 0xc2ce8ed0, v11
	v_rndne_f32_e32 v36, v13
	v_fma_f32 v37, 0x3fb8aa3b, v11, -v13
	s_delay_alu instid0(VALU_DEP_2) | instskip(NEXT) | instid1(VALU_DEP_2)
	v_sub_f32_e32 v13, v13, v36
	v_fmac_f32_e32 v37, 0x32a5705f, v11
	v_cvt_i32_f32_e32 v36, v36
	s_delay_alu instid0(VALU_DEP_2) | instskip(NEXT) | instid1(VALU_DEP_1)
	v_add_f32_e32 v13, v13, v37
	v_exp_f32_e32 v13, v13
	v_nop
	s_delay_alu instid0(TRANS32_DEP_1) | instskip(NEXT) | instid1(VALU_DEP_1)
	v_ldexp_f32 v13, v13, v36
	v_cndmask_b32_e32 v13, 0, v13, vcc_lo
	v_cmp_nlt_f32_e32 vcc_lo, 0x42b17218, v11
	s_delay_alu instid0(VALU_DEP_2) | instskip(NEXT) | instid1(VALU_DEP_1)
	v_cndmask_b32_e32 v11, 0x7f800000, v13, vcc_lo
	v_add_f32_e32 v11, 1.0, v11
	s_delay_alu instid0(VALU_DEP_1) | instskip(SKIP_1) | instid1(TRANS32_DEP_1)
	v_rcp_f32_e32 v11, v11
	v_nop
	v_fma_f32 v13, v11, -2.0, 1.0
.LBB9_7:                                ;   in Loop: Header=BB9_3 Depth=1
	s_and_not1_saveexec_b32 s0, s0
	s_cbranch_execz .LBB9_9
; %bb.8:                                ;   in Loop: Header=BB9_3 Depth=1
	v_mul_f32_e32 v11, v10, v10
	s_delay_alu instid0(VALU_DEP_1) | instskip(NEXT) | instid1(VALU_DEP_1)
	v_fmaak_f32 v13, s76, v11, 0x3ca908c9
	v_fmaak_f32 v13, v11, v13, 0xbd5c1c4e
	s_delay_alu instid0(VALU_DEP_1) | instskip(NEXT) | instid1(VALU_DEP_1)
	v_fmaak_f32 v13, v11, v13, 0x3e088382
	v_fmaak_f32 v13, v11, v13, 0xbeaaaa99
	s_delay_alu instid0(VALU_DEP_1) | instskip(NEXT) | instid1(VALU_DEP_1)
	v_mul_f32_e64 v13, |v10|, v13
	v_fma_f32 v13, v11, v13, |v10|
.LBB9_9:                                ;   in Loop: Header=BB9_3 Depth=1
	s_or_b32 exec_lo, exec_lo, s0
	v_cvt_f32_f16_e32 v11, v30
	v_cvt_f32_f16_e32 v30, v31
	;; [unrolled: 1-line block ×4, first 2 shown]
	v_bfi_b32 v13, 0x7fffffff, v13, v10
	s_wait_loadcnt 0x0
	v_cvt_f32_f16_e32 v12, v12
	s_delay_alu instid0(VALU_DEP_3) | instskip(NEXT) | instid1(VALU_DEP_1)
	v_dual_add_f32 v11, v11, v30 :: v_dual_add_f32 v14, v14, v15
	v_dual_add_f32 v11, v11, v35 :: v_dual_add_f32 v14, v14, v34
	s_delay_alu instid0(VALU_DEP_1) | instskip(NEXT) | instid1(VALU_DEP_1)
	v_dual_add_f32 v11, v33, v11 :: v_dual_add_f32 v14, v32, v14
	v_mul_f32_e32 v15, 0xbfb8aa3b, v11
	v_cmp_nlt_f32_e32 vcc_lo, 0x42ce8ed0, v11
	s_delay_alu instid0(VALU_DEP_3) | instskip(NEXT) | instid1(VALU_DEP_3)
	v_mul_f32_e32 v30, 0xbfb8aa3b, v14
	v_fma_f32 v31, 0xbfb8aa3b, v11, -v15
	v_rndne_f32_e32 v32, v15
	s_delay_alu instid0(VALU_DEP_3) | instskip(SKIP_1) | instid1(VALU_DEP_4)
	v_fma_f32 v33, 0xbfb8aa3b, v14, -v30
	v_rndne_f32_e32 v34, v30
	v_fmac_f32_e32 v31, 0xb2a5705f, v11
	s_delay_alu instid0(VALU_DEP_3) | instskip(NEXT) | instid1(VALU_DEP_3)
	v_fmac_f32_e32 v33, 0xb2a5705f, v14
	v_dual_sub_f32 v30, v30, v34 :: v_dual_sub_f32 v15, v15, v32
	s_delay_alu instid0(VALU_DEP_1) | instskip(SKIP_2) | instid1(VALU_DEP_3)
	v_dual_add_f32 v30, v30, v33 :: v_dual_add_f32 v15, v15, v31
	v_cvt_i32_f32_e32 v31, v32
	v_cvt_i32_f32_e32 v32, v34
	v_exp_f32_e32 v30, v30
	s_delay_alu instid0(VALU_DEP_3) | instskip(NEXT) | instid1(TRANS32_DEP_2)
	v_exp_f32_e32 v15, v15
	v_ldexp_f32 v30, v30, v32
	s_delay_alu instid0(TRANS32_DEP_1) | instskip(NEXT) | instid1(VALU_DEP_1)
	v_ldexp_f32 v15, v15, v31
	v_cndmask_b32_e32 v15, 0, v15, vcc_lo
	v_cmp_nlt_f32_e32 vcc_lo, 0x42ce8ed0, v14
	s_delay_alu instid0(VALU_DEP_4) | instskip(SKIP_1) | instid1(VALU_DEP_4)
	v_cndmask_b32_e32 v30, 0, v30, vcc_lo
	v_cmp_ngt_f32_e32 vcc_lo, 0xc2b17218, v11
	v_cndmask_b32_e32 v15, 0x7f800000, v15, vcc_lo
	v_cmp_ngt_f32_e32 vcc_lo, 0xc2b17218, v14
	s_delay_alu instid0(VALU_DEP_4) | instskip(NEXT) | instid1(VALU_DEP_1)
	v_cndmask_b32_e32 v14, 0x7f800000, v30, vcc_lo
	v_pk_add_f32 v[14:15], v[14:15], 1.0 op_sel_hi:[1,0]
	s_delay_alu instid0(VALU_DEP_1) | instskip(NEXT) | instid1(VALU_DEP_2)
	v_div_scale_f32 v11, null, v15, v15, 1.0
	v_div_scale_f32 v30, null, v14, v14, 1.0
	v_div_scale_f32 v35, vcc_lo, 1.0, v15, 1.0
	s_delay_alu instid0(VALU_DEP_3) | instskip(NEXT) | instid1(VALU_DEP_2)
	v_rcp_f32_e32 v31, v11
	v_rcp_f32_e32 v32, v30
	s_delay_alu instid0(TRANS32_DEP_2) | instskip(NEXT) | instid1(TRANS32_DEP_1)
	v_fma_f32 v33, -v11, v31, 1.0
	v_fma_f32 v34, -v30, v32, 1.0
	s_delay_alu instid0(VALU_DEP_2) | instskip(SKIP_1) | instid1(VALU_DEP_3)
	v_fmac_f32_e32 v31, v33, v31
	v_div_scale_f32 v33, s0, 1.0, v14, 1.0
	v_fmac_f32_e32 v32, v34, v32
	s_delay_alu instid0(VALU_DEP_1) | instskip(NEXT) | instid1(VALU_DEP_1)
	v_dual_mul_f32 v36, v33, v32 :: v_dual_mul_f32 v34, v35, v31
	v_dual_fma_f32 v38, -v30, v36, v33 :: v_dual_fma_f32 v37, -v11, v34, v35
	s_delay_alu instid0(VALU_DEP_1) | instskip(NEXT) | instid1(VALU_DEP_1)
	v_dual_fmac_f32 v36, v38, v32 :: v_dual_fmac_f32 v34, v37, v31
	v_dual_fma_f32 v30, -v30, v36, v33 :: v_dual_fma_f32 v11, -v11, v34, v35
	s_delay_alu instid0(VALU_DEP_1) | instskip(SKIP_1) | instid1(VALU_DEP_2)
	v_div_fmas_f32 v11, v11, v31, v34
	s_mov_b32 vcc_lo, s0
	v_div_fmas_f32 v30, v30, v32, v36
	s_delay_alu instid0(VALU_DEP_2) | instskip(NEXT) | instid1(VALU_DEP_2)
	v_div_fixup_f32 v11, v11, v15, 1.0
	v_div_fixup_f32 v10, v30, v14, 1.0
	s_delay_alu instid0(VALU_DEP_2) | instskip(NEXT) | instid1(VALU_DEP_1)
	v_mul_f32_e32 v14, v11, v13
	v_pk_fma_f32 v[14:15], v[10:11], v[12:13], v[14:15] op_sel_hi:[1,1,0]
                                        ; implicit-def: $vgpr12
	s_delay_alu instid0(VALU_DEP_1) | instskip(SKIP_1) | instid1(SALU_CYCLE_1)
	v_cmp_ngt_f32_e64 s0, 0x3f200000, |v14|
	s_and_saveexec_b32 s1, s0
	s_xor_b32 s0, exec_lo, s1
	s_cbranch_execz .LBB9_11
; %bb.10:                               ;   in Loop: Header=BB9_3 Depth=1
	v_add_f32_e64 v12, |v14|, |v14|
	s_delay_alu instid0(VALU_DEP_1) | instskip(SKIP_1) | instid1(VALU_DEP_2)
	v_mul_f32_e32 v15, 0x3fb8aa3b, v12
	v_cmp_ngt_f32_e32 vcc_lo, 0xc2ce8ed0, v12
	v_rndne_f32_e32 v30, v15
	v_fma_f32 v31, 0x3fb8aa3b, v12, -v15
	s_delay_alu instid0(VALU_DEP_2) | instskip(NEXT) | instid1(VALU_DEP_2)
	v_sub_f32_e32 v15, v15, v30
	v_fmac_f32_e32 v31, 0x32a5705f, v12
	v_cvt_i32_f32_e32 v30, v30
	s_delay_alu instid0(VALU_DEP_2) | instskip(NEXT) | instid1(VALU_DEP_1)
	v_add_f32_e32 v15, v15, v31
	v_exp_f32_e32 v15, v15
	v_nop
	s_delay_alu instid0(TRANS32_DEP_1) | instskip(NEXT) | instid1(VALU_DEP_1)
	v_ldexp_f32 v15, v15, v30
	v_cndmask_b32_e32 v15, 0, v15, vcc_lo
	v_cmp_nlt_f32_e32 vcc_lo, 0x42b17218, v12
	s_delay_alu instid0(VALU_DEP_2) | instskip(NEXT) | instid1(VALU_DEP_1)
	v_cndmask_b32_e32 v12, 0x7f800000, v15, vcc_lo
	v_add_f32_e32 v12, 1.0, v12
	s_delay_alu instid0(VALU_DEP_1) | instskip(SKIP_1) | instid1(TRANS32_DEP_1)
	v_rcp_f32_e32 v12, v12
	v_nop
	v_fma_f32 v12, v12, -2.0, 1.0
.LBB9_11:                               ;   in Loop: Header=BB9_3 Depth=1
	s_and_not1_saveexec_b32 s0, s0
	s_cbranch_execz .LBB9_2
; %bb.12:                               ;   in Loop: Header=BB9_3 Depth=1
	v_mul_f32_e32 v12, v14, v14
	s_delay_alu instid0(VALU_DEP_1) | instskip(NEXT) | instid1(VALU_DEP_1)
	v_fmaak_f32 v15, s76, v12, 0x3ca908c9
	v_fmaak_f32 v15, v12, v15, 0xbd5c1c4e
	s_delay_alu instid0(VALU_DEP_1) | instskip(NEXT) | instid1(VALU_DEP_1)
	v_fmaak_f32 v15, v12, v15, 0x3e088382
	v_fmaak_f32 v15, v12, v15, 0xbeaaaa99
	s_delay_alu instid0(VALU_DEP_1) | instskip(NEXT) | instid1(VALU_DEP_1)
	v_mul_f32_e64 v15, |v14|, v15
	v_fma_f32 v12, v12, v15, |v14|
	s_branch .LBB9_2
.LBB9_13:
	s_endpgm
	.section	.rodata,"a",@progbits
	.p2align	6, 0x0
	.amdhsa_kernel _ZN2at6native12_GLOBAL__N_16kernel17lstm_cell_forwardIN3c104HalfEfiLi2EEEvNS_4cuda6detail10TensorInfoIT_T1_EESB_SB_SB_SB_SB_SB_SB_SA_SA_
		.amdhsa_group_segment_fixed_size 0
		.amdhsa_private_segment_fixed_size 0
		.amdhsa_kernarg_size 1992
		.amdhsa_user_sgpr_count 2
		.amdhsa_user_sgpr_dispatch_ptr 0
		.amdhsa_user_sgpr_queue_ptr 0
		.amdhsa_user_sgpr_kernarg_segment_ptr 1
		.amdhsa_user_sgpr_dispatch_id 0
		.amdhsa_user_sgpr_kernarg_preload_length 0
		.amdhsa_user_sgpr_kernarg_preload_offset 0
		.amdhsa_user_sgpr_private_segment_size 0
		.amdhsa_wavefront_size32 1
		.amdhsa_uses_dynamic_stack 0
		.amdhsa_enable_private_segment 0
		.amdhsa_system_sgpr_workgroup_id_x 1
		.amdhsa_system_sgpr_workgroup_id_y 0
		.amdhsa_system_sgpr_workgroup_id_z 0
		.amdhsa_system_sgpr_workgroup_info 0
		.amdhsa_system_vgpr_workitem_id 0
		.amdhsa_next_free_vgpr 55
		.amdhsa_next_free_sgpr 78
		.amdhsa_named_barrier_count 0
		.amdhsa_reserve_vcc 1
		.amdhsa_float_round_mode_32 0
		.amdhsa_float_round_mode_16_64 0
		.amdhsa_float_denorm_mode_32 3
		.amdhsa_float_denorm_mode_16_64 3
		.amdhsa_fp16_overflow 0
		.amdhsa_memory_ordered 1
		.amdhsa_forward_progress 1
		.amdhsa_inst_pref_size 37
		.amdhsa_round_robin_scheduling 0
		.amdhsa_exception_fp_ieee_invalid_op 0
		.amdhsa_exception_fp_denorm_src 0
		.amdhsa_exception_fp_ieee_div_zero 0
		.amdhsa_exception_fp_ieee_overflow 0
		.amdhsa_exception_fp_ieee_underflow 0
		.amdhsa_exception_fp_ieee_inexact 0
		.amdhsa_exception_int_div_zero 0
	.end_amdhsa_kernel
	.section	.text._ZN2at6native12_GLOBAL__N_16kernel17lstm_cell_forwardIN3c104HalfEfiLi2EEEvNS_4cuda6detail10TensorInfoIT_T1_EESB_SB_SB_SB_SB_SB_SB_SA_SA_,"axG",@progbits,_ZN2at6native12_GLOBAL__N_16kernel17lstm_cell_forwardIN3c104HalfEfiLi2EEEvNS_4cuda6detail10TensorInfoIT_T1_EESB_SB_SB_SB_SB_SB_SB_SA_SA_,comdat
.Lfunc_end9:
	.size	_ZN2at6native12_GLOBAL__N_16kernel17lstm_cell_forwardIN3c104HalfEfiLi2EEEvNS_4cuda6detail10TensorInfoIT_T1_EESB_SB_SB_SB_SB_SB_SB_SA_SA_, .Lfunc_end9-_ZN2at6native12_GLOBAL__N_16kernel17lstm_cell_forwardIN3c104HalfEfiLi2EEEvNS_4cuda6detail10TensorInfoIT_T1_EESB_SB_SB_SB_SB_SB_SB_SA_SA_
                                        ; -- End function
	.set _ZN2at6native12_GLOBAL__N_16kernel17lstm_cell_forwardIN3c104HalfEfiLi2EEEvNS_4cuda6detail10TensorInfoIT_T1_EESB_SB_SB_SB_SB_SB_SB_SA_SA_.num_vgpr, 55
	.set _ZN2at6native12_GLOBAL__N_16kernel17lstm_cell_forwardIN3c104HalfEfiLi2EEEvNS_4cuda6detail10TensorInfoIT_T1_EESB_SB_SB_SB_SB_SB_SB_SA_SA_.num_agpr, 0
	.set _ZN2at6native12_GLOBAL__N_16kernel17lstm_cell_forwardIN3c104HalfEfiLi2EEEvNS_4cuda6detail10TensorInfoIT_T1_EESB_SB_SB_SB_SB_SB_SB_SA_SA_.numbered_sgpr, 78
	.set _ZN2at6native12_GLOBAL__N_16kernel17lstm_cell_forwardIN3c104HalfEfiLi2EEEvNS_4cuda6detail10TensorInfoIT_T1_EESB_SB_SB_SB_SB_SB_SB_SA_SA_.num_named_barrier, 0
	.set _ZN2at6native12_GLOBAL__N_16kernel17lstm_cell_forwardIN3c104HalfEfiLi2EEEvNS_4cuda6detail10TensorInfoIT_T1_EESB_SB_SB_SB_SB_SB_SB_SA_SA_.private_seg_size, 0
	.set _ZN2at6native12_GLOBAL__N_16kernel17lstm_cell_forwardIN3c104HalfEfiLi2EEEvNS_4cuda6detail10TensorInfoIT_T1_EESB_SB_SB_SB_SB_SB_SB_SA_SA_.uses_vcc, 1
	.set _ZN2at6native12_GLOBAL__N_16kernel17lstm_cell_forwardIN3c104HalfEfiLi2EEEvNS_4cuda6detail10TensorInfoIT_T1_EESB_SB_SB_SB_SB_SB_SB_SA_SA_.uses_flat_scratch, 0
	.set _ZN2at6native12_GLOBAL__N_16kernel17lstm_cell_forwardIN3c104HalfEfiLi2EEEvNS_4cuda6detail10TensorInfoIT_T1_EESB_SB_SB_SB_SB_SB_SB_SA_SA_.has_dyn_sized_stack, 0
	.set _ZN2at6native12_GLOBAL__N_16kernel17lstm_cell_forwardIN3c104HalfEfiLi2EEEvNS_4cuda6detail10TensorInfoIT_T1_EESB_SB_SB_SB_SB_SB_SB_SA_SA_.has_recursion, 0
	.set _ZN2at6native12_GLOBAL__N_16kernel17lstm_cell_forwardIN3c104HalfEfiLi2EEEvNS_4cuda6detail10TensorInfoIT_T1_EESB_SB_SB_SB_SB_SB_SB_SA_SA_.has_indirect_call, 0
	.section	.AMDGPU.csdata,"",@progbits
; Kernel info:
; codeLenInByte = 4672
; TotalNumSgprs: 80
; NumVgprs: 55
; ScratchSize: 0
; MemoryBound: 0
; FloatMode: 240
; IeeeMode: 1
; LDSByteSize: 0 bytes/workgroup (compile time only)
; SGPRBlocks: 0
; VGPRBlocks: 3
; NumSGPRsForWavesPerEU: 80
; NumVGPRsForWavesPerEU: 55
; NamedBarCnt: 0
; Occupancy: 16
; WaveLimiterHint : 1
; COMPUTE_PGM_RSRC2:SCRATCH_EN: 0
; COMPUTE_PGM_RSRC2:USER_SGPR: 2
; COMPUTE_PGM_RSRC2:TRAP_HANDLER: 0
; COMPUTE_PGM_RSRC2:TGID_X_EN: 1
; COMPUTE_PGM_RSRC2:TGID_Y_EN: 0
; COMPUTE_PGM_RSRC2:TGID_Z_EN: 0
; COMPUTE_PGM_RSRC2:TIDIG_COMP_CNT: 0
	.section	.text._ZN2at6native12_GLOBAL__N_16kernel17lstm_cell_forwardIN3c104HalfEflLi1EEEvNS_4cuda6detail10TensorInfoIT_T1_EESB_SB_SB_SB_SB_SB_SB_SA_SA_,"axG",@progbits,_ZN2at6native12_GLOBAL__N_16kernel17lstm_cell_forwardIN3c104HalfEflLi1EEEvNS_4cuda6detail10TensorInfoIT_T1_EESB_SB_SB_SB_SB_SB_SB_SA_SA_,comdat
	.globl	_ZN2at6native12_GLOBAL__N_16kernel17lstm_cell_forwardIN3c104HalfEflLi1EEEvNS_4cuda6detail10TensorInfoIT_T1_EESB_SB_SB_SB_SB_SB_SB_SA_SA_ ; -- Begin function _ZN2at6native12_GLOBAL__N_16kernel17lstm_cell_forwardIN3c104HalfEflLi1EEEvNS_4cuda6detail10TensorInfoIT_T1_EESB_SB_SB_SB_SB_SB_SB_SA_SA_
	.p2align	8
	.type	_ZN2at6native12_GLOBAL__N_16kernel17lstm_cell_forwardIN3c104HalfEflLi1EEEvNS_4cuda6detail10TensorInfoIT_T1_EESB_SB_SB_SB_SB_SB_SB_SA_SA_,@function
_ZN2at6native12_GLOBAL__N_16kernel17lstm_cell_forwardIN3c104HalfEflLi1EEEvNS_4cuda6detail10TensorInfoIT_T1_EESB_SB_SB_SB_SB_SB_SB_SA_SA_: ; @_ZN2at6native12_GLOBAL__N_16kernel17lstm_cell_forwardIN3c104HalfEflLi1EEEvNS_4cuda6detail10TensorInfoIT_T1_EESB_SB_SB_SB_SB_SB_SB_SA_SA_
; %bb.0:
	s_clause 0x1
	s_load_b32 s2, s[0:1], 0xd1c
	s_load_b128 s[4:7], s[0:1], 0xd00
	s_bfe_u32 s3, ttmp6, 0x4000c
	s_and_b32 s8, ttmp6, 15
	s_add_co_i32 s3, s3, 1
	s_getreg_b32 s9, hwreg(HW_REG_IB_STS2, 6, 4)
	s_mul_i32 s3, ttmp9, s3
	v_mov_b32_e32 v2, 0
	s_add_co_i32 s8, s8, s3
	s_delay_alu instid0(VALU_DEP_1)
	v_mov_b32_e32 v1, v2
	s_wait_kmcnt 0x0
	s_and_b32 s2, s2, 0xffff
	s_cmp_eq_u32 s9, 0
	s_cselect_b32 s3, ttmp9, s8
	s_mov_b32 s8, exec_lo
	v_mad_u32 v0, s3, s2, v0
	s_mov_b32 s3, 0
	s_delay_alu instid0(VALU_DEP_1)
	v_cmpx_gt_i64_e64 s[6:7], v[0:1]
	s_cbranch_execz .LBB10_18
; %bb.1:
	s_clause 0x3
	s_load_b64 s[38:39], s[0:1], 0x750
	s_load_b64 s[40:41], s[0:1], 0x8f0
	;; [unrolled: 1-line block ×4, first 2 shown]
	v_cvt_f32_u32_e32 v3, s4
	s_add_nc_u64 s[14:15], s[0:1], 0xd10
	s_clause 0x1
	s_load_b64 s[10:11], s[0:1], 0xb60
	s_load_b64 s[12:13], s[0:1], 0xc30
	s_load_b32 s28, s[14:15], 0x0
	s_clause 0x1
	s_load_b64 s[44:45], s[0:1], 0x820
	s_load_b64 s[46:47], s[0:1], 0x680
	v_rcp_iflag_f32_e32 v3, v3
	s_wait_xcnt 0x0
	s_clause 0x2
	s_load_b64 s[14:15], s[0:1], 0x410
	s_load_b64 s[16:17], s[0:1], 0x4e0
	;; [unrolled: 1-line block ×3, first 2 shown]
	s_mov_b32 s29, s3
	s_mul_u64 s[30:31], s[4:5], 3
	s_sub_nc_u64 s[34:35], 0, s[4:5]
	s_mov_b64 s[36:37], 0xffffffff
	v_nop
	v_mul_f32_e32 v3, 0x4f7ffffe, v3
	s_wait_kmcnt 0x0
	v_mul_u64_e32 v[4:5], s[38:39], v[0:1]
	v_mul_u64_e32 v[6:7], s[40:41], v[0:1]
	;; [unrolled: 1-line block ×3, first 2 shown]
	v_cvt_u32_f32_e32 v3, v3
	s_cmp_lg_u64 s[8:9], 0
	s_cselect_b32 s33, -1, 0
	s_sub_co_i32 s20, 0, s4
	s_mul_i32 s28, s28, s2
	v_mul_lo_u32 v10, s20, v3
	s_clause 0x4
	s_load_b64 s[48:49], s[0:1], 0x9c0
	s_load_b64 s[20:21], s[0:1], 0x0
	s_load_b64 s[22:23], s[0:1], 0xd0
	s_load_b64 s[24:25], s[0:1], 0x1a0
	s_load_b64 s[26:27], s[0:1], 0x270
	s_wait_xcnt 0x0
	s_mul_u64 s[0:1], s[28:29], s[38:39]
	s_mul_u64 s[40:41], s[28:29], s[40:41]
	;; [unrolled: 1-line block ×3, first 2 shown]
	s_lshl_b64 s[38:39], s[0:1], 1
	s_lshl_b64 s[40:41], s[40:41], 1
	;; [unrolled: 1-line block ×3, first 2 shown]
	s_mov_b32 s1, 0xbbbac73d
	v_mul_hi_u32 v10, v3, v10
	s_delay_alu instid0(VALU_DEP_1)
	v_add_nc_u32_e32 v24, v3, v10
	v_lshl_add_u64 v[4:5], v[4:5], 1, s[46:47]
	v_lshl_add_u64 v[6:7], v[6:7], 1, s[44:45]
	s_wait_kmcnt 0x0
	v_lshl_add_u64 v[8:9], v[8:9], 1, s[48:49]
	s_ashr_i32 s44, s5, 31
	s_mov_b32 s48, 0
	s_branch .LBB10_3
.LBB10_2:                               ;   in Loop: Header=BB10_3 Depth=1
	s_or_b32 exec_lo, exec_lo, s0
	v_cvt_f32_f16_e32 v3, v3
	v_cvt_f32_f16_e32 v23, v25
	v_mul_u64_e32 v[16:17], s[12:13], v[16:17]
	v_mul_u64_e32 v[12:13], s[12:13], v[12:13]
	;; [unrolled: 1-line block ×4, first 2 shown]
	v_add_f32_e32 v3, v3, v23
	v_bfi_b32 v20, 0x7fffffff, v20, v22
	v_add_nc_u64_e32 v[0:1], s[28:29], v[0:1]
	v_cvt_f16_f32_e32 v22, v22
	v_add_nc_u64_e32 v[4:5], s[38:39], v[4:5]
	v_add_f32_e32 v3, v3, v27
	v_cvt_f16_f32_e32 v19, v19
	v_cvt_f16_f32_e32 v21, v21
	;; [unrolled: 1-line block ×3, first 2 shown]
	s_delay_alu instid0(VALU_DEP_4) | instskip(NEXT) | instid1(VALU_DEP_1)
	v_add_f32_e32 v3, v26, v3
	v_mul_f32_e32 v23, 0xbfb8aa3b, v3
	s_delay_alu instid0(VALU_DEP_1) | instskip(SKIP_1) | instid1(VALU_DEP_1)
	v_fma_f32 v25, 0xbfb8aa3b, v3, -v23
	v_rndne_f32_e32 v26, v23
	v_sub_f32_e32 v23, v23, v26
	s_delay_alu instid0(VALU_DEP_3)
	v_fmac_f32_e32 v25, 0xb2a5705f, v3
	v_cmp_nlt_f32_e32 vcc_lo, 0x42ce8ed0, v3
	v_lshl_add_u64 v[16:17], v[16:17], 1, s[10:11]
	v_lshl_add_u64 v[12:13], v[12:13], 1, s[10:11]
	;; [unrolled: 1-line block ×3, first 2 shown]
	v_add_f32_e32 v23, v23, v25
	v_cvt_i32_f32_e32 v25, v26
	v_lshl_add_u64 v[10:11], v[10:11], 1, s[10:11]
	s_delay_alu instid0(VALU_DEP_3) | instskip(SKIP_1) | instid1(TRANS32_DEP_1)
	v_exp_f32_e32 v23, v23
	v_nop
	v_ldexp_f32 v23, v23, v25
	s_delay_alu instid0(VALU_DEP_1) | instskip(SKIP_1) | instid1(VALU_DEP_2)
	v_cndmask_b32_e32 v23, 0, v23, vcc_lo
	v_cmp_ngt_f32_e32 vcc_lo, 0xc2b17218, v3
	v_cndmask_b32_e32 v3, 0x7f800000, v23, vcc_lo
	s_delay_alu instid0(VALU_DEP_1) | instskip(NEXT) | instid1(VALU_DEP_1)
	v_add_f32_e32 v3, 1.0, v3
	v_div_scale_f32 v23, null, v3, v3, 1.0
	v_div_scale_f32 v27, vcc_lo, 1.0, v3, 1.0
	s_delay_alu instid0(VALU_DEP_2) | instskip(SKIP_1) | instid1(TRANS32_DEP_1)
	v_rcp_f32_e32 v25, v23
	v_nop
	v_fma_f32 v26, -v23, v25, 1.0
	s_delay_alu instid0(VALU_DEP_1) | instskip(NEXT) | instid1(VALU_DEP_1)
	v_fmac_f32_e32 v25, v26, v25
	v_mul_f32_e32 v26, v27, v25
	s_delay_alu instid0(VALU_DEP_1) | instskip(NEXT) | instid1(VALU_DEP_1)
	v_fma_f32 v28, -v23, v26, v27
	v_fmac_f32_e32 v26, v28, v25
	s_delay_alu instid0(VALU_DEP_1) | instskip(NEXT) | instid1(VALU_DEP_1)
	v_fma_f32 v23, -v23, v26, v27
	v_div_fmas_f32 v23, v23, v25, v26
	v_cmp_le_i64_e32 vcc_lo, s[6:7], v[0:1]
	s_delay_alu instid0(VALU_DEP_2) | instskip(SKIP_1) | instid1(VALU_DEP_1)
	v_div_fixup_f32 v3, v23, v3, 1.0
	s_or_b32 s48, vcc_lo, s48
	v_fma_mixlo_f16 v20, v3, v20, 0
	global_store_b16 v[6:7], v20, off
	global_store_b16 v[8:9], v22, off
	s_wait_xcnt 0x1
	v_add_nc_u64_e32 v[6:7], s[40:41], v[6:7]
	s_wait_xcnt 0x0
	v_add_nc_u64_e32 v[8:9], s[42:43], v[8:9]
	v_cvt_f16_f32_e32 v3, v3
	s_clause 0x3
	global_store_b16 v[16:17], v19, off
	global_store_b16 v[14:15], v18, off
	;; [unrolled: 1-line block ×4, first 2 shown]
	s_wait_xcnt 0x0
	s_and_not1_b32 exec_lo, exec_lo, s48
	s_cbranch_execz .LBB10_18
.LBB10_3:                               ; =>This Inner Loop Header: Depth=1
	v_or_b32_e32 v3, s5, v1
                                        ; implicit-def: $vgpr18_vgpr19
	s_mov_b32 s0, exec_lo
	s_delay_alu instid0(VALU_DEP_1)
	v_cmpx_ne_u64_e32 0, v[2:3]
	s_xor_b32 s49, exec_lo, s0
	s_cbranch_execz .LBB10_5
; %bb.4:                                ;   in Loop: Header=BB10_3 Depth=1
	s_mov_b32 s45, s44
	v_dual_mov_b32 v15, v2 :: v_dual_ashrrev_i32 v10, 31, v1
	s_add_nc_u64 s[46:47], s[4:5], s[44:45]
	v_mov_b32_e32 v23, v2
	s_xor_b64 s[46:47], s[46:47], s[44:45]
	s_delay_alu instid0(VALU_DEP_2) | instskip(SKIP_3) | instid1(VALU_DEP_1)
	v_mov_b32_e32 v11, v10
	s_cvt_f32_u32 s0, s46
	s_cvt_f32_u32 s2, s47
	s_sub_nc_u64 s[52:53], 0, s[46:47]
	v_add_nc_u64_e32 v[12:13], v[0:1], v[10:11]
	s_delay_alu instid0(SALU_CYCLE_1) | instskip(SKIP_1) | instid1(SALU_CYCLE_2)
	s_fmamk_f32 s0, s2, 0x4f800000, s0
	v_mov_b32_e32 v19, v2
	v_s_rcp_f32 s0, s0
	s_delay_alu instid0(VALU_DEP_2) | instskip(NEXT) | instid1(VALU_DEP_3)
	v_xor_b32_e32 v14, v12, v10
	v_xor_b32_e32 v18, v13, v10
	s_delay_alu instid0(TRANS32_DEP_1) | instskip(NEXT) | instid1(SALU_CYCLE_3)
	s_mul_f32 s0, s0, 0x5f7ffffc
	s_mul_f32 s2, s0, 0x2f800000
	s_delay_alu instid0(SALU_CYCLE_3) | instskip(NEXT) | instid1(SALU_CYCLE_3)
	s_trunc_f32 s2, s2
	s_fmamk_f32 s0, s2, 0xcf800000, s0
	s_cvt_u32_f32 s51, s2
	s_delay_alu instid0(SALU_CYCLE_2) | instskip(NEXT) | instid1(SALU_CYCLE_3)
	s_cvt_u32_f32 s50, s0
	s_mul_u64 s[54:55], s[52:53], s[50:51]
	s_delay_alu instid0(SALU_CYCLE_1)
	s_mul_hi_u32 s57, s50, s55
	s_mul_i32 s56, s50, s55
	s_mul_hi_u32 s2, s50, s54
	s_mul_i32 s45, s51, s54
	s_add_nc_u64 s[56:57], s[2:3], s[56:57]
	s_mul_hi_u32 s0, s51, s54
	s_mul_hi_u32 s58, s51, s55
	s_add_co_u32 s2, s56, s45
	s_add_co_ci_u32 s2, s57, s0
	s_mul_i32 s54, s51, s55
	s_add_co_ci_u32 s55, s58, 0
	s_delay_alu instid0(SALU_CYCLE_1) | instskip(NEXT) | instid1(SALU_CYCLE_1)
	s_add_nc_u64 s[54:55], s[2:3], s[54:55]
	s_add_co_u32 s50, s50, s54
	s_cselect_b32 s0, -1, 0
	s_delay_alu instid0(SALU_CYCLE_1) | instskip(SKIP_1) | instid1(SALU_CYCLE_1)
	s_cmp_lg_u32 s0, 0
	s_add_co_ci_u32 s51, s51, s55
	s_mul_u64 s[52:53], s[52:53], s[50:51]
	s_delay_alu instid0(SALU_CYCLE_1)
	s_mul_hi_u32 s55, s50, s53
	s_mul_i32 s54, s50, s53
	s_mul_hi_u32 s2, s50, s52
	s_mul_i32 s45, s51, s52
	s_add_nc_u64 s[54:55], s[2:3], s[54:55]
	s_mul_hi_u32 s0, s51, s52
	s_mul_hi_u32 s56, s51, s53
	s_add_co_u32 s2, s54, s45
	s_add_co_ci_u32 s2, s55, s0
	s_mul_i32 s52, s51, s53
	s_add_co_ci_u32 s53, s56, 0
	s_delay_alu instid0(SALU_CYCLE_1) | instskip(NEXT) | instid1(SALU_CYCLE_1)
	s_add_nc_u64 s[52:53], s[2:3], s[52:53]
	s_add_co_u32 s0, s50, s52
	s_cselect_b32 s2, -1, 0
	v_mul_hi_u32 v22, v14, s0
	s_cmp_lg_u32 s2, 0
	s_add_co_ci_u32 s2, s51, s53
	s_and_b64 s[50:51], s[0:1], s[36:37]
	v_mul_u64_e32 v[16:17], s[2:3], v[14:15]
	v_mul_u64_e32 v[12:13], s[50:51], v[18:19]
	;; [unrolled: 1-line block ×3, first 2 shown]
	s_delay_alu instid0(VALU_DEP_3) | instskip(NEXT) | instid1(VALU_DEP_1)
	v_add_nc_u64_e32 v[16:17], v[22:23], v[16:17]
	v_add_co_u32 v3, vcc_lo, v16, v12
	s_delay_alu instid0(VALU_DEP_2) | instskip(NEXT) | instid1(VALU_DEP_4)
	v_add_co_ci_u32_e32 v22, vcc_lo, v17, v13, vcc_lo
	v_add_co_ci_u32_e32 v21, vcc_lo, 0, v21, vcc_lo
	s_delay_alu instid0(VALU_DEP_1) | instskip(NEXT) | instid1(VALU_DEP_1)
	v_add_nc_u64_e32 v[12:13], v[22:23], v[20:21]
	v_mul_u64_e32 v[16:17], s[46:47], v[12:13]
	s_delay_alu instid0(VALU_DEP_1) | instskip(NEXT) | instid1(VALU_DEP_2)
	v_sub_nc_u32_e32 v3, v18, v17
	v_sub_co_u32 v11, vcc_lo, v14, v16
	s_delay_alu instid0(VALU_DEP_1) | instskip(NEXT) | instid1(VALU_DEP_3)
	v_sub_co_ci_u32_e64 v18, null, v18, v17, vcc_lo
	v_subrev_co_ci_u32_e64 v3, null, s47, v3, vcc_lo
	s_delay_alu instid0(VALU_DEP_3) | instskip(SKIP_1) | instid1(VALU_DEP_3)
	v_sub_co_u32 v14, s0, v11, s46
	v_add_nc_u64_e32 v[16:17], 1, v[12:13]
	v_subrev_co_ci_u32_e64 v3, null, 0, v3, s0
	s_delay_alu instid0(VALU_DEP_3) | instskip(SKIP_1) | instid1(VALU_DEP_3)
	v_cmp_le_u32_e32 vcc_lo, s46, v14
	v_cndmask_b32_e64 v14, 0, -1, vcc_lo
	v_cmp_le_u32_e32 vcc_lo, s47, v3
	v_cndmask_b32_e64 v15, 0, -1, vcc_lo
	;; [unrolled: 2-line block ×4, first 2 shown]
	v_cmp_eq_u32_e32 vcc_lo, s47, v3
	v_cndmask_b32_e32 v3, v15, v14, vcc_lo
	v_cmp_eq_u32_e32 vcc_lo, s47, v18
	v_add_nc_u64_e32 v[14:15], 2, v[12:13]
	v_cndmask_b32_e32 v11, v19, v11, vcc_lo
	s_delay_alu instid0(VALU_DEP_4) | instskip(NEXT) | instid1(VALU_DEP_2)
	v_cmp_ne_u32_e32 vcc_lo, 0, v3
	v_cmp_ne_u32_e64 s0, 0, v11
	s_delay_alu instid0(VALU_DEP_4) | instskip(NEXT) | instid1(VALU_DEP_1)
	v_dual_cndmask_b32 v3, v17, v15, vcc_lo :: v_dual_cndmask_b32 v11, v16, v14, vcc_lo
	v_dual_cndmask_b32 v3, v13, v3, s0 :: v_dual_bitop2_b32 v10, s44, v10 bitop3:0x14
	s_delay_alu instid0(VALU_DEP_1) | instskip(NEXT) | instid1(VALU_DEP_2)
	v_dual_cndmask_b32 v12, v12, v11, s0 :: v_dual_mov_b32 v11, v10
	v_xor_b32_e32 v13, v3, v10
	s_delay_alu instid0(VALU_DEP_2) | instskip(NEXT) | instid1(VALU_DEP_1)
	v_xor_b32_e32 v12, v12, v10
	v_sub_nc_u64_e32 v[18:19], v[12:13], v[10:11]
.LBB10_5:                               ;   in Loop: Header=BB10_3 Depth=1
	s_and_not1_saveexec_b32 s0, s49
	s_cbranch_execz .LBB10_7
; %bb.6:                                ;   in Loop: Header=BB10_3 Depth=1
	v_mul_hi_u32 v3, v0, v24
	v_mov_b32_e32 v19, v2
	s_delay_alu instid0(VALU_DEP_2) | instskip(NEXT) | instid1(VALU_DEP_1)
	v_mul_lo_u32 v10, v3, s4
	v_dual_add_nc_u32 v11, 1, v3 :: v_dual_sub_nc_u32 v10, v0, v10
	s_delay_alu instid0(VALU_DEP_1) | instskip(SKIP_1) | instid1(VALU_DEP_2)
	v_subrev_nc_u32_e32 v12, s4, v10
	v_cmp_le_u32_e32 vcc_lo, s4, v10
	v_dual_cndmask_b32 v10, v10, v12 :: v_dual_cndmask_b32 v3, v3, v11
	s_delay_alu instid0(VALU_DEP_1) | instskip(NEXT) | instid1(VALU_DEP_2)
	v_cmp_le_u32_e32 vcc_lo, s4, v10
	v_add_nc_u32_e32 v11, 1, v3
	s_delay_alu instid0(VALU_DEP_1)
	v_cndmask_b32_e32 v18, v3, v11, vcc_lo
.LBB10_7:                               ;   in Loop: Header=BB10_3 Depth=1
	s_or_b32 exec_lo, exec_lo, s0
	s_delay_alu instid0(VALU_DEP_1) | instskip(SKIP_2) | instid1(VALU_DEP_1)
	v_mul_u64_e32 v[10:11], 3, v[18:19]
	v_mad_nc_u64_u32 v[16:17], s30, v18, v[0:1]
	s_and_not1_b32 vcc_lo, exec_lo, s33
	v_mad_u32 v3, s31, v18, v17
	s_delay_alu instid0(VALU_DEP_1) | instskip(NEXT) | instid1(VALU_DEP_4)
	v_mad_u32 v17, s30, v19, v3
	v_add_nc_u64_e32 v[20:21], 1, v[10:11]
	v_add_nc_u64_e32 v[22:23], 2, v[10:11]
	;; [unrolled: 1-line block ×3, first 2 shown]
	s_delay_alu instid0(VALU_DEP_3) | instskip(NEXT) | instid1(VALU_DEP_3)
	v_mad_nc_u64_u32 v[14:15], s4, v20, v[0:1]
	v_mad_nc_u64_u32 v[12:13], s4, v22, v[0:1]
	s_delay_alu instid0(VALU_DEP_3) | instskip(NEXT) | instid1(VALU_DEP_3)
	v_mad_nc_u64_u32 v[10:11], s4, v26, v[0:1]
	v_mad_u32 v15, s5, v20, v15
	s_delay_alu instid0(VALU_DEP_3) | instskip(NEXT) | instid1(VALU_DEP_3)
	v_mad_u32 v13, s5, v22, v13
	v_mad_u32 v11, s5, v26, v11
	s_delay_alu instid0(VALU_DEP_3) | instskip(NEXT) | instid1(VALU_DEP_3)
	v_mad_u32 v15, s4, v21, v15
	v_mad_u32 v13, s4, v23, v13
	s_delay_alu instid0(VALU_DEP_3)
	v_mad_u32 v11, s4, v27, v11
	v_mul_u64_e32 v[20:21], s[22:23], v[16:17]
	v_mul_u64_e32 v[22:23], s[26:27], v[16:17]
	;; [unrolled: 1-line block ×8, first 2 shown]
	v_lshl_add_u64 v[38:39], v[20:21], 1, s[20:21]
	v_lshl_add_u64 v[40:41], v[22:23], 1, s[24:25]
	;; [unrolled: 1-line block ×8, first 2 shown]
	s_clause 0x3
	global_load_u16 v23, v[38:39], off
	global_load_u16 v21, v[26:27], off
	;; [unrolled: 1-line block ×4, first 2 shown]
	s_clause 0x3
	global_load_u16 v28, v[40:41], off
	global_load_u16 v22, v[32:33], off
	;; [unrolled: 1-line block ×5, first 2 shown]
	s_cbranch_vccnz .LBB10_9
; %bb.8:                                ;   in Loop: Header=BB10_3 Depth=1
	s_wait_xcnt 0x3
	v_sub_nc_u64_e32 v[32:33], 1, v[18:19]
	v_mad_nc_u64_u32 v[26:27], s34, v18, v[0:1]
	s_wait_xcnt 0x2
	v_sub_nc_u64_e32 v[34:35], 2, v[18:19]
	s_wait_xcnt 0x1
	v_sub_nc_u64_e32 v[36:37], 3, v[18:19]
	s_delay_alu instid0(VALU_DEP_4) | instskip(NEXT) | instid1(VALU_DEP_3)
	v_mad_nc_u64_u32 v[38:39], s4, v32, v[0:1]
	v_mad_nc_u64_u32 v[40:41], s4, v34, v[0:1]
	s_delay_alu instid0(VALU_DEP_3) | instskip(SKIP_1) | instid1(VALU_DEP_4)
	v_mad_nc_u64_u32 v[42:43], s4, v36, v[0:1]
	v_mad_u32 v18, s35, v18, v27
	v_mad_u32 v31, s5, v32, v39
	s_delay_alu instid0(VALU_DEP_4) | instskip(NEXT) | instid1(VALU_DEP_4)
	v_mad_u32 v32, s5, v34, v41
	v_mad_u32 v34, s5, v36, v43
	s_delay_alu instid0(VALU_DEP_4) | instskip(NEXT) | instid1(VALU_DEP_4)
	;; [unrolled: 3-line block ×3, first 2 shown]
	v_mad_u32 v41, s4, v35, v32
	v_mad_u32 v43, s4, v37, v34
	s_delay_alu instid0(VALU_DEP_4)
	v_mul_u64_e32 v[18:19], s[14:15], v[26:27]
	v_mul_u64_e32 v[26:27], s[18:19], v[26:27]
	;; [unrolled: 1-line block ×8, first 2 shown]
	v_lshl_add_u64 v[18:19], v[18:19], 1, s[8:9]
	v_lshl_add_u64 v[26:27], v[26:27], 1, s[16:17]
	global_load_u16 v31, v[18:19], off
	global_load_u16 v44, v[26:27], off
	s_wait_xcnt 0x1
	v_lshl_add_u64 v[18:19], v[32:33], 1, s[8:9]
	v_lshl_add_u64 v[32:33], v[36:37], 1, s[16:17]
	s_wait_xcnt 0x0
	v_lshl_add_u64 v[26:27], v[34:35], 1, s[8:9]
	v_lshl_add_u64 v[36:37], v[40:41], 1, s[16:17]
	v_lshl_add_u64 v[34:35], v[38:39], 1, s[8:9]
	v_lshl_add_u64 v[38:39], v[42:43], 1, s[16:17]
	global_load_u16 v40, v[18:19], off
	global_load_u16 v41, v[32:33], off
	;; [unrolled: 1-line block ×6, first 2 shown]
	s_wait_loadcnt 0x7
	s_wait_xcnt 0x4
	v_cvt_f32_f16_e32 v33, v31
	s_wait_loadcnt 0x6
	v_cvt_f32_f16_e32 v31, v44
	s_wait_loadcnt 0x5
	;; [unrolled: 2-line block ×4, first 2 shown]
	s_wait_xcnt 0x1
	v_cvt_f32_f16_e32 v34, v42
	s_wait_loadcnt 0x2
	v_cvt_f32_f16_e32 v18, v43
	s_wait_loadcnt 0x1
	;; [unrolled: 2-line block ×3, first 2 shown]
	v_cvt_f32_f16_e32 v26, v46
	s_branch .LBB10_10
.LBB10_9:                               ;   in Loop: Header=BB10_3 Depth=1
	s_wait_xcnt 0x7
	v_dual_mov_b32 v26, 0 :: v_dual_mov_b32 v18, 0
	v_dual_mov_b32 v19, 0 :: v_dual_mov_b32 v31, 0
	s_wait_xcnt 0x2
	v_dual_mov_b32 v27, 0 :: v_dual_mov_b32 v34, 0
	v_dual_mov_b32 v32, 0 :: v_dual_mov_b32 v33, 0
.LBB10_10:                              ;   in Loop: Header=BB10_3 Depth=1
	s_wait_loadcnt 0x6
	v_cvt_f32_f16_e32 v29, v29
	s_wait_loadcnt 0x2
	v_cvt_f32_f16_e32 v30, v30
	s_delay_alu instid0(VALU_DEP_1) | instskip(NEXT) | instid1(VALU_DEP_1)
	v_add_f32_e32 v29, v29, v30
	v_add_f32_e32 v29, v29, v34
	s_delay_alu instid0(VALU_DEP_1) | instskip(NEXT) | instid1(VALU_DEP_1)
	v_add_f32_e32 v18, v18, v29
                                        ; implicit-def: $vgpr29
	v_cmp_ngt_f32_e64 s0, 0x3f200000, |v18|
	s_wait_xcnt 0x0
	s_and_saveexec_b32 s2, s0
	s_delay_alu instid0(SALU_CYCLE_1)
	s_xor_b32 s0, exec_lo, s2
	s_cbranch_execz .LBB10_12
; %bb.11:                               ;   in Loop: Header=BB10_3 Depth=1
	v_add_f32_e64 v29, |v18|, |v18|
	s_delay_alu instid0(VALU_DEP_1) | instskip(SKIP_1) | instid1(VALU_DEP_2)
	v_mul_f32_e32 v30, 0x3fb8aa3b, v29
	v_cmp_ngt_f32_e32 vcc_lo, 0xc2ce8ed0, v29
	v_rndne_f32_e32 v34, v30
	v_fma_f32 v35, 0x3fb8aa3b, v29, -v30
	s_delay_alu instid0(VALU_DEP_1) | instskip(SKIP_1) | instid1(VALU_DEP_2)
	v_dual_sub_f32 v30, v30, v34 :: v_dual_fmac_f32 v35, 0x32a5705f, v29
	v_cvt_i32_f32_e32 v34, v34
	v_add_f32_e32 v30, v30, v35
	s_delay_alu instid0(VALU_DEP_1) | instskip(SKIP_1) | instid1(TRANS32_DEP_1)
	v_exp_f32_e32 v30, v30
	v_nop
	v_ldexp_f32 v30, v30, v34
	s_delay_alu instid0(VALU_DEP_1) | instskip(SKIP_1) | instid1(VALU_DEP_2)
	v_cndmask_b32_e32 v30, 0, v30, vcc_lo
	v_cmp_nlt_f32_e32 vcc_lo, 0x42b17218, v29
	v_cndmask_b32_e32 v29, 0x7f800000, v30, vcc_lo
	s_delay_alu instid0(VALU_DEP_1) | instskip(NEXT) | instid1(VALU_DEP_1)
	v_add_f32_e32 v29, 1.0, v29
	v_rcp_f32_e32 v29, v29
	v_nop
	s_delay_alu instid0(TRANS32_DEP_1)
	v_fma_f32 v29, v29, -2.0, 1.0
.LBB10_12:                              ;   in Loop: Header=BB10_3 Depth=1
	s_and_not1_saveexec_b32 s0, s0
	s_cbranch_execz .LBB10_14
; %bb.13:                               ;   in Loop: Header=BB10_3 Depth=1
	v_mul_f32_e32 v29, v18, v18
	s_delay_alu instid0(VALU_DEP_1) | instskip(NEXT) | instid1(VALU_DEP_1)
	v_fmaak_f32 v30, s1, v29, 0x3ca908c9
	v_fmaak_f32 v30, v29, v30, 0xbd5c1c4e
	s_delay_alu instid0(VALU_DEP_1) | instskip(NEXT) | instid1(VALU_DEP_1)
	v_fmaak_f32 v30, v29, v30, 0x3e088382
	v_fmaak_f32 v30, v29, v30, 0xbeaaaa99
	s_delay_alu instid0(VALU_DEP_1) | instskip(NEXT) | instid1(VALU_DEP_1)
	v_mul_f32_e64 v30, |v18|, v30
	v_fma_f32 v29, v29, v30, |v18|
.LBB10_14:                              ;   in Loop: Header=BB10_3 Depth=1
	s_or_b32 exec_lo, exec_lo, s0
	v_cvt_f32_f16_e32 v23, v23
	v_cvt_f32_f16_e32 v28, v28
	;; [unrolled: 1-line block ×4, first 2 shown]
	s_wait_loadcnt 0x0
	v_cvt_f32_f16_e32 v20, v20
	s_delay_alu instid0(VALU_DEP_2) | instskip(NEXT) | instid1(VALU_DEP_1)
	v_dual_add_f32 v23, v23, v28 :: v_dual_add_f32 v21, v21, v22
	v_dual_add_f32 v22, v23, v33 :: v_dual_add_f32 v21, v21, v32
	s_delay_alu instid0(VALU_DEP_1) | instskip(NEXT) | instid1(VALU_DEP_1)
	v_add_f32_e32 v19, v19, v21
	v_dual_add_f32 v22, v31, v22 :: v_dual_mul_f32 v23, 0xbfb8aa3b, v19
	s_delay_alu instid0(VALU_DEP_1) | instskip(SKIP_1) | instid1(VALU_DEP_3)
	v_mul_f32_e32 v21, 0xbfb8aa3b, v22
	v_cmp_nlt_f32_e32 vcc_lo, 0x42ce8ed0, v22
	v_rndne_f32_e32 v32, v23
	s_delay_alu instid0(VALU_DEP_3) | instskip(SKIP_1) | instid1(VALU_DEP_2)
	v_fma_f32 v28, 0xbfb8aa3b, v22, -v21
	v_rndne_f32_e32 v30, v21
	v_fmac_f32_e32 v28, 0xb2a5705f, v22
	v_fma_f32 v31, 0xbfb8aa3b, v19, -v23
	s_delay_alu instid0(VALU_DEP_3) | instskip(NEXT) | instid1(VALU_DEP_2)
	v_dual_sub_f32 v21, v21, v30 :: v_dual_sub_f32 v23, v23, v32
	v_fmac_f32_e32 v31, 0xb2a5705f, v19
	s_delay_alu instid0(VALU_DEP_2) | instskip(SKIP_2) | instid1(VALU_DEP_4)
	v_add_f32_e32 v21, v21, v28
	v_cvt_i32_f32_e32 v28, v30
	v_cvt_i32_f32_e32 v30, v32
	v_add_f32_e32 v23, v23, v31
	s_delay_alu instid0(VALU_DEP_4) | instskip(NEXT) | instid1(VALU_DEP_1)
	v_exp_f32_e32 v21, v21
	v_exp_f32_e32 v23, v23
	s_delay_alu instid0(TRANS32_DEP_2) | instskip(NEXT) | instid1(TRANS32_DEP_1)
	v_ldexp_f32 v21, v21, v28
	v_ldexp_f32 v23, v23, v30
	s_delay_alu instid0(VALU_DEP_2) | instskip(SKIP_1) | instid1(VALU_DEP_3)
	v_cndmask_b32_e32 v21, 0, v21, vcc_lo
	v_cmp_nlt_f32_e32 vcc_lo, 0x42ce8ed0, v19
	v_cndmask_b32_e32 v28, 0, v23, vcc_lo
	v_cmp_ngt_f32_e32 vcc_lo, 0xc2b17218, v22
	s_delay_alu instid0(VALU_DEP_4) | instskip(SKIP_1) | instid1(VALU_DEP_4)
	v_cndmask_b32_e32 v23, 0x7f800000, v21, vcc_lo
	v_cmp_ngt_f32_e32 vcc_lo, 0xc2b17218, v19
	v_cndmask_b32_e32 v22, 0x7f800000, v28, vcc_lo
	s_delay_alu instid0(VALU_DEP_1) | instskip(NEXT) | instid1(VALU_DEP_1)
	v_pk_add_f32 v[22:23], v[22:23], 1.0 op_sel_hi:[1,0]
	v_div_scale_f32 v19, null, v23, v23, 1.0
	s_delay_alu instid0(VALU_DEP_2) | instskip(SKIP_1) | instid1(VALU_DEP_3)
	v_div_scale_f32 v21, null, v22, v22, 1.0
	v_div_scale_f32 v33, vcc_lo, 1.0, v23, 1.0
	v_rcp_f32_e32 v28, v19
	s_delay_alu instid0(VALU_DEP_2) | instskip(NEXT) | instid1(TRANS32_DEP_2)
	v_rcp_f32_e32 v30, v21
	v_fma_f32 v31, -v19, v28, 1.0
	s_delay_alu instid0(TRANS32_DEP_1) | instskip(NEXT) | instid1(VALU_DEP_2)
	v_fma_f32 v32, -v21, v30, 1.0
	v_fmac_f32_e32 v28, v31, v28
	v_div_scale_f32 v31, s0, 1.0, v22, 1.0
	s_delay_alu instid0(VALU_DEP_2) | instskip(NEXT) | instid1(VALU_DEP_1)
	v_dual_fmac_f32 v30, v32, v30 :: v_dual_mul_f32 v32, v33, v28
	v_mul_f32_e32 v34, v31, v30
	s_delay_alu instid0(VALU_DEP_1) | instskip(NEXT) | instid1(VALU_DEP_1)
	v_dual_fma_f32 v35, -v19, v32, v33 :: v_dual_fma_f32 v36, -v21, v34, v31
	v_dual_fmac_f32 v32, v35, v28 :: v_dual_fmac_f32 v34, v36, v30
	s_delay_alu instid0(VALU_DEP_1) | instskip(NEXT) | instid1(VALU_DEP_1)
	v_dual_fma_f32 v19, -v19, v32, v33 :: v_dual_fma_f32 v21, -v21, v34, v31
	v_div_fmas_f32 v19, v19, v28, v32
	s_mov_b32 vcc_lo, s0
	s_delay_alu instid0(VALU_DEP_2) | instskip(SKIP_1) | instid1(VALU_DEP_3)
	v_div_fmas_f32 v28, v21, v30, v34
	v_bfi_b32 v21, 0x7fffffff, v29, v18
	v_div_fixup_f32 v19, v19, v23, 1.0
	s_delay_alu instid0(VALU_DEP_3) | instskip(NEXT) | instid1(VALU_DEP_2)
	v_div_fixup_f32 v18, v28, v22, 1.0
	v_mul_f32_e32 v22, v19, v21
	s_delay_alu instid0(VALU_DEP_1) | instskip(NEXT) | instid1(VALU_DEP_1)
	v_pk_fma_f32 v[22:23], v[18:19], v[20:21], v[22:23] op_sel_hi:[1,1,0]
                                        ; implicit-def: $vgpr20
	v_cmp_ngt_f32_e64 s0, 0x3f200000, |v22|
	s_and_saveexec_b32 s2, s0
	s_delay_alu instid0(SALU_CYCLE_1)
	s_xor_b32 s0, exec_lo, s2
	s_cbranch_execz .LBB10_16
; %bb.15:                               ;   in Loop: Header=BB10_3 Depth=1
	v_add_f32_e64 v20, |v22|, |v22|
	s_delay_alu instid0(VALU_DEP_1) | instskip(SKIP_1) | instid1(VALU_DEP_2)
	v_mul_f32_e32 v23, 0x3fb8aa3b, v20
	v_cmp_ngt_f32_e32 vcc_lo, 0xc2ce8ed0, v20
	v_rndne_f32_e32 v28, v23
	v_fma_f32 v29, 0x3fb8aa3b, v20, -v23
	s_delay_alu instid0(VALU_DEP_2) | instskip(NEXT) | instid1(VALU_DEP_2)
	v_sub_f32_e32 v23, v23, v28
	v_fmac_f32_e32 v29, 0x32a5705f, v20
	v_cvt_i32_f32_e32 v28, v28
	s_delay_alu instid0(VALU_DEP_2) | instskip(NEXT) | instid1(VALU_DEP_1)
	v_add_f32_e32 v23, v23, v29
	v_exp_f32_e32 v23, v23
	v_nop
	s_delay_alu instid0(TRANS32_DEP_1) | instskip(NEXT) | instid1(VALU_DEP_1)
	v_ldexp_f32 v23, v23, v28
	v_cndmask_b32_e32 v23, 0, v23, vcc_lo
	v_cmp_nlt_f32_e32 vcc_lo, 0x42b17218, v20
	s_delay_alu instid0(VALU_DEP_2) | instskip(NEXT) | instid1(VALU_DEP_1)
	v_cndmask_b32_e32 v20, 0x7f800000, v23, vcc_lo
	v_add_f32_e32 v20, 1.0, v20
	s_delay_alu instid0(VALU_DEP_1) | instskip(SKIP_1) | instid1(TRANS32_DEP_1)
	v_rcp_f32_e32 v20, v20
	v_nop
	v_fma_f32 v20, v20, -2.0, 1.0
.LBB10_16:                              ;   in Loop: Header=BB10_3 Depth=1
	s_and_not1_saveexec_b32 s0, s0
	s_cbranch_execz .LBB10_2
; %bb.17:                               ;   in Loop: Header=BB10_3 Depth=1
	v_mul_f32_e32 v20, v22, v22
	s_delay_alu instid0(VALU_DEP_1) | instskip(NEXT) | instid1(VALU_DEP_1)
	v_fmaak_f32 v23, s1, v20, 0x3ca908c9
	v_fmaak_f32 v23, v20, v23, 0xbd5c1c4e
	s_delay_alu instid0(VALU_DEP_1) | instskip(NEXT) | instid1(VALU_DEP_1)
	v_fmaak_f32 v23, v20, v23, 0x3e088382
	v_fmaak_f32 v23, v20, v23, 0xbeaaaa99
	s_delay_alu instid0(VALU_DEP_1) | instskip(NEXT) | instid1(VALU_DEP_1)
	v_mul_f32_e64 v23, |v22|, v23
	v_fma_f32 v20, v20, v23, |v22|
	s_branch .LBB10_2
.LBB10_18:
	s_endpgm
	.section	.rodata,"a",@progbits
	.p2align	6, 0x0
	.amdhsa_kernel _ZN2at6native12_GLOBAL__N_16kernel17lstm_cell_forwardIN3c104HalfEflLi1EEEvNS_4cuda6detail10TensorInfoIT_T1_EESB_SB_SB_SB_SB_SB_SB_SA_SA_
		.amdhsa_group_segment_fixed_size 0
		.amdhsa_private_segment_fixed_size 0
		.amdhsa_kernarg_size 3600
		.amdhsa_user_sgpr_count 2
		.amdhsa_user_sgpr_dispatch_ptr 0
		.amdhsa_user_sgpr_queue_ptr 0
		.amdhsa_user_sgpr_kernarg_segment_ptr 1
		.amdhsa_user_sgpr_dispatch_id 0
		.amdhsa_user_sgpr_kernarg_preload_length 0
		.amdhsa_user_sgpr_kernarg_preload_offset 0
		.amdhsa_user_sgpr_private_segment_size 0
		.amdhsa_wavefront_size32 1
		.amdhsa_uses_dynamic_stack 0
		.amdhsa_enable_private_segment 0
		.amdhsa_system_sgpr_workgroup_id_x 1
		.amdhsa_system_sgpr_workgroup_id_y 0
		.amdhsa_system_sgpr_workgroup_id_z 0
		.amdhsa_system_sgpr_workgroup_info 0
		.amdhsa_system_vgpr_workitem_id 0
		.amdhsa_next_free_vgpr 47
		.amdhsa_next_free_sgpr 59
		.amdhsa_named_barrier_count 0
		.amdhsa_reserve_vcc 1
		.amdhsa_float_round_mode_32 0
		.amdhsa_float_round_mode_16_64 0
		.amdhsa_float_denorm_mode_32 3
		.amdhsa_float_denorm_mode_16_64 3
		.amdhsa_fp16_overflow 0
		.amdhsa_memory_ordered 1
		.amdhsa_forward_progress 1
		.amdhsa_inst_pref_size 27
		.amdhsa_round_robin_scheduling 0
		.amdhsa_exception_fp_ieee_invalid_op 0
		.amdhsa_exception_fp_denorm_src 0
		.amdhsa_exception_fp_ieee_div_zero 0
		.amdhsa_exception_fp_ieee_overflow 0
		.amdhsa_exception_fp_ieee_underflow 0
		.amdhsa_exception_fp_ieee_inexact 0
		.amdhsa_exception_int_div_zero 0
	.end_amdhsa_kernel
	.section	.text._ZN2at6native12_GLOBAL__N_16kernel17lstm_cell_forwardIN3c104HalfEflLi1EEEvNS_4cuda6detail10TensorInfoIT_T1_EESB_SB_SB_SB_SB_SB_SB_SA_SA_,"axG",@progbits,_ZN2at6native12_GLOBAL__N_16kernel17lstm_cell_forwardIN3c104HalfEflLi1EEEvNS_4cuda6detail10TensorInfoIT_T1_EESB_SB_SB_SB_SB_SB_SB_SA_SA_,comdat
.Lfunc_end10:
	.size	_ZN2at6native12_GLOBAL__N_16kernel17lstm_cell_forwardIN3c104HalfEflLi1EEEvNS_4cuda6detail10TensorInfoIT_T1_EESB_SB_SB_SB_SB_SB_SB_SA_SA_, .Lfunc_end10-_ZN2at6native12_GLOBAL__N_16kernel17lstm_cell_forwardIN3c104HalfEflLi1EEEvNS_4cuda6detail10TensorInfoIT_T1_EESB_SB_SB_SB_SB_SB_SB_SA_SA_
                                        ; -- End function
	.set _ZN2at6native12_GLOBAL__N_16kernel17lstm_cell_forwardIN3c104HalfEflLi1EEEvNS_4cuda6detail10TensorInfoIT_T1_EESB_SB_SB_SB_SB_SB_SB_SA_SA_.num_vgpr, 47
	.set _ZN2at6native12_GLOBAL__N_16kernel17lstm_cell_forwardIN3c104HalfEflLi1EEEvNS_4cuda6detail10TensorInfoIT_T1_EESB_SB_SB_SB_SB_SB_SB_SA_SA_.num_agpr, 0
	.set _ZN2at6native12_GLOBAL__N_16kernel17lstm_cell_forwardIN3c104HalfEflLi1EEEvNS_4cuda6detail10TensorInfoIT_T1_EESB_SB_SB_SB_SB_SB_SB_SA_SA_.numbered_sgpr, 59
	.set _ZN2at6native12_GLOBAL__N_16kernel17lstm_cell_forwardIN3c104HalfEflLi1EEEvNS_4cuda6detail10TensorInfoIT_T1_EESB_SB_SB_SB_SB_SB_SB_SA_SA_.num_named_barrier, 0
	.set _ZN2at6native12_GLOBAL__N_16kernel17lstm_cell_forwardIN3c104HalfEflLi1EEEvNS_4cuda6detail10TensorInfoIT_T1_EESB_SB_SB_SB_SB_SB_SB_SA_SA_.private_seg_size, 0
	.set _ZN2at6native12_GLOBAL__N_16kernel17lstm_cell_forwardIN3c104HalfEflLi1EEEvNS_4cuda6detail10TensorInfoIT_T1_EESB_SB_SB_SB_SB_SB_SB_SA_SA_.uses_vcc, 1
	.set _ZN2at6native12_GLOBAL__N_16kernel17lstm_cell_forwardIN3c104HalfEflLi1EEEvNS_4cuda6detail10TensorInfoIT_T1_EESB_SB_SB_SB_SB_SB_SB_SA_SA_.uses_flat_scratch, 0
	.set _ZN2at6native12_GLOBAL__N_16kernel17lstm_cell_forwardIN3c104HalfEflLi1EEEvNS_4cuda6detail10TensorInfoIT_T1_EESB_SB_SB_SB_SB_SB_SB_SA_SA_.has_dyn_sized_stack, 0
	.set _ZN2at6native12_GLOBAL__N_16kernel17lstm_cell_forwardIN3c104HalfEflLi1EEEvNS_4cuda6detail10TensorInfoIT_T1_EESB_SB_SB_SB_SB_SB_SB_SA_SA_.has_recursion, 0
	.set _ZN2at6native12_GLOBAL__N_16kernel17lstm_cell_forwardIN3c104HalfEflLi1EEEvNS_4cuda6detail10TensorInfoIT_T1_EESB_SB_SB_SB_SB_SB_SB_SA_SA_.has_indirect_call, 0
	.section	.AMDGPU.csdata,"",@progbits
; Kernel info:
; codeLenInByte = 3416
; TotalNumSgprs: 61
; NumVgprs: 47
; ScratchSize: 0
; MemoryBound: 0
; FloatMode: 240
; IeeeMode: 1
; LDSByteSize: 0 bytes/workgroup (compile time only)
; SGPRBlocks: 0
; VGPRBlocks: 2
; NumSGPRsForWavesPerEU: 61
; NumVGPRsForWavesPerEU: 47
; NamedBarCnt: 0
; Occupancy: 16
; WaveLimiterHint : 1
; COMPUTE_PGM_RSRC2:SCRATCH_EN: 0
; COMPUTE_PGM_RSRC2:USER_SGPR: 2
; COMPUTE_PGM_RSRC2:TRAP_HANDLER: 0
; COMPUTE_PGM_RSRC2:TGID_X_EN: 1
; COMPUTE_PGM_RSRC2:TGID_Y_EN: 0
; COMPUTE_PGM_RSRC2:TGID_Z_EN: 0
; COMPUTE_PGM_RSRC2:TIDIG_COMP_CNT: 0
	.section	.text._ZN2at6native12_GLOBAL__N_16kernel17lstm_cell_forwardIN3c104HalfEflLi2EEEvNS_4cuda6detail10TensorInfoIT_T1_EESB_SB_SB_SB_SB_SB_SB_SA_SA_,"axG",@progbits,_ZN2at6native12_GLOBAL__N_16kernel17lstm_cell_forwardIN3c104HalfEflLi2EEEvNS_4cuda6detail10TensorInfoIT_T1_EESB_SB_SB_SB_SB_SB_SB_SA_SA_,comdat
	.globl	_ZN2at6native12_GLOBAL__N_16kernel17lstm_cell_forwardIN3c104HalfEflLi2EEEvNS_4cuda6detail10TensorInfoIT_T1_EESB_SB_SB_SB_SB_SB_SB_SA_SA_ ; -- Begin function _ZN2at6native12_GLOBAL__N_16kernel17lstm_cell_forwardIN3c104HalfEflLi2EEEvNS_4cuda6detail10TensorInfoIT_T1_EESB_SB_SB_SB_SB_SB_SB_SA_SA_
	.p2align	8
	.type	_ZN2at6native12_GLOBAL__N_16kernel17lstm_cell_forwardIN3c104HalfEflLi2EEEvNS_4cuda6detail10TensorInfoIT_T1_EESB_SB_SB_SB_SB_SB_SB_SA_SA_,@function
_ZN2at6native12_GLOBAL__N_16kernel17lstm_cell_forwardIN3c104HalfEflLi2EEEvNS_4cuda6detail10TensorInfoIT_T1_EESB_SB_SB_SB_SB_SB_SB_SA_SA_: ; @_ZN2at6native12_GLOBAL__N_16kernel17lstm_cell_forwardIN3c104HalfEflLi2EEEvNS_4cuda6detail10TensorInfoIT_T1_EESB_SB_SB_SB_SB_SB_SB_SA_SA_
; %bb.0:
	s_clause 0x1
	s_load_b32 s2, s[0:1], 0xd1c
	s_load_b128 s[4:7], s[0:1], 0xd00
	s_bfe_u32 s3, ttmp6, 0x4000c
	s_and_b32 s8, ttmp6, 15
	s_add_co_i32 s3, s3, 1
	s_getreg_b32 s9, hwreg(HW_REG_IB_STS2, 6, 4)
	s_mul_i32 s3, ttmp9, s3
	v_mov_b32_e32 v2, 0
	s_add_co_i32 s8, s8, s3
	s_delay_alu instid0(VALU_DEP_1)
	v_mov_b32_e32 v1, v2
	s_wait_kmcnt 0x0
	s_and_b32 s2, s2, 0xffff
	s_cmp_eq_u32 s9, 0
	s_cselect_b32 s3, ttmp9, s8
	s_mov_b32 s8, exec_lo
	v_mad_u32 v0, s3, s2, v0
	s_mov_b32 s3, 0
	s_delay_alu instid0(VALU_DEP_1)
	v_cmpx_gt_i64_e64 s[6:7], v[0:1]
	s_cbranch_execz .LBB11_78
; %bb.1:
	v_cvt_f32_u32_e32 v3, s4
	s_add_nc_u64 s[20:21], s[0:1], 0xd10
	s_clause 0x6
	s_load_b64 s[34:35], s[0:1], 0x0
	s_load_b64 s[36:37], s[0:1], 0x10
	s_load_b128 s[8:11], s[0:1], 0xd0
	s_load_b64 s[38:39], s[0:1], 0x1a0
	s_load_b64 s[40:41], s[0:1], 0x340
	;; [unrolled: 1-line block ×3, first 2 shown]
	s_load_b128 s[12:15], s[0:1], 0x270
	s_load_b32 s33, s[20:21], 0x0
	s_clause 0x7
	s_load_b64 s[44:45], s[0:1], 0x410
	s_load_b64 s[46:47], s[0:1], 0x4e0
	;; [unrolled: 1-line block ×5, first 2 shown]
	s_load_b128 s[16:19], s[0:1], 0x750
	s_load_b64 s[54:55], s[0:1], 0x820
	; meta instruction
	s_load_b64 s[56:57], s[0:1], 0x830
	s_wait_xcnt 0x0
	s_clause 0x6
	s_load_b128 s[20:23], s[0:1], 0x8f0
	s_load_b64 s[58:59], s[0:1], 0x9c0
	s_load_b64 s[60:61], s[0:1], 0x9d0
	s_load_b128 s[24:27], s[0:1], 0xa90
	s_load_b64 s[62:63], s[0:1], 0xb60
	s_load_b64 s[64:65], s[0:1], 0xb70
	s_load_b128 s[28:31], s[0:1], 0xc30
	s_mov_b32 s67, s3
	v_rcp_iflag_f32_e32 v3, v3
	s_wait_kmcnt 0x0
	s_cmp_lg_u64 s[40:41], 0
	s_mul_u64 s[68:69], s[4:5], 3
	s_cselect_b32 s1, -1, 0
	s_mul_i32 s66, s33, s2
	s_sub_nc_u64 s[70:71], 0, s[4:5]
	s_mov_b64 s[74:75], 0xffffffff
	v_nop
	v_mul_f32_e32 v3, 0x4f7ffffe, v3
	s_sub_nc_u64 s[72:73], 0, s[52:53]
	s_mov_b32 s33, 0xbbbac73d
	s_mov_b32 s84, 0
	s_sub_nc_u64 s[76:77], 0, s[56:57]
	v_cvt_u32_f32_e32 v34, v3
	s_sub_nc_u64 s[78:79], 0, s[60:61]
	s_branch .LBB11_3
.LBB11_2:                               ;   in Loop: Header=BB11_3 Depth=1
	s_or_b32 exec_lo, exec_lo, s0
	v_cvt_f32_f16_e32 v27, v38
	v_cvt_f32_f16_e32 v29, v42
	v_mul_u64_e32 v[38:39], s[64:65], v[32:33]
	v_mul_u64_e32 v[36:37], s[64:65], v[16:17]
	;; [unrolled: 1-line block ×3, first 2 shown]
	v_mad_nc_u64_u32 v[40:41], s78, v24, v[0:1]
	v_add_f32_e32 v27, v27, v29
	v_mad_nc_u64_u32 v[42:43], s76, v22, v[0:1]
	v_mul_u64_e32 v[46:47], s[20:21], v[22:23]
	v_mul_u64_e32 v[44:45], s[24:25], v[24:25]
	;; [unrolled: 1-line block ×3, first 2 shown]
	v_add_f32_e32 v27, v27, v28
	v_mul_u64_e32 v[18:19], s[28:29], v[18:19]
	s_delay_alu instid0(VALU_DEP_2) | instskip(NEXT) | instid1(VALU_DEP_1)
	v_add_f32_e32 v3, v3, v27
	v_mul_f32_e32 v27, 0xbfb8aa3b, v3
	v_cmp_nlt_f32_e32 vcc_lo, 0x42ce8ed0, v3
	s_delay_alu instid0(VALU_DEP_2) | instskip(SKIP_1) | instid1(VALU_DEP_2)
	v_fma_f32 v28, 0xbfb8aa3b, v3, -v27
	v_rndne_f32_e32 v35, v27
	v_fmac_f32_e32 v28, 0xb2a5705f, v3
	s_delay_alu instid0(VALU_DEP_2)
	v_sub_f32_e32 v27, v27, v35
	v_cvt_i32_f32_e32 v35, v35
	v_sub_nc_u64_e32 v[4:5], v[4:5], v[38:39]
	v_sub_nc_u64_e32 v[8:9], v[8:9], v[36:37]
	;; [unrolled: 1-line block ×3, first 2 shown]
	v_add_f32_e32 v27, v27, v28
	v_mul_u64_e32 v[28:29], s[64:65], v[20:21]
	v_mul_u64_e32 v[20:21], s[28:29], v[20:21]
	v_cvt_f16_f32_e32 v37, v11
	v_add_nc_u64_e32 v[4:5], v[0:1], v[4:5]
	v_exp_f32_e32 v27, v27
	v_add_nc_u64_e32 v[8:9], v[0:1], v[8:9]
	v_add_nc_u64_e32 v[12:13], v[0:1], v[12:13]
	v_cvt_f16_f32_e32 v36, v6
	v_lshl_add_u64 v[16:17], v[16:17], 1, s[62:63]
	v_lshl_add_u64 v[18:19], v[18:19], 1, s[62:63]
	v_mul_u64_e32 v[4:5], s[30:31], v[4:5]
	v_ldexp_f32 v27, v27, v35
	v_mad_u32 v35, s79, v24, v41
	v_mul_u64_e32 v[8:9], s[30:31], v[8:9]
	v_mul_u64_e32 v[12:13], s[30:31], v[12:13]
	s_delay_alu instid0(VALU_DEP_4) | instskip(SKIP_1) | instid1(VALU_DEP_2)
	v_cndmask_b32_e32 v27, 0, v27, vcc_lo
	v_cmp_ngt_f32_e32 vcc_lo, 0xc2b17218, v3
	v_cndmask_b32_e32 v3, 0x7f800000, v27, vcc_lo
	v_mad_u32 v27, s77, v22, v43
	v_mad_u32 v41, s78, v25, v35
	s_delay_alu instid0(VALU_DEP_3) | instskip(NEXT) | instid1(VALU_DEP_1)
	v_add_f32_e32 v3, 1.0, v3
	v_div_scale_f32 v35, null, v3, v3, 1.0
	s_delay_alu instid0(VALU_DEP_4) | instskip(SKIP_2) | instid1(VALU_DEP_4)
	v_mad_u32 v43, s76, v23, v27
	v_sub_nc_u64_e32 v[14:15], v[14:15], v[28:29]
	v_mul_u64_e32 v[22:23], s[28:29], v[32:33]
	v_rcp_f32_e32 v27, v35
	v_div_scale_f32 v30, vcc_lo, 1.0, v3, 1.0
	v_mul_u64_e32 v[24:25], s[26:27], v[40:41]
	v_bfi_b32 v33, 0x7fffffff, v10, v26
	v_add_nc_u64_e32 v[14:15], v[0:1], v[14:15]
	v_add_nc_u64_e32 v[0:1], s[66:67], v[0:1]
	s_delay_alu instid0(TRANS32_DEP_1)
	v_fma_f32 v28, -v35, v27, 1.0
	v_lshl_add_u64 v[10:11], v[46:47], 1, s[54:55]
	v_lshl_add_u64 v[20:21], v[20:21], 1, s[62:63]
	v_cvt_f16_f32_e32 v26, v26
	v_lshl_add_u64 v[8:9], v[8:9], 1, v[16:17]
	v_fmac_f32_e32 v27, v28, v27
	v_mul_u64_e32 v[28:29], s[22:23], v[42:43]
	v_mul_u64_e32 v[14:15], s[30:31], v[14:15]
	v_cmp_le_i64_e64 s0, s[6:7], v[0:1]
	v_lshl_add_u64 v[12:13], v[12:13], 1, v[18:19]
	v_mul_f32_e32 v31, v30, v27
	s_or_b32 s84, s0, s84
	s_delay_alu instid0(VALU_DEP_1) | instskip(NEXT) | instid1(VALU_DEP_1)
	v_fma_f32 v32, -v35, v31, v30
	v_fmac_f32_e32 v31, v32, v27
	v_cvt_f16_f32_e32 v32, v7
	v_lshl_add_u64 v[6:7], v[44:45], 1, s[58:59]
	v_lshl_add_u64 v[22:23], v[22:23], 1, s[62:63]
	s_delay_alu instid0(VALU_DEP_4) | instskip(NEXT) | instid1(VALU_DEP_3)
	v_fma_f32 v30, -v35, v31, v30
	v_lshl_add_u64 v[6:7], v[24:25], 1, v[6:7]
	s_delay_alu instid0(VALU_DEP_3) | instskip(NEXT) | instid1(VALU_DEP_3)
	v_lshl_add_u64 v[4:5], v[4:5], 1, v[22:23]
	v_div_fmas_f32 v27, v30, v27, v31
	s_delay_alu instid0(VALU_DEP_1) | instskip(SKIP_2) | instid1(VALU_DEP_3)
	v_div_fixup_f32 v3, v27, v3, 1.0
	v_lshl_add_u64 v[10:11], v[28:29], 1, v[10:11]
	v_lshl_add_u64 v[14:15], v[14:15], 1, v[20:21]
	v_fma_mixlo_f16 v20, v3, v33, 0
	v_cvt_f16_f32_e32 v3, v3
	global_store_b16 v[10:11], v20, off
	global_store_b16 v[6:7], v26, off
	s_clause 0x3
	global_store_b16 v[4:5], v32, off
	global_store_b16 v[8:9], v36, off
	global_store_b16 v[12:13], v37, off
	global_store_b16 v[14:15], v3, off
	s_wait_xcnt 0x0
	s_and_not1_b32 exec_lo, exec_lo, s84
	s_cbranch_execz .LBB11_78
.LBB11_3:                               ; =>This Inner Loop Header: Depth=1
	v_dual_ashrrev_i32 v6, 31, v1 :: v_dual_bitop2_b32 v3, s5, v1 bitop3:0x54
                                        ; implicit-def: $vgpr10_vgpr11
	s_mov_b32 s0, exec_lo
	s_delay_alu instid0(VALU_DEP_1)
	v_cmpx_ne_u64_e32 0, v[2:3]
	s_xor_b32 s85, exec_lo, s0
	s_cbranch_execz .LBB11_5
; %bb.4:                                ;   in Loop: Header=BB11_3 Depth=1
	s_ashr_i32 s80, s5, 31
	v_dual_mov_b32 v7, v6 :: v_dual_mov_b32 v9, v2
	s_mov_b32 s81, s80
	v_mov_b32_e32 v13, v2
	s_add_nc_u64 s[82:83], s[4:5], s[80:81]
	s_delay_alu instid0(VALU_DEP_2)
	v_add_nc_u64_e32 v[4:5], v[0:1], v[6:7]
	s_xor_b64 s[82:83], s[82:83], s[80:81]
	v_mov_b32_e32 v17, v2
	s_cvt_f32_u32 s0, s82
	s_cvt_f32_u32 s2, s83
	s_sub_nc_u64 s[88:89], 0, s[82:83]
	s_delay_alu instid0(VALU_DEP_2) | instskip(NEXT) | instid1(SALU_CYCLE_1)
	v_xor_b32_e32 v8, v4, v6
	s_fmamk_f32 s0, s2, 0x4f800000, s0
	v_xor_b32_e32 v12, v5, v6
	s_delay_alu instid0(SALU_CYCLE_2) | instskip(NEXT) | instid1(TRANS32_DEP_1)
	v_s_rcp_f32 s0, s0
	s_mul_f32 s0, s0, 0x5f7ffffc
	s_delay_alu instid0(SALU_CYCLE_3) | instskip(NEXT) | instid1(SALU_CYCLE_3)
	s_mul_f32 s2, s0, 0x2f800000
	s_trunc_f32 s2, s2
	s_delay_alu instid0(SALU_CYCLE_3) | instskip(SKIP_1) | instid1(SALU_CYCLE_2)
	s_fmamk_f32 s0, s2, 0xcf800000, s0
	s_cvt_u32_f32 s87, s2
	s_cvt_u32_f32 s86, s0
	s_delay_alu instid0(SALU_CYCLE_3) | instskip(NEXT) | instid1(SALU_CYCLE_1)
	s_mul_u64 s[90:91], s[88:89], s[86:87]
	s_mul_hi_u32 s93, s86, s91
	s_mul_i32 s92, s86, s91
	s_mul_hi_u32 s2, s86, s90
	s_mul_i32 s81, s87, s90
	s_add_nc_u64 s[92:93], s[2:3], s[92:93]
	s_mul_hi_u32 s0, s87, s90
	s_mul_hi_u32 s94, s87, s91
	s_add_co_u32 s2, s92, s81
	s_add_co_ci_u32 s2, s93, s0
	s_mul_i32 s90, s87, s91
	s_add_co_ci_u32 s91, s94, 0
	s_delay_alu instid0(SALU_CYCLE_1) | instskip(NEXT) | instid1(SALU_CYCLE_1)
	s_add_nc_u64 s[90:91], s[2:3], s[90:91]
	s_add_co_u32 s86, s86, s90
	s_cselect_b32 s0, -1, 0
	s_delay_alu instid0(SALU_CYCLE_1) | instskip(SKIP_1) | instid1(SALU_CYCLE_1)
	s_cmp_lg_u32 s0, 0
	s_add_co_ci_u32 s87, s87, s91
	s_mul_u64 s[88:89], s[88:89], s[86:87]
	s_delay_alu instid0(SALU_CYCLE_1)
	s_mul_hi_u32 s91, s86, s89
	s_mul_i32 s90, s86, s89
	s_mul_hi_u32 s2, s86, s88
	s_mul_i32 s81, s87, s88
	s_add_nc_u64 s[90:91], s[2:3], s[90:91]
	s_mul_hi_u32 s0, s87, s88
	s_mul_hi_u32 s92, s87, s89
	s_add_co_u32 s2, s90, s81
	s_add_co_ci_u32 s2, s91, s0
	s_mul_i32 s88, s87, s89
	s_add_co_ci_u32 s89, s92, 0
	s_delay_alu instid0(SALU_CYCLE_1) | instskip(NEXT) | instid1(SALU_CYCLE_1)
	s_add_nc_u64 s[88:89], s[2:3], s[88:89]
	s_add_co_u32 s0, s86, s88
	s_cselect_b32 s2, -1, 0
	v_nop
	v_mul_hi_u32 v16, v8, s0
	s_cmp_lg_u32 s2, 0
	s_add_co_ci_u32 s2, s87, s89
	s_and_b64 s[86:87], s[0:1], s[74:75]
	v_mul_u64_e32 v[10:11], s[2:3], v[8:9]
	v_mul_u64_e32 v[4:5], s[86:87], v[12:13]
	;; [unrolled: 1-line block ×3, first 2 shown]
	s_delay_alu instid0(VALU_DEP_3) | instskip(NEXT) | instid1(VALU_DEP_1)
	v_add_nc_u64_e32 v[10:11], v[16:17], v[10:11]
	v_add_co_u32 v3, vcc_lo, v10, v4
	s_delay_alu instid0(VALU_DEP_2) | instskip(NEXT) | instid1(VALU_DEP_4)
	v_add_co_ci_u32_e32 v16, vcc_lo, v11, v5, vcc_lo
	v_add_co_ci_u32_e32 v15, vcc_lo, 0, v15, vcc_lo
	s_delay_alu instid0(VALU_DEP_1) | instskip(NEXT) | instid1(VALU_DEP_1)
	v_add_nc_u64_e32 v[4:5], v[16:17], v[14:15]
	v_mul_u64_e32 v[10:11], s[82:83], v[4:5]
	s_delay_alu instid0(VALU_DEP_1) | instskip(NEXT) | instid1(VALU_DEP_2)
	v_sub_nc_u32_e32 v3, v12, v11
	v_sub_co_u32 v7, vcc_lo, v8, v10
	s_delay_alu instid0(VALU_DEP_1) | instskip(NEXT) | instid1(VALU_DEP_3)
	v_sub_co_ci_u32_e64 v12, null, v12, v11, vcc_lo
	v_subrev_co_ci_u32_e64 v3, null, s83, v3, vcc_lo
	s_delay_alu instid0(VALU_DEP_3) | instskip(SKIP_1) | instid1(VALU_DEP_3)
	v_sub_co_u32 v8, s0, v7, s82
	v_add_nc_u64_e32 v[10:11], 1, v[4:5]
	v_subrev_co_ci_u32_e64 v3, null, 0, v3, s0
	s_delay_alu instid0(VALU_DEP_3) | instskip(SKIP_1) | instid1(VALU_DEP_3)
	v_cmp_le_u32_e32 vcc_lo, s82, v8
	v_cndmask_b32_e64 v8, 0, -1, vcc_lo
	v_cmp_le_u32_e32 vcc_lo, s83, v3
	v_cndmask_b32_e64 v9, 0, -1, vcc_lo
	;; [unrolled: 2-line block ×4, first 2 shown]
	v_cmp_eq_u32_e32 vcc_lo, s83, v3
	v_cndmask_b32_e32 v3, v9, v8, vcc_lo
	v_cmp_eq_u32_e32 vcc_lo, s83, v12
	v_add_nc_u64_e32 v[8:9], 2, v[4:5]
	v_cndmask_b32_e32 v7, v13, v7, vcc_lo
	s_delay_alu instid0(VALU_DEP_4) | instskip(NEXT) | instid1(VALU_DEP_3)
	v_cmp_ne_u32_e32 vcc_lo, 0, v3
	v_cndmask_b32_e32 v3, v11, v9, vcc_lo
	s_delay_alu instid0(VALU_DEP_3) | instskip(SKIP_1) | instid1(VALU_DEP_1)
	v_cmp_ne_u32_e64 s0, 0, v7
	v_dual_cndmask_b32 v7, v10, v8, vcc_lo :: v_dual_bitop2_b32 v8, s80, v6 bitop3:0x14
	v_dual_cndmask_b32 v3, v5, v3, s0 :: v_dual_mov_b32 v9, v8
	s_delay_alu instid0(VALU_DEP_1) | instskip(NEXT) | instid1(VALU_DEP_1)
	v_dual_cndmask_b32 v4, v4, v7, s0 :: v_dual_bitop2_b32 v5, v3, v8 bitop3:0x14
	v_xor_b32_e32 v4, v4, v8
	s_delay_alu instid0(VALU_DEP_1)
	v_sub_nc_u64_e32 v[10:11], v[4:5], v[8:9]
.LBB11_5:                               ;   in Loop: Header=BB11_3 Depth=1
	s_and_not1_saveexec_b32 s0, s85
	s_cbranch_execz .LBB11_7
; %bb.6:                                ;   in Loop: Header=BB11_3 Depth=1
	s_sub_co_i32 s2, 0, s4
	v_mov_b32_e32 v11, v2
	v_mul_lo_u32 v3, s2, v34
	s_delay_alu instid0(VALU_DEP_1) | instskip(NEXT) | instid1(VALU_DEP_1)
	v_mul_hi_u32 v3, v34, v3
	v_add_nc_u32_e32 v3, v34, v3
	s_delay_alu instid0(VALU_DEP_1) | instskip(NEXT) | instid1(VALU_DEP_1)
	v_mul_hi_u32 v3, v0, v3
	v_mul_lo_u32 v4, v3, s4
	s_delay_alu instid0(VALU_DEP_1) | instskip(NEXT) | instid1(VALU_DEP_1)
	v_dual_add_nc_u32 v5, 1, v3 :: v_dual_sub_nc_u32 v4, v0, v4
	v_subrev_nc_u32_e32 v7, s4, v4
	v_cmp_le_u32_e32 vcc_lo, s4, v4
	s_delay_alu instid0(VALU_DEP_2) | instskip(NEXT) | instid1(VALU_DEP_1)
	v_dual_cndmask_b32 v4, v4, v7 :: v_dual_cndmask_b32 v3, v3, v5
	v_cmp_le_u32_e32 vcc_lo, s4, v4
	s_delay_alu instid0(VALU_DEP_2) | instskip(NEXT) | instid1(VALU_DEP_1)
	v_add_nc_u32_e32 v5, 1, v3
	v_cndmask_b32_e32 v10, v3, v5, vcc_lo
.LBB11_7:                               ;   in Loop: Header=BB11_3 Depth=1
	s_or_b32 exec_lo, exec_lo, s0
	s_delay_alu instid0(VALU_DEP_1) | instskip(SKIP_1) | instid1(VALU_DEP_1)
	v_mul_u64_e32 v[4:5], s[68:69], v[10:11]
                                        ; implicit-def: $vgpr8_vgpr9
	s_mov_b32 s0, exec_lo
	v_add_nc_u64_e32 v[24:25], v[0:1], v[4:5]
	s_delay_alu instid0(VALU_DEP_1) | instskip(NEXT) | instid1(VALU_DEP_1)
	v_dual_ashrrev_i32 v16, 31, v25 :: v_dual_bitop2_b32 v3, s37, v25 bitop3:0x54
	v_cmpx_ne_u64_e32 0, v[2:3]
	s_xor_b32 s85, exec_lo, s0
	s_cbranch_execz .LBB11_9
; %bb.8:                                ;   in Loop: Header=BB11_3 Depth=1
	s_ashr_i32 s80, s37, 31
	v_dual_mov_b32 v17, v16 :: v_dual_mov_b32 v13, v2
	s_mov_b32 s81, s80
	v_mov_b32_e32 v19, v2
	s_add_nc_u64 s[82:83], s[36:37], s[80:81]
	s_delay_alu instid0(VALU_DEP_2)
	v_add_nc_u64_e32 v[8:9], v[24:25], v[16:17]
	s_xor_b64 s[82:83], s[82:83], s[80:81]
	v_mov_b32_e32 v23, v2
	s_cvt_f32_u32 s0, s82
	s_cvt_f32_u32 s2, s83
	s_sub_nc_u64 s[88:89], 0, s[82:83]
	s_delay_alu instid0(VALU_DEP_2) | instskip(NEXT) | instid1(SALU_CYCLE_1)
	v_xor_b32_e32 v12, v8, v16
	s_fmamk_f32 s0, s2, 0x4f800000, s0
	v_xor_b32_e32 v18, v9, v16
	s_delay_alu instid0(SALU_CYCLE_2) | instskip(NEXT) | instid1(TRANS32_DEP_1)
	v_s_rcp_f32 s0, s0
	s_mul_f32 s0, s0, 0x5f7ffffc
	s_delay_alu instid0(SALU_CYCLE_3) | instskip(NEXT) | instid1(SALU_CYCLE_3)
	s_mul_f32 s2, s0, 0x2f800000
	s_trunc_f32 s2, s2
	s_delay_alu instid0(SALU_CYCLE_3) | instskip(SKIP_1) | instid1(SALU_CYCLE_2)
	s_fmamk_f32 s0, s2, 0xcf800000, s0
	s_cvt_u32_f32 s87, s2
	s_cvt_u32_f32 s86, s0
	s_delay_alu instid0(SALU_CYCLE_3) | instskip(NEXT) | instid1(SALU_CYCLE_1)
	s_mul_u64 s[90:91], s[88:89], s[86:87]
	s_mul_hi_u32 s93, s86, s91
	s_mul_i32 s92, s86, s91
	s_mul_hi_u32 s2, s86, s90
	s_mul_i32 s81, s87, s90
	s_add_nc_u64 s[92:93], s[2:3], s[92:93]
	s_mul_hi_u32 s0, s87, s90
	s_mul_hi_u32 s94, s87, s91
	s_add_co_u32 s2, s92, s81
	s_add_co_ci_u32 s2, s93, s0
	s_mul_i32 s90, s87, s91
	s_add_co_ci_u32 s91, s94, 0
	s_delay_alu instid0(SALU_CYCLE_1) | instskip(NEXT) | instid1(SALU_CYCLE_1)
	s_add_nc_u64 s[90:91], s[2:3], s[90:91]
	s_add_co_u32 s86, s86, s90
	s_cselect_b32 s0, -1, 0
	s_delay_alu instid0(SALU_CYCLE_1) | instskip(SKIP_1) | instid1(SALU_CYCLE_1)
	s_cmp_lg_u32 s0, 0
	s_add_co_ci_u32 s87, s87, s91
	s_mul_u64 s[88:89], s[88:89], s[86:87]
	s_delay_alu instid0(SALU_CYCLE_1)
	s_mul_hi_u32 s91, s86, s89
	s_mul_i32 s90, s86, s89
	s_mul_hi_u32 s2, s86, s88
	s_mul_i32 s81, s87, s88
	s_add_nc_u64 s[90:91], s[2:3], s[90:91]
	s_mul_hi_u32 s0, s87, s88
	s_mul_hi_u32 s92, s87, s89
	s_add_co_u32 s2, s90, s81
	s_add_co_ci_u32 s2, s91, s0
	s_mul_i32 s88, s87, s89
	s_add_co_ci_u32 s89, s92, 0
	s_delay_alu instid0(SALU_CYCLE_1) | instskip(NEXT) | instid1(SALU_CYCLE_1)
	s_add_nc_u64 s[88:89], s[2:3], s[88:89]
	s_add_co_u32 s0, s86, s88
	s_cselect_b32 s2, -1, 0
	v_nop
	v_mul_hi_u32 v22, v12, s0
	s_cmp_lg_u32 s2, 0
	s_add_co_ci_u32 s2, s87, s89
	s_and_b64 s[86:87], s[0:1], s[74:75]
	v_mul_u64_e32 v[14:15], s[2:3], v[12:13]
	v_mul_u64_e32 v[8:9], s[86:87], v[18:19]
	v_mul_u64_e32 v[20:21], s[2:3], v[18:19]
	s_delay_alu instid0(VALU_DEP_3) | instskip(NEXT) | instid1(VALU_DEP_1)
	v_add_nc_u64_e32 v[14:15], v[22:23], v[14:15]
	v_add_co_u32 v3, vcc_lo, v14, v8
	s_delay_alu instid0(VALU_DEP_2) | instskip(NEXT) | instid1(VALU_DEP_4)
	v_add_co_ci_u32_e32 v22, vcc_lo, v15, v9, vcc_lo
	v_add_co_ci_u32_e32 v21, vcc_lo, 0, v21, vcc_lo
	s_delay_alu instid0(VALU_DEP_1) | instskip(NEXT) | instid1(VALU_DEP_1)
	v_add_nc_u64_e32 v[8:9], v[22:23], v[20:21]
	v_mul_u64_e32 v[14:15], s[82:83], v[8:9]
	s_delay_alu instid0(VALU_DEP_1) | instskip(NEXT) | instid1(VALU_DEP_2)
	v_sub_nc_u32_e32 v3, v18, v15
	v_sub_co_u32 v7, vcc_lo, v12, v14
	s_delay_alu instid0(VALU_DEP_1) | instskip(NEXT) | instid1(VALU_DEP_3)
	v_sub_co_ci_u32_e64 v17, null, v18, v15, vcc_lo
	v_subrev_co_ci_u32_e64 v3, null, s83, v3, vcc_lo
	s_delay_alu instid0(VALU_DEP_3) | instskip(SKIP_1) | instid1(VALU_DEP_3)
	v_sub_co_u32 v12, s0, v7, s82
	v_add_nc_u64_e32 v[14:15], 1, v[8:9]
	v_subrev_co_ci_u32_e64 v3, null, 0, v3, s0
	s_delay_alu instid0(VALU_DEP_3) | instskip(SKIP_1) | instid1(VALU_DEP_3)
	v_cmp_le_u32_e32 vcc_lo, s82, v12
	v_cndmask_b32_e64 v12, 0, -1, vcc_lo
	v_cmp_le_u32_e32 vcc_lo, s83, v3
	v_cndmask_b32_e64 v13, 0, -1, vcc_lo
	;; [unrolled: 2-line block ×4, first 2 shown]
	v_cmp_eq_u32_e32 vcc_lo, s83, v3
	v_cndmask_b32_e32 v3, v13, v12, vcc_lo
	v_cmp_eq_u32_e32 vcc_lo, s83, v17
	v_add_nc_u64_e32 v[12:13], 2, v[8:9]
	v_cndmask_b32_e32 v7, v18, v7, vcc_lo
	s_delay_alu instid0(VALU_DEP_4) | instskip(NEXT) | instid1(VALU_DEP_2)
	v_cmp_ne_u32_e32 vcc_lo, 0, v3
	v_cmp_ne_u32_e64 s0, 0, v7
	s_delay_alu instid0(VALU_DEP_4) | instskip(NEXT) | instid1(VALU_DEP_1)
	v_dual_cndmask_b32 v3, v15, v13, vcc_lo :: v_dual_cndmask_b32 v7, v14, v12, vcc_lo
	v_dual_cndmask_b32 v3, v9, v3, s0 :: v_dual_bitop2_b32 v12, s80, v16 bitop3:0x14
	s_delay_alu instid0(VALU_DEP_1) | instskip(NEXT) | instid1(VALU_DEP_2)
	v_mov_b32_e32 v13, v12
	v_dual_cndmask_b32 v7, v8, v7, s0 :: v_dual_bitop2_b32 v9, v3, v12 bitop3:0x14
	s_delay_alu instid0(VALU_DEP_1) | instskip(NEXT) | instid1(VALU_DEP_1)
	v_xor_b32_e32 v8, v7, v12
	v_sub_nc_u64_e32 v[8:9], v[8:9], v[12:13]
.LBB11_9:                               ;   in Loop: Header=BB11_3 Depth=1
	s_or_saveexec_b32 s0, s85
	v_cvt_f32_u32_e32 v7, s36
	s_xor_b32 exec_lo, exec_lo, s0
	s_cbranch_execz .LBB11_11
; %bb.10:                               ;   in Loop: Header=BB11_3 Depth=1
	s_delay_alu instid0(VALU_DEP_1) | instskip(SKIP_2) | instid1(TRANS32_DEP_1)
	v_rcp_iflag_f32_e32 v3, v7
	s_sub_co_i32 s2, 0, s36
	v_nop
	v_mul_f32_e32 v3, 0x4f7ffffe, v3
	s_delay_alu instid0(VALU_DEP_1) | instskip(NEXT) | instid1(VALU_DEP_1)
	v_cvt_u32_f32_e32 v3, v3
	v_mul_lo_u32 v8, s2, v3
	s_delay_alu instid0(VALU_DEP_1) | instskip(NEXT) | instid1(VALU_DEP_1)
	v_mul_hi_u32 v8, v3, v8
	v_add_nc_u32_e32 v3, v3, v8
	s_delay_alu instid0(VALU_DEP_1) | instskip(NEXT) | instid1(VALU_DEP_1)
	v_mul_hi_u32 v3, v24, v3
	v_mul_lo_u32 v8, v3, s36
	s_delay_alu instid0(VALU_DEP_1) | instskip(NEXT) | instid1(VALU_DEP_1)
	v_sub_nc_u32_e32 v8, v24, v8
	v_subrev_nc_u32_e32 v12, s36, v8
	v_cmp_le_u32_e32 vcc_lo, s36, v8
	s_delay_alu instid0(VALU_DEP_2) | instskip(NEXT) | instid1(VALU_DEP_1)
	v_dual_cndmask_b32 v8, v8, v12 :: v_dual_add_nc_u32 v9, 1, v3
	v_cndmask_b32_e32 v3, v3, v9, vcc_lo
	s_delay_alu instid0(VALU_DEP_2) | instskip(NEXT) | instid1(VALU_DEP_2)
	v_cmp_le_u32_e32 vcc_lo, s36, v8
	v_add_nc_u32_e32 v9, 1, v3
	s_delay_alu instid0(VALU_DEP_1)
	v_dual_cndmask_b32 v8, v3, v9 :: v_dual_mov_b32 v9, v2
.LBB11_11:                              ;   in Loop: Header=BB11_3 Depth=1
	s_or_b32 exec_lo, exec_lo, s0
	s_delay_alu instid0(VALU_DEP_1) | instskip(SKIP_3) | instid1(VALU_DEP_3)
	v_mul_u64_e32 v[12:13], s[36:37], v[8:9]
	v_mul_u64_e32 v[8:9], s[8:9], v[8:9]
	;; [unrolled: 1-line block ×3, first 2 shown]
	s_mov_b32 s0, exec_lo
	v_sub_nc_u64_e32 v[12:13], v[4:5], v[12:13]
	s_delay_alu instid0(VALU_DEP_3) | instskip(NEXT) | instid1(VALU_DEP_2)
	v_lshl_add_u64 v[8:9], v[8:9], 1, s[34:35]
	v_add_nc_u64_e32 v[12:13], v[0:1], v[12:13]
	s_delay_alu instid0(VALU_DEP_1) | instskip(NEXT) | instid1(VALU_DEP_1)
	v_mul_u64_e32 v[12:13], s[10:11], v[12:13]
	v_lshl_add_u64 v[8:9], v[12:13], 1, v[8:9]
                                        ; implicit-def: $vgpr12_vgpr13
	global_load_u16 v35, v[8:9], off
	s_wait_xcnt 0x0
	v_mad_nc_u64_u32 v[8:9], s4, v14, s[4:5]
	s_delay_alu instid0(VALU_DEP_1) | instskip(NEXT) | instid1(VALU_DEP_1)
	v_mad_u32 v3, s5, v14, v9
	v_mad_u32 v9, s4, v15, v3
	s_delay_alu instid0(VALU_DEP_1) | instskip(NEXT) | instid1(VALU_DEP_1)
	v_add_nc_u64_e32 v[26:27], v[0:1], v[8:9]
	v_dual_ashrrev_i32 v18, 31, v27 :: v_dual_bitop2_b32 v3, s37, v27 bitop3:0x54
	s_delay_alu instid0(VALU_DEP_1)
	v_cmpx_ne_u64_e32 0, v[2:3]
	s_xor_b32 s85, exec_lo, s0
	s_cbranch_execz .LBB11_13
; %bb.12:                               ;   in Loop: Header=BB11_3 Depth=1
	s_ashr_i32 s80, s37, 31
	v_dual_mov_b32 v19, v18 :: v_dual_mov_b32 v21, v2
	s_mov_b32 s81, s80
	v_mov_b32_e32 v29, v2
	s_add_nc_u64 s[82:83], s[36:37], s[80:81]
	s_delay_alu instid0(VALU_DEP_2)
	v_add_nc_u64_e32 v[12:13], v[26:27], v[18:19]
	s_xor_b64 s[82:83], s[82:83], s[80:81]
	v_mov_b32_e32 v33, v2
	s_cvt_f32_u32 s0, s82
	s_cvt_f32_u32 s2, s83
	s_sub_nc_u64 s[88:89], 0, s[82:83]
	s_delay_alu instid0(VALU_DEP_2) | instskip(NEXT) | instid1(SALU_CYCLE_1)
	v_xor_b32_e32 v20, v12, v18
	s_fmamk_f32 s0, s2, 0x4f800000, s0
	v_xor_b32_e32 v28, v13, v18
	s_delay_alu instid0(SALU_CYCLE_2) | instskip(NEXT) | instid1(TRANS32_DEP_1)
	v_s_rcp_f32 s0, s0
	s_mul_f32 s0, s0, 0x5f7ffffc
	s_delay_alu instid0(SALU_CYCLE_3) | instskip(NEXT) | instid1(SALU_CYCLE_3)
	s_mul_f32 s2, s0, 0x2f800000
	s_trunc_f32 s2, s2
	s_delay_alu instid0(SALU_CYCLE_3) | instskip(SKIP_1) | instid1(SALU_CYCLE_2)
	s_fmamk_f32 s0, s2, 0xcf800000, s0
	s_cvt_u32_f32 s87, s2
	s_cvt_u32_f32 s86, s0
	s_delay_alu instid0(SALU_CYCLE_3) | instskip(NEXT) | instid1(SALU_CYCLE_1)
	s_mul_u64 s[90:91], s[88:89], s[86:87]
	s_mul_hi_u32 s93, s86, s91
	s_mul_i32 s92, s86, s91
	s_mul_hi_u32 s2, s86, s90
	s_mul_i32 s81, s87, s90
	s_add_nc_u64 s[92:93], s[2:3], s[92:93]
	s_mul_hi_u32 s0, s87, s90
	s_mul_hi_u32 s94, s87, s91
	s_add_co_u32 s2, s92, s81
	s_add_co_ci_u32 s2, s93, s0
	s_mul_i32 s90, s87, s91
	s_add_co_ci_u32 s91, s94, 0
	s_delay_alu instid0(SALU_CYCLE_1) | instskip(NEXT) | instid1(SALU_CYCLE_1)
	s_add_nc_u64 s[90:91], s[2:3], s[90:91]
	s_add_co_u32 s86, s86, s90
	s_cselect_b32 s0, -1, 0
	s_delay_alu instid0(SALU_CYCLE_1) | instskip(SKIP_1) | instid1(SALU_CYCLE_1)
	s_cmp_lg_u32 s0, 0
	s_add_co_ci_u32 s87, s87, s91
	s_mul_u64 s[88:89], s[88:89], s[86:87]
	s_delay_alu instid0(SALU_CYCLE_1)
	s_mul_hi_u32 s91, s86, s89
	s_mul_i32 s90, s86, s89
	s_mul_hi_u32 s2, s86, s88
	s_mul_i32 s81, s87, s88
	s_add_nc_u64 s[90:91], s[2:3], s[90:91]
	s_mul_hi_u32 s0, s87, s88
	s_mul_hi_u32 s92, s87, s89
	s_add_co_u32 s2, s90, s81
	s_add_co_ci_u32 s2, s91, s0
	s_mul_i32 s88, s87, s89
	s_add_co_ci_u32 s89, s92, 0
	s_delay_alu instid0(SALU_CYCLE_1) | instskip(NEXT) | instid1(SALU_CYCLE_1)
	s_add_nc_u64 s[88:89], s[2:3], s[88:89]
	s_add_co_u32 s0, s86, s88
	s_cselect_b32 s2, -1, 0
	v_nop
	v_mul_hi_u32 v32, v20, s0
	s_cmp_lg_u32 s2, 0
	s_add_co_ci_u32 s2, s87, s89
	s_and_b64 s[86:87], s[0:1], s[74:75]
	v_mul_u64_e32 v[22:23], s[2:3], v[20:21]
	v_mul_u64_e32 v[12:13], s[86:87], v[28:29]
	;; [unrolled: 1-line block ×3, first 2 shown]
	s_delay_alu instid0(VALU_DEP_3) | instskip(NEXT) | instid1(VALU_DEP_1)
	v_add_nc_u64_e32 v[22:23], v[32:33], v[22:23]
	v_add_co_u32 v3, vcc_lo, v22, v12
	s_delay_alu instid0(VALU_DEP_2) | instskip(NEXT) | instid1(VALU_DEP_4)
	v_add_co_ci_u32_e32 v32, vcc_lo, v23, v13, vcc_lo
	v_add_co_ci_u32_e32 v31, vcc_lo, 0, v31, vcc_lo
	s_delay_alu instid0(VALU_DEP_1) | instskip(NEXT) | instid1(VALU_DEP_1)
	v_add_nc_u64_e32 v[12:13], v[32:33], v[30:31]
	v_mul_u64_e32 v[22:23], s[82:83], v[12:13]
	s_delay_alu instid0(VALU_DEP_1) | instskip(NEXT) | instid1(VALU_DEP_2)
	v_sub_nc_u32_e32 v3, v28, v23
	v_sub_co_u32 v17, vcc_lo, v20, v22
	s_delay_alu instid0(VALU_DEP_1) | instskip(NEXT) | instid1(VALU_DEP_3)
	v_sub_co_ci_u32_e64 v28, null, v28, v23, vcc_lo
	v_subrev_co_ci_u32_e64 v3, null, s83, v3, vcc_lo
	s_delay_alu instid0(VALU_DEP_3) | instskip(SKIP_1) | instid1(VALU_DEP_3)
	v_sub_co_u32 v19, s0, v17, s82
	v_add_nc_u64_e32 v[22:23], 1, v[12:13]
	v_subrev_co_ci_u32_e64 v3, null, 0, v3, s0
	s_delay_alu instid0(VALU_DEP_3) | instskip(SKIP_1) | instid1(VALU_DEP_3)
	v_cmp_le_u32_e32 vcc_lo, s82, v19
	v_cndmask_b32_e64 v19, 0, -1, vcc_lo
	v_cmp_le_u32_e32 vcc_lo, s83, v3
	v_cndmask_b32_e64 v20, 0, -1, vcc_lo
	;; [unrolled: 2-line block ×4, first 2 shown]
	v_cmp_eq_u32_e32 vcc_lo, s83, v3
	v_cndmask_b32_e32 v3, v20, v19, vcc_lo
	v_cmp_eq_u32_e32 vcc_lo, s83, v28
	v_add_nc_u64_e32 v[20:21], 2, v[12:13]
	v_cndmask_b32_e32 v17, v29, v17, vcc_lo
	s_delay_alu instid0(VALU_DEP_4) | instskip(NEXT) | instid1(VALU_DEP_2)
	v_cmp_ne_u32_e32 vcc_lo, 0, v3
	v_cmp_ne_u32_e64 s0, 0, v17
	s_delay_alu instid0(VALU_DEP_4) | instskip(NEXT) | instid1(VALU_DEP_1)
	v_dual_cndmask_b32 v3, v23, v21, vcc_lo :: v_dual_cndmask_b32 v17, v22, v20, vcc_lo
	v_dual_cndmask_b32 v3, v13, v3, s0 :: v_dual_bitop2_b32 v20, s80, v18 bitop3:0x14
	s_delay_alu instid0(VALU_DEP_2) | instskip(NEXT) | instid1(VALU_DEP_2)
	v_cndmask_b32_e64 v12, v12, v17, s0
	v_dual_mov_b32 v21, v20 :: v_dual_bitop2_b32 v13, v3, v20 bitop3:0x14
	s_delay_alu instid0(VALU_DEP_2) | instskip(NEXT) | instid1(VALU_DEP_1)
	v_xor_b32_e32 v12, v12, v20
	v_sub_nc_u64_e32 v[12:13], v[12:13], v[20:21]
.LBB11_13:                              ;   in Loop: Header=BB11_3 Depth=1
	s_and_not1_saveexec_b32 s0, s85
	s_cbranch_execz .LBB11_15
; %bb.14:                               ;   in Loop: Header=BB11_3 Depth=1
	v_rcp_iflag_f32_e32 v3, v7
	s_sub_co_i32 s2, 0, s36
	v_nop
	s_delay_alu instid0(TRANS32_DEP_1) | instskip(NEXT) | instid1(VALU_DEP_1)
	v_mul_f32_e32 v3, 0x4f7ffffe, v3
	v_cvt_u32_f32_e32 v3, v3
	s_delay_alu instid0(VALU_DEP_1) | instskip(NEXT) | instid1(VALU_DEP_1)
	v_mul_lo_u32 v12, s2, v3
	v_mul_hi_u32 v12, v3, v12
	s_delay_alu instid0(VALU_DEP_1) | instskip(NEXT) | instid1(VALU_DEP_1)
	v_add_nc_u32_e32 v3, v3, v12
	v_mul_hi_u32 v3, v26, v3
	s_delay_alu instid0(VALU_DEP_1) | instskip(NEXT) | instid1(VALU_DEP_1)
	v_mul_lo_u32 v12, v3, s36
	v_dual_add_nc_u32 v13, 1, v3 :: v_dual_sub_nc_u32 v12, v26, v12
	s_delay_alu instid0(VALU_DEP_1) | instskip(SKIP_1) | instid1(VALU_DEP_2)
	v_subrev_nc_u32_e32 v17, s36, v12
	v_cmp_le_u32_e32 vcc_lo, s36, v12
	v_cndmask_b32_e32 v12, v12, v17, vcc_lo
	s_delay_alu instid0(VALU_DEP_4) | instskip(NEXT) | instid1(VALU_DEP_2)
	v_cndmask_b32_e32 v3, v3, v13, vcc_lo
	v_cmp_le_u32_e32 vcc_lo, s36, v12
	s_delay_alu instid0(VALU_DEP_2) | instskip(NEXT) | instid1(VALU_DEP_1)
	v_add_nc_u32_e32 v13, 1, v3
	v_dual_cndmask_b32 v12, v3, v13 :: v_dual_mov_b32 v13, v2
.LBB11_15:                              ;   in Loop: Header=BB11_3 Depth=1
	s_or_b32 exec_lo, exec_lo, s0
	s_delay_alu instid0(VALU_DEP_1) | instskip(SKIP_2) | instid1(VALU_DEP_2)
	v_mul_u64_e32 v[20:21], s[36:37], v[12:13]
	v_mul_u64_e32 v[12:13], s[8:9], v[12:13]
                                        ; implicit-def: $vgpr22_vgpr23
	s_mov_b32 s0, exec_lo
	v_sub_nc_u64_e32 v[20:21], v[8:9], v[20:21]
	s_delay_alu instid0(VALU_DEP_2) | instskip(NEXT) | instid1(VALU_DEP_2)
	v_lshl_add_u64 v[12:13], v[12:13], 1, s[34:35]
	v_add_nc_u64_e32 v[20:21], v[0:1], v[20:21]
	s_delay_alu instid0(VALU_DEP_1) | instskip(NEXT) | instid1(VALU_DEP_1)
	v_mul_u64_e32 v[20:21], s[10:11], v[20:21]
	v_lshl_add_u64 v[12:13], v[20:21], 1, v[12:13]
	global_load_u16 v36, v[12:13], off
	s_wait_xcnt 0x0
	v_add_nc_u64_e32 v[12:13], 2, v[14:15]
	s_delay_alu instid0(VALU_DEP_1) | instskip(NEXT) | instid1(VALU_DEP_1)
	v_mul_u64_e32 v[12:13], s[4:5], v[12:13]
	v_add_nc_u64_e32 v[28:29], v[0:1], v[12:13]
	s_delay_alu instid0(VALU_DEP_1) | instskip(NEXT) | instid1(VALU_DEP_1)
	v_dual_ashrrev_i32 v20, 31, v29 :: v_dual_bitop2_b32 v3, s37, v29 bitop3:0x54
	v_cmpx_ne_u64_e32 0, v[2:3]
	s_xor_b32 s85, exec_lo, s0
	s_cbranch_execz .LBB11_17
; %bb.16:                               ;   in Loop: Header=BB11_3 Depth=1
	s_ashr_i32 s80, s37, 31
	v_dual_mov_b32 v21, v20 :: v_dual_mov_b32 v31, v2
	s_mov_b32 s81, s80
	v_mov_b32_e32 v43, v2
	s_add_nc_u64 s[82:83], s[36:37], s[80:81]
	s_delay_alu instid0(VALU_DEP_2)
	v_add_nc_u64_e32 v[22:23], v[28:29], v[20:21]
	s_xor_b64 s[82:83], s[82:83], s[80:81]
	v_mov_b32_e32 v39, v2
	s_cvt_f32_u32 s0, s82
	s_cvt_f32_u32 s2, s83
	s_sub_nc_u64 s[88:89], 0, s[82:83]
	s_delay_alu instid0(VALU_DEP_2) | instskip(NEXT) | instid1(SALU_CYCLE_1)
	v_xor_b32_e32 v30, v22, v20
	s_fmamk_f32 s0, s2, 0x4f800000, s0
	v_xor_b32_e32 v38, v23, v20
	s_delay_alu instid0(SALU_CYCLE_2) | instskip(NEXT) | instid1(TRANS32_DEP_1)
	v_s_rcp_f32 s0, s0
	s_mul_f32 s0, s0, 0x5f7ffffc
	s_delay_alu instid0(SALU_CYCLE_3) | instskip(NEXT) | instid1(SALU_CYCLE_3)
	s_mul_f32 s2, s0, 0x2f800000
	s_trunc_f32 s2, s2
	s_delay_alu instid0(SALU_CYCLE_3) | instskip(SKIP_1) | instid1(SALU_CYCLE_2)
	s_fmamk_f32 s0, s2, 0xcf800000, s0
	s_cvt_u32_f32 s87, s2
	s_cvt_u32_f32 s86, s0
	s_delay_alu instid0(SALU_CYCLE_3) | instskip(NEXT) | instid1(SALU_CYCLE_1)
	s_mul_u64 s[90:91], s[88:89], s[86:87]
	s_mul_hi_u32 s93, s86, s91
	s_mul_i32 s92, s86, s91
	s_mul_hi_u32 s2, s86, s90
	s_mul_i32 s81, s87, s90
	s_add_nc_u64 s[92:93], s[2:3], s[92:93]
	s_mul_hi_u32 s0, s87, s90
	s_mul_hi_u32 s94, s87, s91
	s_add_co_u32 s2, s92, s81
	s_add_co_ci_u32 s2, s93, s0
	s_mul_i32 s90, s87, s91
	s_add_co_ci_u32 s91, s94, 0
	s_delay_alu instid0(SALU_CYCLE_1) | instskip(NEXT) | instid1(SALU_CYCLE_1)
	s_add_nc_u64 s[90:91], s[2:3], s[90:91]
	s_add_co_u32 s86, s86, s90
	s_cselect_b32 s0, -1, 0
	s_delay_alu instid0(SALU_CYCLE_1) | instskip(SKIP_1) | instid1(SALU_CYCLE_1)
	s_cmp_lg_u32 s0, 0
	s_add_co_ci_u32 s87, s87, s91
	s_mul_u64 s[88:89], s[88:89], s[86:87]
	s_delay_alu instid0(SALU_CYCLE_1)
	s_mul_hi_u32 s91, s86, s89
	s_mul_i32 s90, s86, s89
	s_mul_hi_u32 s2, s86, s88
	s_mul_i32 s81, s87, s88
	s_add_nc_u64 s[90:91], s[2:3], s[90:91]
	s_mul_hi_u32 s0, s87, s88
	s_mul_hi_u32 s92, s87, s89
	s_add_co_u32 s2, s90, s81
	s_add_co_ci_u32 s2, s91, s0
	s_mul_i32 s88, s87, s89
	s_add_co_ci_u32 s89, s92, 0
	s_delay_alu instid0(SALU_CYCLE_1) | instskip(NEXT) | instid1(SALU_CYCLE_1)
	s_add_nc_u64 s[88:89], s[2:3], s[88:89]
	s_add_co_u32 s0, s86, s88
	s_cselect_b32 s2, -1, 0
	v_nop
	v_mul_hi_u32 v42, v30, s0
	s_cmp_lg_u32 s2, 0
	s_add_co_ci_u32 s2, s87, s89
	s_and_b64 s[86:87], s[0:1], s[74:75]
	v_mul_u64_e32 v[32:33], s[2:3], v[30:31]
	v_mul_u64_e32 v[22:23], s[86:87], v[38:39]
	;; [unrolled: 1-line block ×3, first 2 shown]
	s_delay_alu instid0(VALU_DEP_3) | instskip(NEXT) | instid1(VALU_DEP_1)
	v_add_nc_u64_e32 v[32:33], v[42:43], v[32:33]
	v_add_co_u32 v3, vcc_lo, v32, v22
	s_delay_alu instid0(VALU_DEP_2) | instskip(NEXT) | instid1(VALU_DEP_4)
	v_add_co_ci_u32_e32 v42, vcc_lo, v33, v23, vcc_lo
	v_add_co_ci_u32_e32 v41, vcc_lo, 0, v41, vcc_lo
	s_delay_alu instid0(VALU_DEP_1) | instskip(NEXT) | instid1(VALU_DEP_1)
	v_add_nc_u64_e32 v[22:23], v[42:43], v[40:41]
	v_mul_u64_e32 v[32:33], s[82:83], v[22:23]
	s_delay_alu instid0(VALU_DEP_1) | instskip(NEXT) | instid1(VALU_DEP_2)
	v_sub_nc_u32_e32 v3, v38, v33
	v_sub_co_u32 v17, vcc_lo, v30, v32
	s_delay_alu instid0(VALU_DEP_1) | instskip(NEXT) | instid1(VALU_DEP_3)
	v_sub_co_ci_u32_e64 v21, null, v38, v33, vcc_lo
	v_subrev_co_ci_u32_e64 v3, null, s83, v3, vcc_lo
	s_delay_alu instid0(VALU_DEP_3) | instskip(SKIP_1) | instid1(VALU_DEP_3)
	v_sub_co_u32 v19, s0, v17, s82
	v_add_nc_u64_e32 v[32:33], 1, v[22:23]
	v_subrev_co_ci_u32_e64 v3, null, 0, v3, s0
	s_delay_alu instid0(VALU_DEP_3) | instskip(SKIP_1) | instid1(VALU_DEP_3)
	v_cmp_le_u32_e32 vcc_lo, s82, v19
	v_cndmask_b32_e64 v19, 0, -1, vcc_lo
	v_cmp_le_u32_e32 vcc_lo, s83, v3
	v_cndmask_b32_e64 v30, 0, -1, vcc_lo
	;; [unrolled: 2-line block ×4, first 2 shown]
	v_cmp_eq_u32_e32 vcc_lo, s83, v3
	v_cndmask_b32_e32 v3, v30, v19, vcc_lo
	v_cmp_eq_u32_e32 vcc_lo, s83, v21
	v_add_nc_u64_e32 v[30:31], 2, v[22:23]
	v_cndmask_b32_e32 v17, v37, v17, vcc_lo
	s_delay_alu instid0(VALU_DEP_4) | instskip(NEXT) | instid1(VALU_DEP_2)
	v_cmp_ne_u32_e32 vcc_lo, 0, v3
	v_cmp_ne_u32_e64 s0, 0, v17
	s_delay_alu instid0(VALU_DEP_4) | instskip(NEXT) | instid1(VALU_DEP_1)
	v_dual_cndmask_b32 v3, v33, v31, vcc_lo :: v_dual_cndmask_b32 v17, v32, v30, vcc_lo
	v_dual_cndmask_b32 v3, v23, v3, s0 :: v_dual_bitop2_b32 v30, s80, v20 bitop3:0x14
	s_delay_alu instid0(VALU_DEP_2) | instskip(NEXT) | instid1(VALU_DEP_2)
	v_cndmask_b32_e64 v17, v22, v17, s0
	v_dual_mov_b32 v31, v30 :: v_dual_bitop2_b32 v23, v3, v30 bitop3:0x14
	s_delay_alu instid0(VALU_DEP_2) | instskip(NEXT) | instid1(VALU_DEP_1)
	v_xor_b32_e32 v22, v17, v30
	v_sub_nc_u64_e32 v[22:23], v[22:23], v[30:31]
.LBB11_17:                              ;   in Loop: Header=BB11_3 Depth=1
	s_and_not1_saveexec_b32 s0, s85
	s_cbranch_execz .LBB11_19
; %bb.18:                               ;   in Loop: Header=BB11_3 Depth=1
	v_rcp_iflag_f32_e32 v3, v7
	s_sub_co_i32 s2, 0, s36
	v_mov_b32_e32 v23, v2
	s_delay_alu instid0(TRANS32_DEP_1) | instskip(NEXT) | instid1(VALU_DEP_1)
	v_mul_f32_e32 v3, 0x4f7ffffe, v3
	v_cvt_u32_f32_e32 v3, v3
	s_delay_alu instid0(VALU_DEP_1) | instskip(NEXT) | instid1(VALU_DEP_1)
	v_mul_lo_u32 v17, s2, v3
	v_mul_hi_u32 v17, v3, v17
	s_delay_alu instid0(VALU_DEP_1) | instskip(NEXT) | instid1(VALU_DEP_1)
	v_add_nc_u32_e32 v3, v3, v17
	v_mul_hi_u32 v3, v28, v3
	s_delay_alu instid0(VALU_DEP_1) | instskip(NEXT) | instid1(VALU_DEP_1)
	v_mul_lo_u32 v17, v3, s36
	v_sub_nc_u32_e32 v17, v28, v17
	s_delay_alu instid0(VALU_DEP_1) | instskip(SKIP_1) | instid1(VALU_DEP_2)
	v_subrev_nc_u32_e32 v21, s36, v17
	v_cmp_le_u32_e32 vcc_lo, s36, v17
	v_dual_add_nc_u32 v19, 1, v3 :: v_dual_cndmask_b32 v17, v17, v21, vcc_lo
	s_delay_alu instid0(VALU_DEP_1) | instskip(NEXT) | instid1(VALU_DEP_2)
	v_cndmask_b32_e32 v3, v3, v19, vcc_lo
	v_cmp_le_u32_e32 vcc_lo, s36, v17
	s_delay_alu instid0(VALU_DEP_2) | instskip(NEXT) | instid1(VALU_DEP_1)
	v_add_nc_u32_e32 v19, 1, v3
	v_cndmask_b32_e32 v22, v3, v19, vcc_lo
.LBB11_19:                              ;   in Loop: Header=BB11_3 Depth=1
	s_or_b32 exec_lo, exec_lo, s0
	s_delay_alu instid0(VALU_DEP_1) | instskip(SKIP_3) | instid1(VALU_DEP_1)
	v_mul_u64_e32 v[30:31], s[36:37], v[22:23]
	v_mul_u64_e32 v[22:23], s[8:9], v[22:23]
	v_add_nc_u64_e32 v[14:15], 3, v[14:15]
                                        ; implicit-def: $vgpr32_vgpr33
	s_mov_b32 s0, exec_lo
	v_mul_u64_e32 v[14:15], s[4:5], v[14:15]
	s_delay_alu instid0(VALU_DEP_4) | instskip(NEXT) | instid1(VALU_DEP_4)
	v_sub_nc_u64_e32 v[30:31], v[12:13], v[30:31]
	v_lshl_add_u64 v[22:23], v[22:23], 1, s[34:35]
	s_delay_alu instid0(VALU_DEP_2) | instskip(NEXT) | instid1(VALU_DEP_1)
	v_add_nc_u64_e32 v[30:31], v[0:1], v[30:31]
	v_mul_u64_e32 v[30:31], s[10:11], v[30:31]
	s_delay_alu instid0(VALU_DEP_1) | instskip(SKIP_4) | instid1(VALU_DEP_1)
	v_lshl_add_u64 v[22:23], v[30:31], 1, v[22:23]
	v_add_nc_u64_e32 v[30:31], v[0:1], v[14:15]
	global_load_u16 v37, v[22:23], off
	s_wait_xcnt 0x0
	v_dual_ashrrev_i32 v22, 31, v31 :: v_dual_bitop2_b32 v3, s37, v31 bitop3:0x54
	v_cmpx_ne_u64_e32 0, v[2:3]
	s_xor_b32 s85, exec_lo, s0
	s_cbranch_execz .LBB11_21
; %bb.20:                               ;   in Loop: Header=BB11_3 Depth=1
	s_ashr_i32 s80, s37, 31
	v_dual_mov_b32 v23, v22 :: v_dual_mov_b32 v39, v2
	s_mov_b32 s81, s80
	v_mov_b32_e32 v43, v2
	s_add_nc_u64 s[82:83], s[36:37], s[80:81]
	s_delay_alu instid0(VALU_DEP_2)
	v_add_nc_u64_e32 v[32:33], v[30:31], v[22:23]
	s_xor_b64 s[82:83], s[82:83], s[80:81]
	v_mov_b32_e32 v47, v2
	s_cvt_f32_u32 s0, s82
	s_cvt_f32_u32 s2, s83
	s_sub_nc_u64 s[88:89], 0, s[82:83]
	s_delay_alu instid0(VALU_DEP_2) | instskip(NEXT) | instid1(SALU_CYCLE_1)
	v_xor_b32_e32 v38, v32, v22
	s_fmamk_f32 s0, s2, 0x4f800000, s0
	v_xor_b32_e32 v42, v33, v22
	s_delay_alu instid0(SALU_CYCLE_2) | instskip(NEXT) | instid1(TRANS32_DEP_1)
	v_s_rcp_f32 s0, s0
	s_mul_f32 s0, s0, 0x5f7ffffc
	s_delay_alu instid0(SALU_CYCLE_3) | instskip(NEXT) | instid1(SALU_CYCLE_3)
	s_mul_f32 s2, s0, 0x2f800000
	s_trunc_f32 s2, s2
	s_delay_alu instid0(SALU_CYCLE_3) | instskip(SKIP_1) | instid1(SALU_CYCLE_2)
	s_fmamk_f32 s0, s2, 0xcf800000, s0
	s_cvt_u32_f32 s87, s2
	s_cvt_u32_f32 s86, s0
	s_delay_alu instid0(SALU_CYCLE_3) | instskip(NEXT) | instid1(SALU_CYCLE_1)
	s_mul_u64 s[90:91], s[88:89], s[86:87]
	s_mul_hi_u32 s93, s86, s91
	s_mul_i32 s92, s86, s91
	s_mul_hi_u32 s2, s86, s90
	s_mul_i32 s81, s87, s90
	s_add_nc_u64 s[92:93], s[2:3], s[92:93]
	s_mul_hi_u32 s0, s87, s90
	s_mul_hi_u32 s94, s87, s91
	s_add_co_u32 s2, s92, s81
	s_add_co_ci_u32 s2, s93, s0
	s_mul_i32 s90, s87, s91
	s_add_co_ci_u32 s91, s94, 0
	s_delay_alu instid0(SALU_CYCLE_1) | instskip(NEXT) | instid1(SALU_CYCLE_1)
	s_add_nc_u64 s[90:91], s[2:3], s[90:91]
	s_add_co_u32 s86, s86, s90
	s_cselect_b32 s0, -1, 0
	s_delay_alu instid0(SALU_CYCLE_1) | instskip(SKIP_1) | instid1(SALU_CYCLE_1)
	s_cmp_lg_u32 s0, 0
	s_add_co_ci_u32 s87, s87, s91
	s_mul_u64 s[88:89], s[88:89], s[86:87]
	s_delay_alu instid0(SALU_CYCLE_1)
	s_mul_hi_u32 s91, s86, s89
	s_mul_i32 s90, s86, s89
	s_mul_hi_u32 s2, s86, s88
	s_mul_i32 s81, s87, s88
	s_add_nc_u64 s[90:91], s[2:3], s[90:91]
	s_mul_hi_u32 s0, s87, s88
	s_mul_hi_u32 s92, s87, s89
	s_add_co_u32 s2, s90, s81
	s_add_co_ci_u32 s2, s91, s0
	s_mul_i32 s88, s87, s89
	s_add_co_ci_u32 s89, s92, 0
	s_delay_alu instid0(SALU_CYCLE_1) | instskip(NEXT) | instid1(SALU_CYCLE_1)
	s_add_nc_u64 s[88:89], s[2:3], s[88:89]
	s_add_co_u32 s0, s86, s88
	s_cselect_b32 s2, -1, 0
	v_nop
	v_mul_hi_u32 v46, v38, s0
	s_cmp_lg_u32 s2, 0
	s_add_co_ci_u32 s2, s87, s89
	s_and_b64 s[86:87], s[0:1], s[74:75]
	v_mul_u64_e32 v[40:41], s[2:3], v[38:39]
	v_mul_u64_e32 v[32:33], s[86:87], v[42:43]
	;; [unrolled: 1-line block ×3, first 2 shown]
	s_delay_alu instid0(VALU_DEP_3) | instskip(NEXT) | instid1(VALU_DEP_1)
	v_add_nc_u64_e32 v[40:41], v[46:47], v[40:41]
	v_add_co_u32 v3, vcc_lo, v40, v32
	s_delay_alu instid0(VALU_DEP_2) | instskip(NEXT) | instid1(VALU_DEP_4)
	v_add_co_ci_u32_e32 v46, vcc_lo, v41, v33, vcc_lo
	v_add_co_ci_u32_e32 v45, vcc_lo, 0, v45, vcc_lo
	s_delay_alu instid0(VALU_DEP_1) | instskip(NEXT) | instid1(VALU_DEP_1)
	v_add_nc_u64_e32 v[32:33], v[46:47], v[44:45]
	v_mul_u64_e32 v[40:41], s[82:83], v[32:33]
	s_delay_alu instid0(VALU_DEP_1) | instskip(NEXT) | instid1(VALU_DEP_2)
	v_sub_nc_u32_e32 v3, v42, v41
	v_sub_co_u32 v7, vcc_lo, v38, v40
	s_delay_alu instid0(VALU_DEP_1) | instskip(NEXT) | instid1(VALU_DEP_3)
	v_sub_co_ci_u32_e64 v19, null, v42, v41, vcc_lo
	v_subrev_co_ci_u32_e64 v3, null, s83, v3, vcc_lo
	s_delay_alu instid0(VALU_DEP_3) | instskip(SKIP_1) | instid1(VALU_DEP_3)
	v_sub_co_u32 v17, s0, v7, s82
	v_add_nc_u64_e32 v[38:39], 2, v[32:33]
	v_subrev_co_ci_u32_e64 v3, null, 0, v3, s0
	s_delay_alu instid0(VALU_DEP_3) | instskip(SKIP_2) | instid1(VALU_DEP_4)
	v_cmp_le_u32_e32 vcc_lo, s82, v17
	v_add_nc_u64_e32 v[40:41], 1, v[32:33]
	v_cndmask_b32_e64 v17, 0, -1, vcc_lo
	v_cmp_le_u32_e32 vcc_lo, s83, v3
	v_cndmask_b32_e64 v21, 0, -1, vcc_lo
	v_cmp_le_u32_e32 vcc_lo, s82, v7
	;; [unrolled: 2-line block ×3, first 2 shown]
	v_cndmask_b32_e64 v23, 0, -1, vcc_lo
	v_cmp_eq_u32_e32 vcc_lo, s83, v3
	v_cndmask_b32_e32 v3, v21, v17, vcc_lo
	v_cmp_eq_u32_e32 vcc_lo, s83, v19
	s_delay_alu instid0(VALU_DEP_4) | instskip(NEXT) | instid1(VALU_DEP_3)
	v_cndmask_b32_e32 v7, v23, v7, vcc_lo
	v_cmp_ne_u32_e32 vcc_lo, 0, v3
	s_delay_alu instid0(VALU_DEP_2) | instskip(SKIP_1) | instid1(VALU_DEP_1)
	v_cmp_ne_u32_e64 s0, 0, v7
	v_dual_cndmask_b32 v3, v41, v39, vcc_lo :: v_dual_cndmask_b32 v7, v40, v38, vcc_lo
	v_dual_cndmask_b32 v3, v33, v3, s0 :: v_dual_bitop2_b32 v38, s80, v22 bitop3:0x14
	s_delay_alu instid0(VALU_DEP_1) | instskip(NEXT) | instid1(VALU_DEP_2)
	v_dual_mov_b32 v39, v38 :: v_dual_cndmask_b32 v7, v32, v7, s0
	v_xor_b32_e32 v33, v3, v38
	s_delay_alu instid0(VALU_DEP_2) | instskip(NEXT) | instid1(VALU_DEP_1)
	v_xor_b32_e32 v32, v7, v38
                                        ; implicit-def: $vgpr7
	v_sub_nc_u64_e32 v[32:33], v[32:33], v[38:39]
.LBB11_21:                              ;   in Loop: Header=BB11_3 Depth=1
	s_and_not1_saveexec_b32 s0, s85
	s_cbranch_execz .LBB11_23
; %bb.22:                               ;   in Loop: Header=BB11_3 Depth=1
	v_rcp_iflag_f32_e32 v3, v7
	s_sub_co_i32 s2, 0, s36
	v_mov_b32_e32 v33, v2
	s_delay_alu instid0(TRANS32_DEP_1) | instskip(NEXT) | instid1(VALU_DEP_1)
	v_mul_f32_e32 v3, 0x4f7ffffe, v3
	v_cvt_u32_f32_e32 v3, v3
	s_delay_alu instid0(VALU_DEP_1) | instskip(NEXT) | instid1(VALU_DEP_1)
	v_mul_lo_u32 v7, s2, v3
	v_mul_hi_u32 v7, v3, v7
	s_delay_alu instid0(VALU_DEP_1) | instskip(NEXT) | instid1(VALU_DEP_1)
	v_add_nc_u32_e32 v3, v3, v7
	v_mul_hi_u32 v3, v30, v3
	s_delay_alu instid0(VALU_DEP_1) | instskip(SKIP_1) | instid1(VALU_DEP_2)
	v_mul_lo_u32 v7, v3, s36
	v_add_nc_u32_e32 v17, 1, v3
	v_sub_nc_u32_e32 v7, v30, v7
	s_delay_alu instid0(VALU_DEP_1) | instskip(SKIP_1) | instid1(VALU_DEP_2)
	v_subrev_nc_u32_e32 v19, s36, v7
	v_cmp_le_u32_e32 vcc_lo, s36, v7
	v_cndmask_b32_e32 v7, v7, v19, vcc_lo
	v_cndmask_b32_e32 v3, v3, v17, vcc_lo
	s_delay_alu instid0(VALU_DEP_2) | instskip(NEXT) | instid1(VALU_DEP_2)
	v_cmp_le_u32_e32 vcc_lo, s36, v7
	v_add_nc_u32_e32 v17, 1, v3
	s_delay_alu instid0(VALU_DEP_1)
	v_cndmask_b32_e32 v32, v3, v17, vcc_lo
.LBB11_23:                              ;   in Loop: Header=BB11_3 Depth=1
	s_or_b32 exec_lo, exec_lo, s0
	s_delay_alu instid0(VALU_DEP_1) | instskip(SKIP_3) | instid1(VALU_DEP_3)
	v_mul_u64_e32 v[38:39], s[36:37], v[32:33]
	v_mul_u64_e32 v[32:33], s[8:9], v[32:33]
	v_or_b32_e32 v3, s43, v25
	s_mov_b32 s0, exec_lo
	v_sub_nc_u64_e32 v[38:39], v[14:15], v[38:39]
	s_delay_alu instid0(VALU_DEP_3) | instskip(NEXT) | instid1(VALU_DEP_2)
	v_lshl_add_u64 v[32:33], v[32:33], 1, s[34:35]
	v_add_nc_u64_e32 v[38:39], v[0:1], v[38:39]
	s_delay_alu instid0(VALU_DEP_1) | instskip(NEXT) | instid1(VALU_DEP_1)
	v_mul_u64_e32 v[38:39], s[10:11], v[38:39]
	v_lshl_add_u64 v[32:33], v[38:39], 1, v[32:33]
	global_load_u16 v38, v[32:33], off
                                        ; implicit-def: $vgpr32_vgpr33
	s_wait_xcnt 0x0
	v_cmpx_ne_u64_e32 0, v[2:3]
	s_xor_b32 s85, exec_lo, s0
	s_cbranch_execz .LBB11_25
; %bb.24:                               ;   in Loop: Header=BB11_3 Depth=1
	s_ashr_i32 s80, s43, 31
	v_dual_mov_b32 v17, v16 :: v_dual_mov_b32 v41, v2
	s_mov_b32 s81, s80
	v_mov_b32_e32 v45, v2
	s_add_nc_u64 s[82:83], s[42:43], s[80:81]
	s_delay_alu instid0(VALU_DEP_2)
	v_add_nc_u64_e32 v[32:33], v[24:25], v[16:17]
	s_xor_b64 s[82:83], s[82:83], s[80:81]
	v_mov_b32_e32 v49, v2
	s_cvt_f32_u32 s0, s82
	s_cvt_f32_u32 s2, s83
	s_sub_nc_u64 s[88:89], 0, s[82:83]
	s_delay_alu instid0(VALU_DEP_2) | instskip(NEXT) | instid1(SALU_CYCLE_1)
	v_xor_b32_e32 v40, v32, v16
	s_fmamk_f32 s0, s2, 0x4f800000, s0
	v_xor_b32_e32 v44, v33, v16
	s_delay_alu instid0(SALU_CYCLE_2) | instskip(NEXT) | instid1(TRANS32_DEP_1)
	v_s_rcp_f32 s0, s0
	s_mul_f32 s0, s0, 0x5f7ffffc
	s_delay_alu instid0(SALU_CYCLE_3) | instskip(NEXT) | instid1(SALU_CYCLE_3)
	s_mul_f32 s2, s0, 0x2f800000
	s_trunc_f32 s2, s2
	s_delay_alu instid0(SALU_CYCLE_3) | instskip(SKIP_1) | instid1(SALU_CYCLE_2)
	s_fmamk_f32 s0, s2, 0xcf800000, s0
	s_cvt_u32_f32 s87, s2
	s_cvt_u32_f32 s86, s0
	s_delay_alu instid0(SALU_CYCLE_3) | instskip(NEXT) | instid1(SALU_CYCLE_1)
	s_mul_u64 s[90:91], s[88:89], s[86:87]
	s_mul_hi_u32 s93, s86, s91
	s_mul_i32 s92, s86, s91
	s_mul_hi_u32 s2, s86, s90
	s_mul_i32 s81, s87, s90
	s_add_nc_u64 s[92:93], s[2:3], s[92:93]
	s_mul_hi_u32 s0, s87, s90
	s_mul_hi_u32 s94, s87, s91
	s_add_co_u32 s2, s92, s81
	s_add_co_ci_u32 s2, s93, s0
	s_mul_i32 s90, s87, s91
	s_add_co_ci_u32 s91, s94, 0
	s_delay_alu instid0(SALU_CYCLE_1) | instskip(NEXT) | instid1(SALU_CYCLE_1)
	s_add_nc_u64 s[90:91], s[2:3], s[90:91]
	s_add_co_u32 s86, s86, s90
	s_cselect_b32 s0, -1, 0
	s_delay_alu instid0(SALU_CYCLE_1) | instskip(SKIP_1) | instid1(SALU_CYCLE_1)
	s_cmp_lg_u32 s0, 0
	s_add_co_ci_u32 s87, s87, s91
	s_mul_u64 s[88:89], s[88:89], s[86:87]
	s_delay_alu instid0(SALU_CYCLE_1)
	s_mul_hi_u32 s91, s86, s89
	s_mul_i32 s90, s86, s89
	s_mul_hi_u32 s2, s86, s88
	s_mul_i32 s81, s87, s88
	s_add_nc_u64 s[90:91], s[2:3], s[90:91]
	s_mul_hi_u32 s0, s87, s88
	s_mul_hi_u32 s92, s87, s89
	s_add_co_u32 s2, s90, s81
	s_add_co_ci_u32 s2, s91, s0
	s_mul_i32 s88, s87, s89
	s_add_co_ci_u32 s89, s92, 0
	s_delay_alu instid0(SALU_CYCLE_1) | instskip(NEXT) | instid1(SALU_CYCLE_1)
	s_add_nc_u64 s[88:89], s[2:3], s[88:89]
	s_add_co_u32 s0, s86, s88
	s_cselect_b32 s2, -1, 0
	v_nop
	v_mul_hi_u32 v48, v40, s0
	s_cmp_lg_u32 s2, 0
	s_add_co_ci_u32 s2, s87, s89
	s_and_b64 s[86:87], s[0:1], s[74:75]
	v_mul_u64_e32 v[42:43], s[2:3], v[40:41]
	v_mul_u64_e32 v[32:33], s[86:87], v[44:45]
	;; [unrolled: 1-line block ×3, first 2 shown]
	s_delay_alu instid0(VALU_DEP_3) | instskip(NEXT) | instid1(VALU_DEP_1)
	v_add_nc_u64_e32 v[42:43], v[48:49], v[42:43]
	v_add_co_u32 v3, vcc_lo, v42, v32
	s_delay_alu instid0(VALU_DEP_2) | instskip(NEXT) | instid1(VALU_DEP_4)
	v_add_co_ci_u32_e32 v48, vcc_lo, v43, v33, vcc_lo
	v_add_co_ci_u32_e32 v47, vcc_lo, 0, v47, vcc_lo
	s_delay_alu instid0(VALU_DEP_1) | instskip(NEXT) | instid1(VALU_DEP_1)
	v_add_nc_u64_e32 v[32:33], v[48:49], v[46:47]
	v_mul_u64_e32 v[42:43], s[82:83], v[32:33]
	s_delay_alu instid0(VALU_DEP_1) | instskip(SKIP_1) | instid1(VALU_DEP_3)
	v_sub_co_u32 v7, vcc_lo, v40, v42
	v_add_nc_u64_e32 v[40:41], 2, v[32:33]
	v_sub_nc_u32_e32 v3, v44, v43
	v_sub_co_ci_u32_e64 v19, null, v44, v43, vcc_lo
	s_delay_alu instid0(VALU_DEP_4) | instskip(NEXT) | instid1(VALU_DEP_3)
	v_sub_co_u32 v17, s0, v7, s82
	v_subrev_co_ci_u32_e64 v3, null, s83, v3, vcc_lo
	v_add_nc_u64_e32 v[42:43], 1, v[32:33]
	s_delay_alu instid0(VALU_DEP_3) | instskip(NEXT) | instid1(VALU_DEP_3)
	v_cmp_le_u32_e32 vcc_lo, s82, v17
	v_subrev_co_ci_u32_e64 v3, null, 0, v3, s0
	v_cndmask_b32_e64 v17, 0, -1, vcc_lo
	s_delay_alu instid0(VALU_DEP_2)
	v_cmp_le_u32_e32 vcc_lo, s83, v3
	v_cndmask_b32_e64 v21, 0, -1, vcc_lo
	v_cmp_le_u32_e32 vcc_lo, s82, v7
	v_cndmask_b32_e64 v7, 0, -1, vcc_lo
	;; [unrolled: 2-line block ×3, first 2 shown]
	v_cmp_eq_u32_e32 vcc_lo, s83, v3
	v_cndmask_b32_e32 v3, v21, v17, vcc_lo
	v_cmp_eq_u32_e32 vcc_lo, s83, v19
	s_delay_alu instid0(VALU_DEP_4) | instskip(NEXT) | instid1(VALU_DEP_3)
	v_cndmask_b32_e32 v7, v23, v7, vcc_lo
	v_cmp_ne_u32_e32 vcc_lo, 0, v3
	s_delay_alu instid0(VALU_DEP_2) | instskip(SKIP_1) | instid1(VALU_DEP_1)
	v_cmp_ne_u32_e64 s0, 0, v7
	v_dual_cndmask_b32 v3, v43, v41, vcc_lo :: v_dual_cndmask_b32 v7, v42, v40, vcc_lo
	v_dual_cndmask_b32 v3, v33, v3, s0 :: v_dual_bitop2_b32 v40, s80, v16 bitop3:0x14
	s_delay_alu instid0(VALU_DEP_1) | instskip(NEXT) | instid1(VALU_DEP_2)
	v_mov_b32_e32 v41, v40
	v_dual_cndmask_b32 v7, v32, v7, s0 :: v_dual_bitop2_b32 v33, v3, v40 bitop3:0x14
	s_delay_alu instid0(VALU_DEP_1) | instskip(NEXT) | instid1(VALU_DEP_1)
	v_xor_b32_e32 v32, v7, v40
	v_sub_nc_u64_e32 v[32:33], v[32:33], v[40:41]
.LBB11_25:                              ;   in Loop: Header=BB11_3 Depth=1
	s_or_saveexec_b32 s0, s85
	v_cvt_f32_u32_e32 v7, s42
	s_xor_b32 exec_lo, exec_lo, s0
	s_cbranch_execz .LBB11_27
; %bb.26:                               ;   in Loop: Header=BB11_3 Depth=1
	s_delay_alu instid0(VALU_DEP_1) | instskip(SKIP_2) | instid1(TRANS32_DEP_1)
	v_rcp_iflag_f32_e32 v3, v7
	s_sub_co_i32 s2, 0, s42
	v_mov_b32_e32 v33, v2
	v_mul_f32_e32 v3, 0x4f7ffffe, v3
	s_delay_alu instid0(VALU_DEP_1) | instskip(NEXT) | instid1(VALU_DEP_1)
	v_cvt_u32_f32_e32 v3, v3
	v_mul_lo_u32 v17, s2, v3
	s_delay_alu instid0(VALU_DEP_1) | instskip(NEXT) | instid1(VALU_DEP_1)
	v_mul_hi_u32 v17, v3, v17
	v_add_nc_u32_e32 v3, v3, v17
	s_delay_alu instid0(VALU_DEP_1) | instskip(NEXT) | instid1(VALU_DEP_1)
	v_mul_hi_u32 v3, v24, v3
	v_mul_lo_u32 v17, v3, s42
	s_delay_alu instid0(VALU_DEP_1) | instskip(NEXT) | instid1(VALU_DEP_1)
	v_sub_nc_u32_e32 v17, v24, v17
	v_subrev_nc_u32_e32 v21, s42, v17
	v_cmp_le_u32_e32 vcc_lo, s42, v17
	s_delay_alu instid0(VALU_DEP_2) | instskip(NEXT) | instid1(VALU_DEP_1)
	v_dual_add_nc_u32 v19, 1, v3 :: v_dual_cndmask_b32 v17, v17, v21, vcc_lo
	v_cndmask_b32_e32 v3, v3, v19, vcc_lo
	s_delay_alu instid0(VALU_DEP_2) | instskip(NEXT) | instid1(VALU_DEP_2)
	v_cmp_le_u32_e32 vcc_lo, s42, v17
	v_add_nc_u32_e32 v19, 1, v3
	s_delay_alu instid0(VALU_DEP_1)
	v_cndmask_b32_e32 v32, v3, v19, vcc_lo
.LBB11_27:                              ;   in Loop: Header=BB11_3 Depth=1
	s_or_b32 exec_lo, exec_lo, s0
	s_delay_alu instid0(VALU_DEP_1) | instskip(SKIP_3) | instid1(VALU_DEP_3)
	v_mul_u64_e32 v[40:41], s[42:43], v[32:33]
	v_mul_u64_e32 v[32:33], s[12:13], v[32:33]
	v_or_b32_e32 v3, s43, v27
	s_mov_b32 s0, exec_lo
	v_sub_nc_u64_e32 v[40:41], v[4:5], v[40:41]
	s_delay_alu instid0(VALU_DEP_3) | instskip(NEXT) | instid1(VALU_DEP_2)
	v_lshl_add_u64 v[32:33], v[32:33], 1, s[38:39]
	v_add_nc_u64_e32 v[40:41], v[0:1], v[40:41]
	s_delay_alu instid0(VALU_DEP_1) | instskip(NEXT) | instid1(VALU_DEP_1)
	v_mul_u64_e32 v[40:41], s[14:15], v[40:41]
	v_lshl_add_u64 v[32:33], v[40:41], 1, v[32:33]
	global_load_u16 v39, v[32:33], off
                                        ; implicit-def: $vgpr32_vgpr33
	s_wait_xcnt 0x0
	v_cmpx_ne_u64_e32 0, v[2:3]
	s_xor_b32 s85, exec_lo, s0
	s_cbranch_execz .LBB11_29
; %bb.28:                               ;   in Loop: Header=BB11_3 Depth=1
	s_ashr_i32 s80, s43, 31
	v_dual_mov_b32 v19, v18 :: v_dual_mov_b32 v41, v2
	s_mov_b32 s81, s80
	v_mov_b32_e32 v45, v2
	s_add_nc_u64 s[82:83], s[42:43], s[80:81]
	s_delay_alu instid0(VALU_DEP_2)
	v_add_nc_u64_e32 v[32:33], v[26:27], v[18:19]
	s_xor_b64 s[82:83], s[82:83], s[80:81]
	v_mov_b32_e32 v49, v2
	s_cvt_f32_u32 s0, s82
	s_cvt_f32_u32 s2, s83
	s_sub_nc_u64 s[88:89], 0, s[82:83]
	s_delay_alu instid0(VALU_DEP_2) | instskip(NEXT) | instid1(SALU_CYCLE_1)
	v_xor_b32_e32 v40, v32, v18
	s_fmamk_f32 s0, s2, 0x4f800000, s0
	v_xor_b32_e32 v44, v33, v18
	s_delay_alu instid0(SALU_CYCLE_2) | instskip(NEXT) | instid1(TRANS32_DEP_1)
	v_s_rcp_f32 s0, s0
	s_mul_f32 s0, s0, 0x5f7ffffc
	s_delay_alu instid0(SALU_CYCLE_3) | instskip(NEXT) | instid1(SALU_CYCLE_3)
	s_mul_f32 s2, s0, 0x2f800000
	s_trunc_f32 s2, s2
	s_delay_alu instid0(SALU_CYCLE_3) | instskip(SKIP_1) | instid1(SALU_CYCLE_2)
	s_fmamk_f32 s0, s2, 0xcf800000, s0
	s_cvt_u32_f32 s87, s2
	s_cvt_u32_f32 s86, s0
	s_delay_alu instid0(SALU_CYCLE_3) | instskip(NEXT) | instid1(SALU_CYCLE_1)
	s_mul_u64 s[90:91], s[88:89], s[86:87]
	s_mul_hi_u32 s93, s86, s91
	s_mul_i32 s92, s86, s91
	s_mul_hi_u32 s2, s86, s90
	s_mul_i32 s81, s87, s90
	s_add_nc_u64 s[92:93], s[2:3], s[92:93]
	s_mul_hi_u32 s0, s87, s90
	s_mul_hi_u32 s94, s87, s91
	s_add_co_u32 s2, s92, s81
	s_add_co_ci_u32 s2, s93, s0
	s_mul_i32 s90, s87, s91
	s_add_co_ci_u32 s91, s94, 0
	s_delay_alu instid0(SALU_CYCLE_1) | instskip(NEXT) | instid1(SALU_CYCLE_1)
	s_add_nc_u64 s[90:91], s[2:3], s[90:91]
	s_add_co_u32 s86, s86, s90
	s_cselect_b32 s0, -1, 0
	s_delay_alu instid0(SALU_CYCLE_1) | instskip(SKIP_1) | instid1(SALU_CYCLE_1)
	s_cmp_lg_u32 s0, 0
	s_add_co_ci_u32 s87, s87, s91
	s_mul_u64 s[88:89], s[88:89], s[86:87]
	s_delay_alu instid0(SALU_CYCLE_1)
	s_mul_hi_u32 s91, s86, s89
	s_mul_i32 s90, s86, s89
	s_mul_hi_u32 s2, s86, s88
	s_mul_i32 s81, s87, s88
	s_add_nc_u64 s[90:91], s[2:3], s[90:91]
	s_mul_hi_u32 s0, s87, s88
	s_mul_hi_u32 s92, s87, s89
	s_add_co_u32 s2, s90, s81
	s_add_co_ci_u32 s2, s91, s0
	s_mul_i32 s88, s87, s89
	s_add_co_ci_u32 s89, s92, 0
	s_delay_alu instid0(SALU_CYCLE_1) | instskip(NEXT) | instid1(SALU_CYCLE_1)
	s_add_nc_u64 s[88:89], s[2:3], s[88:89]
	s_add_co_u32 s0, s86, s88
	s_cselect_b32 s2, -1, 0
	v_nop
	v_mul_hi_u32 v48, v40, s0
	s_cmp_lg_u32 s2, 0
	s_add_co_ci_u32 s2, s87, s89
	s_and_b64 s[86:87], s[0:1], s[74:75]
	v_mul_u64_e32 v[42:43], s[2:3], v[40:41]
	v_mul_u64_e32 v[32:33], s[86:87], v[44:45]
	v_mul_u64_e32 v[46:47], s[2:3], v[44:45]
	s_delay_alu instid0(VALU_DEP_3) | instskip(NEXT) | instid1(VALU_DEP_1)
	v_add_nc_u64_e32 v[42:43], v[48:49], v[42:43]
	v_add_co_u32 v3, vcc_lo, v42, v32
	s_delay_alu instid0(VALU_DEP_2) | instskip(NEXT) | instid1(VALU_DEP_4)
	v_add_co_ci_u32_e32 v48, vcc_lo, v43, v33, vcc_lo
	v_add_co_ci_u32_e32 v47, vcc_lo, 0, v47, vcc_lo
	s_delay_alu instid0(VALU_DEP_1) | instskip(NEXT) | instid1(VALU_DEP_1)
	v_add_nc_u64_e32 v[32:33], v[48:49], v[46:47]
	v_mul_u64_e32 v[42:43], s[82:83], v[32:33]
	s_delay_alu instid0(VALU_DEP_1) | instskip(NEXT) | instid1(VALU_DEP_2)
	v_sub_nc_u32_e32 v3, v44, v43
	v_sub_co_u32 v17, vcc_lo, v40, v42
	s_delay_alu instid0(VALU_DEP_1) | instskip(NEXT) | instid1(VALU_DEP_3)
	v_sub_co_ci_u32_e64 v21, null, v44, v43, vcc_lo
	v_subrev_co_ci_u32_e64 v3, null, s83, v3, vcc_lo
	s_delay_alu instid0(VALU_DEP_3) | instskip(SKIP_1) | instid1(VALU_DEP_3)
	v_sub_co_u32 v19, s0, v17, s82
	v_add_nc_u64_e32 v[40:41], 2, v[32:33]
	v_subrev_co_ci_u32_e64 v3, null, 0, v3, s0
	s_delay_alu instid0(VALU_DEP_3) | instskip(SKIP_2) | instid1(VALU_DEP_4)
	v_cmp_le_u32_e32 vcc_lo, s82, v19
	v_add_nc_u64_e32 v[42:43], 1, v[32:33]
	v_cndmask_b32_e64 v19, 0, -1, vcc_lo
	v_cmp_le_u32_e32 vcc_lo, s83, v3
	v_cndmask_b32_e64 v23, 0, -1, vcc_lo
	v_cmp_le_u32_e32 vcc_lo, s82, v17
	;; [unrolled: 2-line block ×3, first 2 shown]
	v_cndmask_b32_e64 v44, 0, -1, vcc_lo
	v_cmp_eq_u32_e32 vcc_lo, s83, v3
	v_cndmask_b32_e32 v3, v23, v19, vcc_lo
	v_cmp_eq_u32_e32 vcc_lo, s83, v21
	s_delay_alu instid0(VALU_DEP_4) | instskip(NEXT) | instid1(VALU_DEP_3)
	v_cndmask_b32_e32 v17, v44, v17, vcc_lo
	v_cmp_ne_u32_e32 vcc_lo, 0, v3
	s_delay_alu instid0(VALU_DEP_2) | instskip(SKIP_1) | instid1(VALU_DEP_1)
	v_cmp_ne_u32_e64 s0, 0, v17
	v_dual_cndmask_b32 v3, v43, v41, vcc_lo :: v_dual_cndmask_b32 v17, v42, v40, vcc_lo
	v_dual_cndmask_b32 v3, v33, v3, s0 :: v_dual_bitop2_b32 v40, s80, v18 bitop3:0x14
	s_delay_alu instid0(VALU_DEP_2) | instskip(NEXT) | instid1(VALU_DEP_2)
	v_cndmask_b32_e64 v17, v32, v17, s0
	v_dual_mov_b32 v41, v40 :: v_dual_bitop2_b32 v33, v3, v40 bitop3:0x14
	s_delay_alu instid0(VALU_DEP_2) | instskip(NEXT) | instid1(VALU_DEP_1)
	v_xor_b32_e32 v32, v17, v40
	v_sub_nc_u64_e32 v[32:33], v[32:33], v[40:41]
.LBB11_29:                              ;   in Loop: Header=BB11_3 Depth=1
	s_and_not1_saveexec_b32 s0, s85
	s_cbranch_execz .LBB11_31
; %bb.30:                               ;   in Loop: Header=BB11_3 Depth=1
	v_rcp_iflag_f32_e32 v3, v7
	s_sub_co_i32 s2, 0, s42
	v_mov_b32_e32 v33, v2
	s_delay_alu instid0(TRANS32_DEP_1) | instskip(NEXT) | instid1(VALU_DEP_1)
	v_mul_f32_e32 v3, 0x4f7ffffe, v3
	v_cvt_u32_f32_e32 v3, v3
	s_delay_alu instid0(VALU_DEP_1) | instskip(NEXT) | instid1(VALU_DEP_1)
	v_mul_lo_u32 v17, s2, v3
	v_mul_hi_u32 v17, v3, v17
	s_delay_alu instid0(VALU_DEP_1) | instskip(NEXT) | instid1(VALU_DEP_1)
	v_add_nc_u32_e32 v3, v3, v17
	v_mul_hi_u32 v3, v26, v3
	s_delay_alu instid0(VALU_DEP_1) | instskip(NEXT) | instid1(VALU_DEP_1)
	v_mul_lo_u32 v17, v3, s42
	v_sub_nc_u32_e32 v17, v26, v17
	s_delay_alu instid0(VALU_DEP_1) | instskip(SKIP_1) | instid1(VALU_DEP_2)
	v_subrev_nc_u32_e32 v21, s42, v17
	v_cmp_le_u32_e32 vcc_lo, s42, v17
	v_dual_add_nc_u32 v19, 1, v3 :: v_dual_cndmask_b32 v17, v17, v21, vcc_lo
	s_delay_alu instid0(VALU_DEP_1) | instskip(NEXT) | instid1(VALU_DEP_2)
	v_cndmask_b32_e32 v3, v3, v19, vcc_lo
	v_cmp_le_u32_e32 vcc_lo, s42, v17
	s_delay_alu instid0(VALU_DEP_2) | instskip(NEXT) | instid1(VALU_DEP_1)
	v_add_nc_u32_e32 v19, 1, v3
	v_cndmask_b32_e32 v32, v3, v19, vcc_lo
.LBB11_31:                              ;   in Loop: Header=BB11_3 Depth=1
	s_or_b32 exec_lo, exec_lo, s0
	s_delay_alu instid0(VALU_DEP_1) | instskip(SKIP_3) | instid1(VALU_DEP_3)
	v_mul_u64_e32 v[40:41], s[42:43], v[32:33]
	v_mul_u64_e32 v[32:33], s[12:13], v[32:33]
	v_or_b32_e32 v3, s43, v29
	s_mov_b32 s0, exec_lo
	v_sub_nc_u64_e32 v[40:41], v[8:9], v[40:41]
	s_delay_alu instid0(VALU_DEP_3) | instskip(NEXT) | instid1(VALU_DEP_2)
	v_lshl_add_u64 v[32:33], v[32:33], 1, s[38:39]
	v_add_nc_u64_e32 v[40:41], v[0:1], v[40:41]
	s_delay_alu instid0(VALU_DEP_1) | instskip(NEXT) | instid1(VALU_DEP_1)
	v_mul_u64_e32 v[40:41], s[14:15], v[40:41]
	v_lshl_add_u64 v[32:33], v[40:41], 1, v[32:33]
	global_load_u16 v40, v[32:33], off
                                        ; implicit-def: $vgpr32_vgpr33
	s_wait_xcnt 0x0
	v_cmpx_ne_u64_e32 0, v[2:3]
	s_xor_b32 s85, exec_lo, s0
	s_cbranch_execz .LBB11_33
; %bb.32:                               ;   in Loop: Header=BB11_3 Depth=1
	s_ashr_i32 s80, s43, 31
	v_dual_mov_b32 v21, v20 :: v_dual_mov_b32 v43, v2
	s_mov_b32 s81, s80
	v_mov_b32_e32 v47, v2
	s_add_nc_u64 s[82:83], s[42:43], s[80:81]
	s_delay_alu instid0(VALU_DEP_2)
	v_add_nc_u64_e32 v[32:33], v[28:29], v[20:21]
	s_xor_b64 s[82:83], s[82:83], s[80:81]
	v_mov_b32_e32 v51, v2
	s_cvt_f32_u32 s0, s82
	s_cvt_f32_u32 s2, s83
	s_sub_nc_u64 s[88:89], 0, s[82:83]
	s_delay_alu instid0(VALU_DEP_2) | instskip(NEXT) | instid1(SALU_CYCLE_1)
	v_xor_b32_e32 v42, v32, v20
	s_fmamk_f32 s0, s2, 0x4f800000, s0
	v_xor_b32_e32 v46, v33, v20
	s_delay_alu instid0(SALU_CYCLE_2) | instskip(NEXT) | instid1(TRANS32_DEP_1)
	v_s_rcp_f32 s0, s0
	s_mul_f32 s0, s0, 0x5f7ffffc
	s_delay_alu instid0(SALU_CYCLE_3) | instskip(NEXT) | instid1(SALU_CYCLE_3)
	s_mul_f32 s2, s0, 0x2f800000
	s_trunc_f32 s2, s2
	s_delay_alu instid0(SALU_CYCLE_3) | instskip(SKIP_1) | instid1(SALU_CYCLE_2)
	s_fmamk_f32 s0, s2, 0xcf800000, s0
	s_cvt_u32_f32 s87, s2
	s_cvt_u32_f32 s86, s0
	s_delay_alu instid0(SALU_CYCLE_3) | instskip(NEXT) | instid1(SALU_CYCLE_1)
	s_mul_u64 s[90:91], s[88:89], s[86:87]
	s_mul_hi_u32 s93, s86, s91
	s_mul_i32 s92, s86, s91
	s_mul_hi_u32 s2, s86, s90
	s_mul_i32 s81, s87, s90
	s_add_nc_u64 s[92:93], s[2:3], s[92:93]
	s_mul_hi_u32 s0, s87, s90
	s_mul_hi_u32 s94, s87, s91
	s_add_co_u32 s2, s92, s81
	s_add_co_ci_u32 s2, s93, s0
	s_mul_i32 s90, s87, s91
	s_add_co_ci_u32 s91, s94, 0
	s_delay_alu instid0(SALU_CYCLE_1) | instskip(NEXT) | instid1(SALU_CYCLE_1)
	s_add_nc_u64 s[90:91], s[2:3], s[90:91]
	s_add_co_u32 s86, s86, s90
	s_cselect_b32 s0, -1, 0
	s_delay_alu instid0(SALU_CYCLE_1) | instskip(SKIP_1) | instid1(SALU_CYCLE_1)
	s_cmp_lg_u32 s0, 0
	s_add_co_ci_u32 s87, s87, s91
	s_mul_u64 s[88:89], s[88:89], s[86:87]
	s_delay_alu instid0(SALU_CYCLE_1)
	s_mul_hi_u32 s91, s86, s89
	s_mul_i32 s90, s86, s89
	s_mul_hi_u32 s2, s86, s88
	s_mul_i32 s81, s87, s88
	s_add_nc_u64 s[90:91], s[2:3], s[90:91]
	s_mul_hi_u32 s0, s87, s88
	s_mul_hi_u32 s92, s87, s89
	s_add_co_u32 s2, s90, s81
	s_add_co_ci_u32 s2, s91, s0
	s_mul_i32 s88, s87, s89
	s_add_co_ci_u32 s89, s92, 0
	s_delay_alu instid0(SALU_CYCLE_1) | instskip(NEXT) | instid1(SALU_CYCLE_1)
	s_add_nc_u64 s[88:89], s[2:3], s[88:89]
	s_add_co_u32 s0, s86, s88
	s_cselect_b32 s2, -1, 0
	v_nop
	v_mul_hi_u32 v50, v42, s0
	s_cmp_lg_u32 s2, 0
	s_add_co_ci_u32 s2, s87, s89
	s_and_b64 s[86:87], s[0:1], s[74:75]
	v_mul_u64_e32 v[44:45], s[2:3], v[42:43]
	v_mul_u64_e32 v[32:33], s[86:87], v[46:47]
	;; [unrolled: 1-line block ×3, first 2 shown]
	s_delay_alu instid0(VALU_DEP_3) | instskip(NEXT) | instid1(VALU_DEP_1)
	v_add_nc_u64_e32 v[44:45], v[50:51], v[44:45]
	v_add_co_u32 v3, vcc_lo, v44, v32
	s_delay_alu instid0(VALU_DEP_2) | instskip(NEXT) | instid1(VALU_DEP_4)
	v_add_co_ci_u32_e32 v50, vcc_lo, v45, v33, vcc_lo
	v_add_co_ci_u32_e32 v49, vcc_lo, 0, v49, vcc_lo
	s_delay_alu instid0(VALU_DEP_1) | instskip(NEXT) | instid1(VALU_DEP_1)
	v_add_nc_u64_e32 v[32:33], v[50:51], v[48:49]
	v_mul_u64_e32 v[44:45], s[82:83], v[32:33]
	s_delay_alu instid0(VALU_DEP_1) | instskip(SKIP_1) | instid1(VALU_DEP_3)
	v_sub_co_u32 v17, vcc_lo, v42, v44
	v_add_nc_u64_e32 v[42:43], 2, v[32:33]
	v_sub_nc_u32_e32 v3, v46, v45
	v_sub_co_ci_u32_e64 v21, null, v46, v45, vcc_lo
	s_delay_alu instid0(VALU_DEP_4) | instskip(NEXT) | instid1(VALU_DEP_3)
	v_sub_co_u32 v19, s0, v17, s82
	v_subrev_co_ci_u32_e64 v3, null, s83, v3, vcc_lo
	v_add_nc_u64_e32 v[44:45], 1, v[32:33]
	s_delay_alu instid0(VALU_DEP_3) | instskip(NEXT) | instid1(VALU_DEP_3)
	v_cmp_le_u32_e32 vcc_lo, s82, v19
	v_subrev_co_ci_u32_e64 v3, null, 0, v3, s0
	v_cndmask_b32_e64 v19, 0, -1, vcc_lo
	s_delay_alu instid0(VALU_DEP_2)
	v_cmp_le_u32_e32 vcc_lo, s83, v3
	v_cndmask_b32_e64 v23, 0, -1, vcc_lo
	v_cmp_le_u32_e32 vcc_lo, s82, v17
	v_cndmask_b32_e64 v17, 0, -1, vcc_lo
	;; [unrolled: 2-line block ×3, first 2 shown]
	v_cmp_eq_u32_e32 vcc_lo, s83, v3
	v_cndmask_b32_e32 v3, v23, v19, vcc_lo
	v_cmp_eq_u32_e32 vcc_lo, s83, v21
	s_delay_alu instid0(VALU_DEP_4) | instskip(NEXT) | instid1(VALU_DEP_3)
	v_cndmask_b32_e32 v17, v41, v17, vcc_lo
	v_cmp_ne_u32_e32 vcc_lo, 0, v3
	s_delay_alu instid0(VALU_DEP_2) | instskip(SKIP_1) | instid1(VALU_DEP_1)
	v_cmp_ne_u32_e64 s0, 0, v17
	v_dual_cndmask_b32 v3, v45, v43, vcc_lo :: v_dual_cndmask_b32 v17, v44, v42, vcc_lo
	v_dual_cndmask_b32 v3, v33, v3, s0 :: v_dual_bitop2_b32 v42, s80, v20 bitop3:0x14
	s_delay_alu instid0(VALU_DEP_1) | instskip(NEXT) | instid1(VALU_DEP_2)
	v_dual_cndmask_b32 v17, v32, v17, s0 :: v_dual_mov_b32 v43, v42
	v_xor_b32_e32 v33, v3, v42
	s_delay_alu instid0(VALU_DEP_2) | instskip(NEXT) | instid1(VALU_DEP_1)
	v_xor_b32_e32 v32, v17, v42
	v_sub_nc_u64_e32 v[32:33], v[32:33], v[42:43]
.LBB11_33:                              ;   in Loop: Header=BB11_3 Depth=1
	s_and_not1_saveexec_b32 s0, s85
	s_cbranch_execz .LBB11_35
; %bb.34:                               ;   in Loop: Header=BB11_3 Depth=1
	v_rcp_iflag_f32_e32 v3, v7
	s_sub_co_i32 s2, 0, s42
	v_mov_b32_e32 v33, v2
	s_delay_alu instid0(TRANS32_DEP_1) | instskip(NEXT) | instid1(VALU_DEP_1)
	v_mul_f32_e32 v3, 0x4f7ffffe, v3
	v_cvt_u32_f32_e32 v3, v3
	s_delay_alu instid0(VALU_DEP_1) | instskip(NEXT) | instid1(VALU_DEP_1)
	v_mul_lo_u32 v17, s2, v3
	v_mul_hi_u32 v17, v3, v17
	s_delay_alu instid0(VALU_DEP_1) | instskip(NEXT) | instid1(VALU_DEP_1)
	v_add_nc_u32_e32 v3, v3, v17
	v_mul_hi_u32 v3, v28, v3
	s_delay_alu instid0(VALU_DEP_1) | instskip(NEXT) | instid1(VALU_DEP_1)
	v_mul_lo_u32 v17, v3, s42
	v_sub_nc_u32_e32 v17, v28, v17
	s_delay_alu instid0(VALU_DEP_1) | instskip(SKIP_1) | instid1(VALU_DEP_2)
	v_subrev_nc_u32_e32 v21, s42, v17
	v_cmp_le_u32_e32 vcc_lo, s42, v17
	v_dual_add_nc_u32 v19, 1, v3 :: v_dual_cndmask_b32 v17, v17, v21, vcc_lo
	s_delay_alu instid0(VALU_DEP_1) | instskip(NEXT) | instid1(VALU_DEP_2)
	v_cndmask_b32_e32 v3, v3, v19, vcc_lo
	v_cmp_le_u32_e32 vcc_lo, s42, v17
	s_delay_alu instid0(VALU_DEP_2) | instskip(NEXT) | instid1(VALU_DEP_1)
	v_add_nc_u32_e32 v19, 1, v3
	v_cndmask_b32_e32 v32, v3, v19, vcc_lo
.LBB11_35:                              ;   in Loop: Header=BB11_3 Depth=1
	s_or_b32 exec_lo, exec_lo, s0
	s_delay_alu instid0(VALU_DEP_1) | instskip(SKIP_3) | instid1(VALU_DEP_3)
	v_mul_u64_e32 v[42:43], s[42:43], v[32:33]
	v_mul_u64_e32 v[32:33], s[12:13], v[32:33]
	v_or_b32_e32 v3, s43, v31
	s_mov_b32 s0, exec_lo
	v_sub_nc_u64_e32 v[42:43], v[12:13], v[42:43]
	s_delay_alu instid0(VALU_DEP_3) | instskip(NEXT) | instid1(VALU_DEP_2)
	v_lshl_add_u64 v[32:33], v[32:33], 1, s[38:39]
	v_add_nc_u64_e32 v[42:43], v[0:1], v[42:43]
	s_delay_alu instid0(VALU_DEP_1) | instskip(NEXT) | instid1(VALU_DEP_1)
	v_mul_u64_e32 v[42:43], s[14:15], v[42:43]
	v_lshl_add_u64 v[32:33], v[42:43], 1, v[32:33]
	global_load_u16 v41, v[32:33], off
                                        ; implicit-def: $vgpr32_vgpr33
	s_wait_xcnt 0x0
	v_cmpx_ne_u64_e32 0, v[2:3]
	s_xor_b32 s85, exec_lo, s0
	s_cbranch_execz .LBB11_37
; %bb.36:                               ;   in Loop: Header=BB11_3 Depth=1
	s_ashr_i32 s80, s43, 31
	v_dual_mov_b32 v23, v22 :: v_dual_mov_b32 v43, v2
	s_mov_b32 s81, s80
	v_mov_b32_e32 v47, v2
	s_add_nc_u64 s[82:83], s[42:43], s[80:81]
	s_delay_alu instid0(VALU_DEP_2)
	v_add_nc_u64_e32 v[32:33], v[30:31], v[22:23]
	s_xor_b64 s[82:83], s[82:83], s[80:81]
	v_mov_b32_e32 v51, v2
	s_cvt_f32_u32 s0, s82
	s_cvt_f32_u32 s2, s83
	s_sub_nc_u64 s[88:89], 0, s[82:83]
	s_delay_alu instid0(VALU_DEP_2) | instskip(NEXT) | instid1(SALU_CYCLE_1)
	v_xor_b32_e32 v42, v32, v22
	s_fmamk_f32 s0, s2, 0x4f800000, s0
	v_xor_b32_e32 v46, v33, v22
	s_delay_alu instid0(SALU_CYCLE_2) | instskip(NEXT) | instid1(TRANS32_DEP_1)
	v_s_rcp_f32 s0, s0
	s_mul_f32 s0, s0, 0x5f7ffffc
	s_delay_alu instid0(SALU_CYCLE_3) | instskip(NEXT) | instid1(SALU_CYCLE_3)
	s_mul_f32 s2, s0, 0x2f800000
	s_trunc_f32 s2, s2
	s_delay_alu instid0(SALU_CYCLE_3) | instskip(SKIP_1) | instid1(SALU_CYCLE_2)
	s_fmamk_f32 s0, s2, 0xcf800000, s0
	s_cvt_u32_f32 s87, s2
	s_cvt_u32_f32 s86, s0
	s_delay_alu instid0(SALU_CYCLE_3) | instskip(NEXT) | instid1(SALU_CYCLE_1)
	s_mul_u64 s[90:91], s[88:89], s[86:87]
	s_mul_hi_u32 s93, s86, s91
	s_mul_i32 s92, s86, s91
	s_mul_hi_u32 s2, s86, s90
	s_mul_i32 s81, s87, s90
	s_add_nc_u64 s[92:93], s[2:3], s[92:93]
	s_mul_hi_u32 s0, s87, s90
	s_mul_hi_u32 s94, s87, s91
	s_add_co_u32 s2, s92, s81
	s_add_co_ci_u32 s2, s93, s0
	s_mul_i32 s90, s87, s91
	s_add_co_ci_u32 s91, s94, 0
	s_delay_alu instid0(SALU_CYCLE_1) | instskip(NEXT) | instid1(SALU_CYCLE_1)
	s_add_nc_u64 s[90:91], s[2:3], s[90:91]
	s_add_co_u32 s86, s86, s90
	s_cselect_b32 s0, -1, 0
	s_delay_alu instid0(SALU_CYCLE_1) | instskip(SKIP_1) | instid1(SALU_CYCLE_1)
	s_cmp_lg_u32 s0, 0
	s_add_co_ci_u32 s87, s87, s91
	s_mul_u64 s[88:89], s[88:89], s[86:87]
	s_delay_alu instid0(SALU_CYCLE_1)
	s_mul_hi_u32 s91, s86, s89
	s_mul_i32 s90, s86, s89
	s_mul_hi_u32 s2, s86, s88
	s_mul_i32 s81, s87, s88
	s_add_nc_u64 s[90:91], s[2:3], s[90:91]
	s_mul_hi_u32 s0, s87, s88
	s_mul_hi_u32 s92, s87, s89
	s_add_co_u32 s2, s90, s81
	s_add_co_ci_u32 s2, s91, s0
	s_mul_i32 s88, s87, s89
	s_add_co_ci_u32 s89, s92, 0
	s_delay_alu instid0(SALU_CYCLE_1) | instskip(NEXT) | instid1(SALU_CYCLE_1)
	s_add_nc_u64 s[88:89], s[2:3], s[88:89]
	s_add_co_u32 s0, s86, s88
	s_cselect_b32 s2, -1, 0
	v_nop
	v_mul_hi_u32 v50, v42, s0
	s_cmp_lg_u32 s2, 0
	s_add_co_ci_u32 s2, s87, s89
	s_and_b64 s[86:87], s[0:1], s[74:75]
	v_mul_u64_e32 v[44:45], s[2:3], v[42:43]
	v_mul_u64_e32 v[32:33], s[86:87], v[46:47]
	;; [unrolled: 1-line block ×3, first 2 shown]
	s_delay_alu instid0(VALU_DEP_3) | instskip(NEXT) | instid1(VALU_DEP_1)
	v_add_nc_u64_e32 v[44:45], v[50:51], v[44:45]
	v_add_co_u32 v3, vcc_lo, v44, v32
	s_delay_alu instid0(VALU_DEP_2) | instskip(NEXT) | instid1(VALU_DEP_4)
	v_add_co_ci_u32_e32 v50, vcc_lo, v45, v33, vcc_lo
	v_add_co_ci_u32_e32 v49, vcc_lo, 0, v49, vcc_lo
	s_delay_alu instid0(VALU_DEP_1) | instskip(NEXT) | instid1(VALU_DEP_1)
	v_add_nc_u64_e32 v[32:33], v[50:51], v[48:49]
	v_mul_u64_e32 v[44:45], s[82:83], v[32:33]
	s_delay_alu instid0(VALU_DEP_1) | instskip(NEXT) | instid1(VALU_DEP_2)
	v_sub_nc_u32_e32 v3, v46, v45
	v_sub_co_u32 v7, vcc_lo, v42, v44
	s_delay_alu instid0(VALU_DEP_1) | instskip(NEXT) | instid1(VALU_DEP_3)
	v_sub_co_ci_u32_e64 v19, null, v46, v45, vcc_lo
	v_subrev_co_ci_u32_e64 v3, null, s83, v3, vcc_lo
	s_delay_alu instid0(VALU_DEP_3) | instskip(SKIP_1) | instid1(VALU_DEP_3)
	v_sub_co_u32 v17, s0, v7, s82
	v_add_nc_u64_e32 v[42:43], 2, v[32:33]
	v_subrev_co_ci_u32_e64 v3, null, 0, v3, s0
	s_delay_alu instid0(VALU_DEP_3) | instskip(SKIP_2) | instid1(VALU_DEP_4)
	v_cmp_le_u32_e32 vcc_lo, s82, v17
	v_add_nc_u64_e32 v[44:45], 1, v[32:33]
	v_cndmask_b32_e64 v17, 0, -1, vcc_lo
	v_cmp_le_u32_e32 vcc_lo, s83, v3
	v_cndmask_b32_e64 v21, 0, -1, vcc_lo
	v_cmp_le_u32_e32 vcc_lo, s82, v7
	;; [unrolled: 2-line block ×3, first 2 shown]
	v_cndmask_b32_e64 v23, 0, -1, vcc_lo
	v_cmp_eq_u32_e32 vcc_lo, s83, v3
	v_cndmask_b32_e32 v3, v21, v17, vcc_lo
	v_cmp_eq_u32_e32 vcc_lo, s83, v19
	s_delay_alu instid0(VALU_DEP_4) | instskip(NEXT) | instid1(VALU_DEP_3)
	v_cndmask_b32_e32 v7, v23, v7, vcc_lo
	v_cmp_ne_u32_e32 vcc_lo, 0, v3
	s_delay_alu instid0(VALU_DEP_2) | instskip(SKIP_1) | instid1(VALU_DEP_1)
	v_cmp_ne_u32_e64 s0, 0, v7
	v_dual_cndmask_b32 v3, v45, v43, vcc_lo :: v_dual_cndmask_b32 v7, v44, v42, vcc_lo
	v_dual_cndmask_b32 v3, v33, v3, s0 :: v_dual_bitop2_b32 v42, s80, v22 bitop3:0x14
	s_delay_alu instid0(VALU_DEP_1) | instskip(NEXT) | instid1(VALU_DEP_2)
	v_dual_mov_b32 v43, v42 :: v_dual_cndmask_b32 v7, v32, v7, s0
	v_xor_b32_e32 v33, v3, v42
	s_delay_alu instid0(VALU_DEP_2) | instskip(NEXT) | instid1(VALU_DEP_1)
	v_xor_b32_e32 v32, v7, v42
                                        ; implicit-def: $vgpr7
	v_sub_nc_u64_e32 v[32:33], v[32:33], v[42:43]
.LBB11_37:                              ;   in Loop: Header=BB11_3 Depth=1
	s_and_not1_saveexec_b32 s0, s85
	s_cbranch_execz .LBB11_39
; %bb.38:                               ;   in Loop: Header=BB11_3 Depth=1
	v_rcp_iflag_f32_e32 v3, v7
	s_sub_co_i32 s2, 0, s42
	v_mov_b32_e32 v33, v2
	s_delay_alu instid0(TRANS32_DEP_1) | instskip(NEXT) | instid1(VALU_DEP_1)
	v_mul_f32_e32 v3, 0x4f7ffffe, v3
	v_cvt_u32_f32_e32 v3, v3
	s_delay_alu instid0(VALU_DEP_1) | instskip(NEXT) | instid1(VALU_DEP_1)
	v_mul_lo_u32 v7, s2, v3
	v_mul_hi_u32 v7, v3, v7
	s_delay_alu instid0(VALU_DEP_1) | instskip(NEXT) | instid1(VALU_DEP_1)
	v_add_nc_u32_e32 v3, v3, v7
	v_mul_hi_u32 v3, v30, v3
	s_delay_alu instid0(VALU_DEP_1) | instskip(SKIP_1) | instid1(VALU_DEP_2)
	v_mul_lo_u32 v7, v3, s42
	v_add_nc_u32_e32 v17, 1, v3
	v_sub_nc_u32_e32 v7, v30, v7
	s_delay_alu instid0(VALU_DEP_1) | instskip(SKIP_1) | instid1(VALU_DEP_2)
	v_subrev_nc_u32_e32 v19, s42, v7
	v_cmp_le_u32_e32 vcc_lo, s42, v7
	v_cndmask_b32_e32 v7, v7, v19, vcc_lo
	v_cndmask_b32_e32 v3, v3, v17, vcc_lo
	s_delay_alu instid0(VALU_DEP_2) | instskip(NEXT) | instid1(VALU_DEP_2)
	v_cmp_le_u32_e32 vcc_lo, s42, v7
	v_add_nc_u32_e32 v17, 1, v3
	s_delay_alu instid0(VALU_DEP_1)
	v_cndmask_b32_e32 v32, v3, v17, vcc_lo
.LBB11_39:                              ;   in Loop: Header=BB11_3 Depth=1
	s_or_b32 exec_lo, exec_lo, s0
	s_delay_alu instid0(VALU_DEP_1) | instskip(SKIP_3) | instid1(VALU_DEP_3)
	v_mul_u64_e32 v[42:43], s[42:43], v[32:33]
	v_mul_u64_e32 v[32:33], s[12:13], v[32:33]
	v_or_b32_e32 v3, s65, v25
	s_mov_b32 s0, exec_lo
	v_sub_nc_u64_e32 v[42:43], v[14:15], v[42:43]
	s_delay_alu instid0(VALU_DEP_3) | instskip(NEXT) | instid1(VALU_DEP_2)
	v_lshl_add_u64 v[32:33], v[32:33], 1, s[38:39]
	v_add_nc_u64_e32 v[42:43], v[0:1], v[42:43]
	s_delay_alu instid0(VALU_DEP_1) | instskip(NEXT) | instid1(VALU_DEP_1)
	v_mul_u64_e32 v[42:43], s[14:15], v[42:43]
	v_lshl_add_u64 v[32:33], v[42:43], 1, v[32:33]
	global_load_u16 v42, v[32:33], off
                                        ; implicit-def: $vgpr32_vgpr33
	s_wait_xcnt 0x0
	v_cmpx_ne_u64_e32 0, v[2:3]
	s_xor_b32 s85, exec_lo, s0
	s_cbranch_execz .LBB11_41
; %bb.40:                               ;   in Loop: Header=BB11_3 Depth=1
	s_ashr_i32 s80, s65, 31
	v_dual_mov_b32 v17, v16 :: v_dual_mov_b32 v33, v2
	s_mov_b32 s81, s80
	v_mov_b32_e32 v47, v2
	s_add_nc_u64 s[82:83], s[64:65], s[80:81]
	s_delay_alu instid0(VALU_DEP_2)
	v_add_nc_u64_e32 v[24:25], v[24:25], v[16:17]
	s_xor_b64 s[82:83], s[82:83], s[80:81]
	v_mov_b32_e32 v51, v2
	s_cvt_f32_u32 s0, s82
	s_cvt_f32_u32 s2, s83
	s_sub_nc_u64 s[88:89], 0, s[82:83]
	s_delay_alu instid0(VALU_DEP_2) | instskip(NEXT) | instid1(SALU_CYCLE_1)
	v_xor_b32_e32 v32, v24, v16
	s_fmamk_f32 s0, s2, 0x4f800000, s0
	v_xor_b32_e32 v46, v25, v16
	v_xor_b32_e32 v16, s80, v16
	s_delay_alu instid0(SALU_CYCLE_1) | instskip(NEXT) | instid1(TRANS32_DEP_1)
	v_s_rcp_f32 s0, s0
	s_mul_f32 s0, s0, 0x5f7ffffc
	s_delay_alu instid0(SALU_CYCLE_3) | instskip(NEXT) | instid1(SALU_CYCLE_3)
	s_mul_f32 s2, s0, 0x2f800000
	s_trunc_f32 s2, s2
	s_delay_alu instid0(SALU_CYCLE_3) | instskip(SKIP_1) | instid1(SALU_CYCLE_2)
	s_fmamk_f32 s0, s2, 0xcf800000, s0
	s_cvt_u32_f32 s87, s2
	s_cvt_u32_f32 s86, s0
	s_delay_alu instid0(SALU_CYCLE_3) | instskip(NEXT) | instid1(SALU_CYCLE_1)
	s_mul_u64 s[90:91], s[88:89], s[86:87]
	s_mul_hi_u32 s93, s86, s91
	s_mul_i32 s92, s86, s91
	s_mul_hi_u32 s2, s86, s90
	s_mul_i32 s81, s87, s90
	s_add_nc_u64 s[92:93], s[2:3], s[92:93]
	s_mul_hi_u32 s0, s87, s90
	s_mul_hi_u32 s94, s87, s91
	s_add_co_u32 s2, s92, s81
	s_add_co_ci_u32 s2, s93, s0
	s_mul_i32 s90, s87, s91
	s_add_co_ci_u32 s91, s94, 0
	s_delay_alu instid0(SALU_CYCLE_1) | instskip(NEXT) | instid1(SALU_CYCLE_1)
	s_add_nc_u64 s[90:91], s[2:3], s[90:91]
	s_add_co_u32 s86, s86, s90
	s_cselect_b32 s0, -1, 0
	s_delay_alu instid0(SALU_CYCLE_1) | instskip(SKIP_1) | instid1(SALU_CYCLE_1)
	s_cmp_lg_u32 s0, 0
	s_add_co_ci_u32 s87, s87, s91
	s_mul_u64 s[88:89], s[88:89], s[86:87]
	s_delay_alu instid0(SALU_CYCLE_1)
	s_mul_hi_u32 s91, s86, s89
	s_mul_i32 s90, s86, s89
	s_mul_hi_u32 s2, s86, s88
	s_mul_i32 s81, s87, s88
	s_add_nc_u64 s[90:91], s[2:3], s[90:91]
	s_mul_hi_u32 s0, s87, s88
	s_mul_hi_u32 s92, s87, s89
	s_add_co_u32 s2, s90, s81
	s_add_co_ci_u32 s2, s91, s0
	s_mul_i32 s88, s87, s89
	s_add_co_ci_u32 s89, s92, 0
	s_delay_alu instid0(SALU_CYCLE_1) | instskip(NEXT) | instid1(SALU_CYCLE_1)
	s_add_nc_u64 s[88:89], s[2:3], s[88:89]
	s_add_co_u32 s0, s86, s88
	s_cselect_b32 s2, -1, 0
	v_nop
	v_mul_hi_u32 v50, v32, s0
	s_cmp_lg_u32 s2, 0
	s_add_co_ci_u32 s2, s87, s89
	s_and_b64 s[86:87], s[0:1], s[74:75]
	v_mul_u64_e32 v[44:45], s[2:3], v[32:33]
	v_mul_u64_e32 v[24:25], s[86:87], v[46:47]
	;; [unrolled: 1-line block ×3, first 2 shown]
	s_delay_alu instid0(VALU_DEP_3) | instskip(NEXT) | instid1(VALU_DEP_1)
	v_add_nc_u64_e32 v[44:45], v[50:51], v[44:45]
	v_add_co_u32 v3, vcc_lo, v44, v24
	s_delay_alu instid0(VALU_DEP_2) | instskip(NEXT) | instid1(VALU_DEP_4)
	v_add_co_ci_u32_e32 v50, vcc_lo, v45, v25, vcc_lo
	v_add_co_ci_u32_e32 v49, vcc_lo, 0, v49, vcc_lo
	s_delay_alu instid0(VALU_DEP_1) | instskip(NEXT) | instid1(VALU_DEP_1)
	v_add_nc_u64_e32 v[24:25], v[50:51], v[48:49]
	v_mul_u64_e32 v[44:45], s[82:83], v[24:25]
	s_delay_alu instid0(VALU_DEP_1) | instskip(NEXT) | instid1(VALU_DEP_2)
	v_sub_nc_u32_e32 v3, v46, v45
	v_sub_co_u32 v7, vcc_lo, v32, v44
	s_delay_alu instid0(VALU_DEP_1) | instskip(NEXT) | instid1(VALU_DEP_3)
	v_sub_co_ci_u32_e64 v19, null, v46, v45, vcc_lo
	v_subrev_co_ci_u32_e64 v3, null, s83, v3, vcc_lo
	s_delay_alu instid0(VALU_DEP_3) | instskip(SKIP_1) | instid1(VALU_DEP_3)
	v_sub_co_u32 v17, s0, v7, s82
	v_add_nc_u64_e32 v[32:33], 2, v[24:25]
	v_subrev_co_ci_u32_e64 v3, null, 0, v3, s0
	s_delay_alu instid0(VALU_DEP_3) | instskip(SKIP_2) | instid1(VALU_DEP_4)
	v_cmp_le_u32_e32 vcc_lo, s82, v17
	v_add_nc_u64_e32 v[44:45], 1, v[24:25]
	v_cndmask_b32_e64 v17, 0, -1, vcc_lo
	v_cmp_le_u32_e32 vcc_lo, s83, v3
	v_cndmask_b32_e64 v21, 0, -1, vcc_lo
	v_cmp_le_u32_e32 vcc_lo, s82, v7
	;; [unrolled: 2-line block ×3, first 2 shown]
	v_cndmask_b32_e64 v23, 0, -1, vcc_lo
	v_cmp_eq_u32_e32 vcc_lo, s83, v3
	v_cndmask_b32_e32 v3, v21, v17, vcc_lo
	v_cmp_eq_u32_e32 vcc_lo, s83, v19
	s_delay_alu instid0(VALU_DEP_4) | instskip(NEXT) | instid1(VALU_DEP_3)
	v_dual_mov_b32 v17, v16 :: v_dual_cndmask_b32 v7, v23, v7, vcc_lo
	v_cmp_ne_u32_e32 vcc_lo, 0, v3
	s_delay_alu instid0(VALU_DEP_2) | instskip(SKIP_1) | instid1(VALU_DEP_1)
	v_cmp_ne_u32_e64 s0, 0, v7
	v_dual_cndmask_b32 v3, v45, v33, vcc_lo :: v_dual_cndmask_b32 v7, v44, v32, vcc_lo
	v_cndmask_b32_e64 v3, v25, v3, s0
	s_delay_alu instid0(VALU_DEP_1) | instskip(NEXT) | instid1(VALU_DEP_1)
	v_dual_cndmask_b32 v7, v24, v7, s0 :: v_dual_bitop2_b32 v25, v3, v16 bitop3:0x14
	v_xor_b32_e32 v24, v7, v16
	s_delay_alu instid0(VALU_DEP_1)
	v_sub_nc_u64_e32 v[32:33], v[24:25], v[16:17]
                                        ; implicit-def: $vgpr24_vgpr25
.LBB11_41:                              ;   in Loop: Header=BB11_3 Depth=1
	s_or_saveexec_b32 s0, s85
	v_cvt_f32_u32_e32 v7, s64
	s_xor_b32 exec_lo, exec_lo, s0
	s_cbranch_execz .LBB11_43
; %bb.42:                               ;   in Loop: Header=BB11_3 Depth=1
	s_delay_alu instid0(VALU_DEP_1) | instskip(SKIP_2) | instid1(TRANS32_DEP_1)
	v_rcp_iflag_f32_e32 v3, v7
	s_sub_co_i32 s2, 0, s64
	v_mov_b32_e32 v33, v2
	v_mul_f32_e32 v3, 0x4f7ffffe, v3
	s_delay_alu instid0(VALU_DEP_1) | instskip(NEXT) | instid1(VALU_DEP_1)
	v_cvt_u32_f32_e32 v3, v3
	v_mul_lo_u32 v16, s2, v3
	s_delay_alu instid0(VALU_DEP_1) | instskip(NEXT) | instid1(VALU_DEP_1)
	v_mul_hi_u32 v16, v3, v16
	v_add_nc_u32_e32 v3, v3, v16
	s_delay_alu instid0(VALU_DEP_1) | instskip(NEXT) | instid1(VALU_DEP_1)
	v_mul_hi_u32 v3, v24, v3
	v_mul_lo_u32 v16, v3, s64
	s_delay_alu instid0(VALU_DEP_1) | instskip(NEXT) | instid1(VALU_DEP_1)
	v_dual_add_nc_u32 v17, 1, v3 :: v_dual_sub_nc_u32 v16, v24, v16
	v_subrev_nc_u32_e32 v19, s64, v16
	v_cmp_le_u32_e32 vcc_lo, s64, v16
	s_delay_alu instid0(VALU_DEP_2) | instskip(NEXT) | instid1(VALU_DEP_1)
	v_dual_cndmask_b32 v16, v16, v19 :: v_dual_cndmask_b32 v3, v3, v17
	v_cmp_le_u32_e32 vcc_lo, s64, v16
	s_delay_alu instid0(VALU_DEP_2) | instskip(NEXT) | instid1(VALU_DEP_1)
	v_add_nc_u32_e32 v17, 1, v3
	v_cndmask_b32_e32 v32, v3, v17, vcc_lo
.LBB11_43:                              ;   in Loop: Header=BB11_3 Depth=1
	s_or_b32 exec_lo, exec_lo, s0
	v_or_b32_e32 v3, s65, v27
                                        ; implicit-def: $vgpr16_vgpr17
	s_mov_b32 s0, exec_lo
	s_delay_alu instid0(VALU_DEP_1)
	v_cmpx_ne_u64_e32 0, v[2:3]
	s_xor_b32 s85, exec_lo, s0
	s_cbranch_execz .LBB11_45
; %bb.44:                               ;   in Loop: Header=BB11_3 Depth=1
	s_ashr_i32 s80, s65, 31
	v_dual_mov_b32 v19, v18 :: v_dual_mov_b32 v25, v2
	s_mov_b32 s81, s80
	v_mov_b32_e32 v45, v2
	s_add_nc_u64 s[82:83], s[64:65], s[80:81]
	s_delay_alu instid0(VALU_DEP_2)
	v_add_nc_u64_e32 v[16:17], v[26:27], v[18:19]
	s_xor_b64 s[82:83], s[82:83], s[80:81]
	v_mov_b32_e32 v49, v2
	s_cvt_f32_u32 s0, s82
	s_cvt_f32_u32 s2, s83
	s_sub_nc_u64 s[88:89], 0, s[82:83]
	s_delay_alu instid0(VALU_DEP_2) | instskip(NEXT) | instid1(SALU_CYCLE_1)
	v_xor_b32_e32 v24, v16, v18
	s_fmamk_f32 s0, s2, 0x4f800000, s0
	v_xor_b32_e32 v44, v17, v18
	v_xor_b32_e32 v18, s80, v18
	s_delay_alu instid0(SALU_CYCLE_1) | instskip(NEXT) | instid1(TRANS32_DEP_1)
	v_s_rcp_f32 s0, s0
	s_mul_f32 s0, s0, 0x5f7ffffc
	s_delay_alu instid0(SALU_CYCLE_3) | instskip(NEXT) | instid1(SALU_CYCLE_3)
	s_mul_f32 s2, s0, 0x2f800000
	s_trunc_f32 s2, s2
	s_delay_alu instid0(SALU_CYCLE_3) | instskip(SKIP_1) | instid1(SALU_CYCLE_2)
	s_fmamk_f32 s0, s2, 0xcf800000, s0
	s_cvt_u32_f32 s87, s2
	s_cvt_u32_f32 s86, s0
	s_delay_alu instid0(SALU_CYCLE_3) | instskip(NEXT) | instid1(SALU_CYCLE_1)
	s_mul_u64 s[90:91], s[88:89], s[86:87]
	s_mul_hi_u32 s93, s86, s91
	s_mul_i32 s92, s86, s91
	s_mul_hi_u32 s2, s86, s90
	s_mul_i32 s81, s87, s90
	s_add_nc_u64 s[92:93], s[2:3], s[92:93]
	s_mul_hi_u32 s0, s87, s90
	s_mul_hi_u32 s94, s87, s91
	s_add_co_u32 s2, s92, s81
	s_add_co_ci_u32 s2, s93, s0
	s_mul_i32 s90, s87, s91
	s_add_co_ci_u32 s91, s94, 0
	s_delay_alu instid0(SALU_CYCLE_1) | instskip(NEXT) | instid1(SALU_CYCLE_1)
	s_add_nc_u64 s[90:91], s[2:3], s[90:91]
	s_add_co_u32 s86, s86, s90
	s_cselect_b32 s0, -1, 0
	s_delay_alu instid0(SALU_CYCLE_1) | instskip(SKIP_1) | instid1(SALU_CYCLE_1)
	s_cmp_lg_u32 s0, 0
	s_add_co_ci_u32 s87, s87, s91
	s_mul_u64 s[88:89], s[88:89], s[86:87]
	s_delay_alu instid0(SALU_CYCLE_1)
	s_mul_hi_u32 s91, s86, s89
	s_mul_i32 s90, s86, s89
	s_mul_hi_u32 s2, s86, s88
	s_mul_i32 s81, s87, s88
	s_add_nc_u64 s[90:91], s[2:3], s[90:91]
	s_mul_hi_u32 s0, s87, s88
	s_mul_hi_u32 s92, s87, s89
	s_add_co_u32 s2, s90, s81
	s_add_co_ci_u32 s2, s91, s0
	s_mul_i32 s88, s87, s89
	s_add_co_ci_u32 s89, s92, 0
	s_delay_alu instid0(SALU_CYCLE_1) | instskip(NEXT) | instid1(SALU_CYCLE_1)
	s_add_nc_u64 s[88:89], s[2:3], s[88:89]
	s_add_co_u32 s0, s86, s88
	s_cselect_b32 s2, -1, 0
	v_nop
	v_mul_hi_u32 v48, v24, s0
	s_cmp_lg_u32 s2, 0
	s_add_co_ci_u32 s2, s87, s89
	s_and_b64 s[86:87], s[0:1], s[74:75]
	v_mul_u64_e32 v[26:27], s[2:3], v[24:25]
	v_mul_u64_e32 v[16:17], s[86:87], v[44:45]
	;; [unrolled: 1-line block ×3, first 2 shown]
	s_delay_alu instid0(VALU_DEP_3) | instskip(NEXT) | instid1(VALU_DEP_1)
	v_add_nc_u64_e32 v[26:27], v[48:49], v[26:27]
	v_add_co_u32 v3, vcc_lo, v26, v16
	s_delay_alu instid0(VALU_DEP_2) | instskip(NEXT) | instid1(VALU_DEP_4)
	v_add_co_ci_u32_e32 v48, vcc_lo, v27, v17, vcc_lo
	v_add_co_ci_u32_e32 v47, vcc_lo, 0, v47, vcc_lo
	s_delay_alu instid0(VALU_DEP_1) | instskip(NEXT) | instid1(VALU_DEP_1)
	v_add_nc_u64_e32 v[16:17], v[48:49], v[46:47]
	v_mul_u64_e32 v[26:27], s[82:83], v[16:17]
	s_delay_alu instid0(VALU_DEP_1) | instskip(NEXT) | instid1(VALU_DEP_2)
	v_sub_nc_u32_e32 v3, v44, v27
	v_sub_co_u32 v19, vcc_lo, v24, v26
	s_delay_alu instid0(VALU_DEP_1) | instskip(NEXT) | instid1(VALU_DEP_3)
	v_sub_co_ci_u32_e64 v23, null, v44, v27, vcc_lo
	v_subrev_co_ci_u32_e64 v3, null, s83, v3, vcc_lo
	s_delay_alu instid0(VALU_DEP_3) | instskip(SKIP_1) | instid1(VALU_DEP_3)
	v_sub_co_u32 v21, s0, v19, s82
	v_add_nc_u64_e32 v[26:27], 1, v[16:17]
	v_subrev_co_ci_u32_e64 v3, null, 0, v3, s0
	s_delay_alu instid0(VALU_DEP_3) | instskip(SKIP_1) | instid1(VALU_DEP_3)
	v_cmp_le_u32_e32 vcc_lo, s82, v21
	v_cndmask_b32_e64 v21, 0, -1, vcc_lo
	v_cmp_le_u32_e32 vcc_lo, s83, v3
	v_cndmask_b32_e64 v24, 0, -1, vcc_lo
	;; [unrolled: 2-line block ×4, first 2 shown]
	v_cmp_eq_u32_e32 vcc_lo, s83, v3
	v_cndmask_b32_e32 v3, v24, v21, vcc_lo
	v_cmp_eq_u32_e32 vcc_lo, s83, v23
	v_add_nc_u64_e32 v[24:25], 2, v[16:17]
	v_cndmask_b32_e32 v19, v43, v19, vcc_lo
	s_delay_alu instid0(VALU_DEP_4) | instskip(NEXT) | instid1(VALU_DEP_2)
	v_cmp_ne_u32_e32 vcc_lo, 0, v3
	v_cmp_ne_u32_e64 s0, 0, v19
	s_delay_alu instid0(VALU_DEP_4) | instskip(NEXT) | instid1(VALU_DEP_1)
	v_dual_cndmask_b32 v3, v27, v25, vcc_lo :: v_dual_cndmask_b32 v19, v26, v24, vcc_lo
                                        ; implicit-def: $vgpr26_vgpr27
	v_cndmask_b32_e64 v3, v17, v3, s0
	s_delay_alu instid0(VALU_DEP_2) | instskip(NEXT) | instid1(VALU_DEP_2)
	v_dual_cndmask_b32 v16, v16, v19, s0 :: v_dual_mov_b32 v19, v18
	v_xor_b32_e32 v17, v3, v18
	s_delay_alu instid0(VALU_DEP_2) | instskip(NEXT) | instid1(VALU_DEP_1)
	v_xor_b32_e32 v16, v16, v18
	v_sub_nc_u64_e32 v[16:17], v[16:17], v[18:19]
.LBB11_45:                              ;   in Loop: Header=BB11_3 Depth=1
	s_and_not1_saveexec_b32 s0, s85
	s_cbranch_execz .LBB11_47
; %bb.46:                               ;   in Loop: Header=BB11_3 Depth=1
	v_rcp_iflag_f32_e32 v3, v7
	s_sub_co_i32 s2, 0, s64
	v_nop
	s_delay_alu instid0(TRANS32_DEP_1) | instskip(NEXT) | instid1(VALU_DEP_1)
	v_mul_f32_e32 v3, 0x4f7ffffe, v3
	v_cvt_u32_f32_e32 v3, v3
	s_delay_alu instid0(VALU_DEP_1) | instskip(NEXT) | instid1(VALU_DEP_1)
	v_mul_lo_u32 v16, s2, v3
	v_mul_hi_u32 v16, v3, v16
	s_delay_alu instid0(VALU_DEP_1) | instskip(NEXT) | instid1(VALU_DEP_1)
	v_add_nc_u32_e32 v3, v3, v16
	v_mul_hi_u32 v3, v26, v3
	s_delay_alu instid0(VALU_DEP_1) | instskip(NEXT) | instid1(VALU_DEP_1)
	v_mul_lo_u32 v16, v3, s64
	v_dual_add_nc_u32 v17, 1, v3 :: v_dual_sub_nc_u32 v16, v26, v16
	s_delay_alu instid0(VALU_DEP_1) | instskip(SKIP_1) | instid1(VALU_DEP_2)
	v_subrev_nc_u32_e32 v18, s64, v16
	v_cmp_le_u32_e32 vcc_lo, s64, v16
	v_dual_cndmask_b32 v16, v16, v18 :: v_dual_cndmask_b32 v3, v3, v17
	s_delay_alu instid0(VALU_DEP_1) | instskip(NEXT) | instid1(VALU_DEP_2)
	v_cmp_le_u32_e32 vcc_lo, s64, v16
	v_add_nc_u32_e32 v17, 1, v3
	s_delay_alu instid0(VALU_DEP_1)
	v_dual_cndmask_b32 v16, v3, v17 :: v_dual_mov_b32 v17, v2
.LBB11_47:                              ;   in Loop: Header=BB11_3 Depth=1
	s_or_b32 exec_lo, exec_lo, s0
	v_or_b32_e32 v3, s65, v29
                                        ; implicit-def: $vgpr18_vgpr19
	s_mov_b32 s0, exec_lo
	s_delay_alu instid0(VALU_DEP_1)
	v_cmpx_ne_u64_e32 0, v[2:3]
	s_xor_b32 s85, exec_lo, s0
	s_cbranch_execz .LBB11_49
; %bb.48:                               ;   in Loop: Header=BB11_3 Depth=1
	s_ashr_i32 s80, s65, 31
	v_dual_mov_b32 v21, v20 :: v_dual_mov_b32 v25, v2
	s_mov_b32 s81, s80
	v_mov_b32_e32 v47, v2
	s_add_nc_u64 s[82:83], s[64:65], s[80:81]
	s_delay_alu instid0(VALU_DEP_2)
	v_add_nc_u64_e32 v[18:19], v[28:29], v[20:21]
	s_xor_b64 s[82:83], s[82:83], s[80:81]
	v_mov_b32_e32 v29, v2
	s_cvt_f32_u32 s0, s82
	s_cvt_f32_u32 s2, s83
	s_sub_nc_u64 s[88:89], 0, s[82:83]
	s_delay_alu instid0(VALU_DEP_2) | instskip(NEXT) | instid1(SALU_CYCLE_1)
	v_xor_b32_e32 v28, v19, v20
	s_fmamk_f32 s0, s2, 0x4f800000, s0
	v_xor_b32_e32 v24, v18, v20
	v_xor_b32_e32 v20, s80, v20
	s_delay_alu instid0(SALU_CYCLE_1) | instskip(NEXT) | instid1(TRANS32_DEP_1)
	v_s_rcp_f32 s0, s0
	s_mul_f32 s0, s0, 0x5f7ffffc
	s_delay_alu instid0(SALU_CYCLE_3) | instskip(NEXT) | instid1(SALU_CYCLE_3)
	s_mul_f32 s2, s0, 0x2f800000
	s_trunc_f32 s2, s2
	s_delay_alu instid0(SALU_CYCLE_3) | instskip(SKIP_1) | instid1(SALU_CYCLE_2)
	s_fmamk_f32 s0, s2, 0xcf800000, s0
	s_cvt_u32_f32 s87, s2
	s_cvt_u32_f32 s86, s0
	s_delay_alu instid0(SALU_CYCLE_3) | instskip(NEXT) | instid1(SALU_CYCLE_1)
	s_mul_u64 s[90:91], s[88:89], s[86:87]
	s_mul_hi_u32 s93, s86, s91
	s_mul_i32 s92, s86, s91
	s_mul_hi_u32 s2, s86, s90
	s_mul_i32 s81, s87, s90
	s_add_nc_u64 s[92:93], s[2:3], s[92:93]
	s_mul_hi_u32 s0, s87, s90
	s_mul_hi_u32 s94, s87, s91
	s_add_co_u32 s2, s92, s81
	s_add_co_ci_u32 s2, s93, s0
	s_mul_i32 s90, s87, s91
	s_add_co_ci_u32 s91, s94, 0
	s_delay_alu instid0(SALU_CYCLE_1) | instskip(NEXT) | instid1(SALU_CYCLE_1)
	s_add_nc_u64 s[90:91], s[2:3], s[90:91]
	s_add_co_u32 s86, s86, s90
	s_cselect_b32 s0, -1, 0
	s_delay_alu instid0(SALU_CYCLE_1) | instskip(SKIP_1) | instid1(SALU_CYCLE_1)
	s_cmp_lg_u32 s0, 0
	s_add_co_ci_u32 s87, s87, s91
	s_mul_u64 s[88:89], s[88:89], s[86:87]
	s_delay_alu instid0(SALU_CYCLE_1)
	s_mul_hi_u32 s91, s86, s89
	s_mul_i32 s90, s86, s89
	s_mul_hi_u32 s2, s86, s88
	s_mul_i32 s81, s87, s88
	s_add_nc_u64 s[90:91], s[2:3], s[90:91]
	s_mul_hi_u32 s0, s87, s88
	s_mul_hi_u32 s92, s87, s89
	s_add_co_u32 s2, s90, s81
	s_add_co_ci_u32 s2, s91, s0
	s_mul_i32 s88, s87, s89
	s_add_co_ci_u32 s89, s92, 0
	s_delay_alu instid0(SALU_CYCLE_1) | instskip(NEXT) | instid1(SALU_CYCLE_1)
	s_add_nc_u64 s[88:89], s[2:3], s[88:89]
	s_add_co_u32 s0, s86, s88
	s_cselect_b32 s2, -1, 0
	v_nop
	v_mul_hi_u32 v46, v24, s0
	s_cmp_lg_u32 s2, 0
	s_add_co_ci_u32 s2, s87, s89
	s_and_b64 s[86:87], s[0:1], s[74:75]
	v_mul_u64_e32 v[26:27], s[2:3], v[24:25]
	v_mul_u64_e32 v[18:19], s[86:87], v[28:29]
	;; [unrolled: 1-line block ×3, first 2 shown]
	s_delay_alu instid0(VALU_DEP_3) | instskip(NEXT) | instid1(VALU_DEP_1)
	v_add_nc_u64_e32 v[26:27], v[46:47], v[26:27]
	v_add_co_u32 v3, vcc_lo, v26, v18
	s_delay_alu instid0(VALU_DEP_2) | instskip(NEXT) | instid1(VALU_DEP_4)
	v_add_co_ci_u32_e32 v46, vcc_lo, v27, v19, vcc_lo
	v_add_co_ci_u32_e32 v45, vcc_lo, 0, v45, vcc_lo
	s_delay_alu instid0(VALU_DEP_1) | instskip(NEXT) | instid1(VALU_DEP_1)
	v_add_nc_u64_e32 v[18:19], v[46:47], v[44:45]
	v_mul_u64_e32 v[26:27], s[82:83], v[18:19]
	s_delay_alu instid0(VALU_DEP_1) | instskip(NEXT) | instid1(VALU_DEP_2)
	v_sub_nc_u32_e32 v3, v28, v27
	v_sub_co_u32 v21, vcc_lo, v24, v26
	s_delay_alu instid0(VALU_DEP_1) | instskip(NEXT) | instid1(VALU_DEP_3)
	v_sub_co_ci_u32_e64 v28, null, v28, v27, vcc_lo
	v_subrev_co_ci_u32_e64 v3, null, s83, v3, vcc_lo
	s_delay_alu instid0(VALU_DEP_3) | instskip(SKIP_1) | instid1(VALU_DEP_3)
	v_sub_co_u32 v23, s0, v21, s82
	v_add_nc_u64_e32 v[26:27], 1, v[18:19]
	v_subrev_co_ci_u32_e64 v3, null, 0, v3, s0
	s_delay_alu instid0(VALU_DEP_3) | instskip(SKIP_1) | instid1(VALU_DEP_3)
	v_cmp_le_u32_e32 vcc_lo, s82, v23
	v_cndmask_b32_e64 v23, 0, -1, vcc_lo
	v_cmp_le_u32_e32 vcc_lo, s83, v3
	v_cndmask_b32_e64 v24, 0, -1, vcc_lo
	;; [unrolled: 2-line block ×4, first 2 shown]
	v_cmp_eq_u32_e32 vcc_lo, s83, v3
	v_cndmask_b32_e32 v3, v24, v23, vcc_lo
	v_cmp_eq_u32_e32 vcc_lo, s83, v28
	v_add_nc_u64_e32 v[24:25], 2, v[18:19]
	v_cndmask_b32_e32 v21, v29, v21, vcc_lo
	s_delay_alu instid0(VALU_DEP_4) | instskip(NEXT) | instid1(VALU_DEP_2)
	v_cmp_ne_u32_e32 vcc_lo, 0, v3
                                        ; implicit-def: $vgpr28_vgpr29
	v_cmp_ne_u32_e64 s0, 0, v21
	s_delay_alu instid0(VALU_DEP_4) | instskip(NEXT) | instid1(VALU_DEP_1)
	v_dual_cndmask_b32 v3, v27, v25, vcc_lo :: v_dual_cndmask_b32 v21, v26, v24, vcc_lo
	v_dual_cndmask_b32 v3, v19, v3, s0 :: v_dual_cndmask_b32 v18, v18, v21, s0
	s_delay_alu instid0(VALU_DEP_1) | instskip(NEXT) | instid1(VALU_DEP_2)
	v_dual_mov_b32 v21, v20 :: v_dual_bitop2_b32 v19, v3, v20 bitop3:0x14
	v_xor_b32_e32 v18, v18, v20
	s_delay_alu instid0(VALU_DEP_1)
	v_sub_nc_u64_e32 v[18:19], v[18:19], v[20:21]
.LBB11_49:                              ;   in Loop: Header=BB11_3 Depth=1
	s_and_not1_saveexec_b32 s0, s85
	s_cbranch_execz .LBB11_51
; %bb.50:                               ;   in Loop: Header=BB11_3 Depth=1
	v_rcp_iflag_f32_e32 v3, v7
	s_sub_co_i32 s2, 0, s64
	v_nop
	s_delay_alu instid0(TRANS32_DEP_1) | instskip(NEXT) | instid1(VALU_DEP_1)
	v_mul_f32_e32 v3, 0x4f7ffffe, v3
	v_cvt_u32_f32_e32 v3, v3
	s_delay_alu instid0(VALU_DEP_1) | instskip(NEXT) | instid1(VALU_DEP_1)
	v_mul_lo_u32 v18, s2, v3
	v_mul_hi_u32 v18, v3, v18
	s_delay_alu instid0(VALU_DEP_1) | instskip(NEXT) | instid1(VALU_DEP_1)
	v_add_nc_u32_e32 v3, v3, v18
	v_mul_hi_u32 v3, v28, v3
	s_delay_alu instid0(VALU_DEP_1) | instskip(NEXT) | instid1(VALU_DEP_1)
	v_mul_lo_u32 v18, v3, s64
	v_dual_add_nc_u32 v19, 1, v3 :: v_dual_sub_nc_u32 v18, v28, v18
	s_delay_alu instid0(VALU_DEP_1) | instskip(SKIP_1) | instid1(VALU_DEP_2)
	v_subrev_nc_u32_e32 v20, s64, v18
	v_cmp_le_u32_e32 vcc_lo, s64, v18
	v_dual_cndmask_b32 v18, v18, v20 :: v_dual_cndmask_b32 v3, v3, v19
	s_delay_alu instid0(VALU_DEP_1) | instskip(NEXT) | instid1(VALU_DEP_2)
	v_cmp_le_u32_e32 vcc_lo, s64, v18
	v_add_nc_u32_e32 v19, 1, v3
	s_delay_alu instid0(VALU_DEP_1)
	v_dual_cndmask_b32 v18, v3, v19 :: v_dual_mov_b32 v19, v2
.LBB11_51:                              ;   in Loop: Header=BB11_3 Depth=1
	s_or_b32 exec_lo, exec_lo, s0
	v_or_b32_e32 v3, s65, v31
                                        ; implicit-def: $vgpr20_vgpr21
	s_mov_b32 s0, exec_lo
	s_delay_alu instid0(VALU_DEP_1)
	v_cmpx_ne_u64_e32 0, v[2:3]
	s_xor_b32 s85, exec_lo, s0
	s_cbranch_execz .LBB11_53
; %bb.52:                               ;   in Loop: Header=BB11_3 Depth=1
	s_ashr_i32 s80, s65, 31
	v_dual_mov_b32 v23, v22 :: v_dual_mov_b32 v25, v2
	s_mov_b32 s81, s80
	v_mov_b32_e32 v29, v2
	s_add_nc_u64 s[82:83], s[64:65], s[80:81]
	s_delay_alu instid0(VALU_DEP_2)
	v_add_nc_u64_e32 v[20:21], v[30:31], v[22:23]
	s_xor_b64 s[82:83], s[82:83], s[80:81]
	v_mov_b32_e32 v45, v2
	s_cvt_f32_u32 s0, s82
	s_cvt_f32_u32 s2, s83
	s_sub_nc_u64 s[88:89], 0, s[82:83]
	s_delay_alu instid0(VALU_DEP_2) | instskip(NEXT) | instid1(SALU_CYCLE_1)
	v_xor_b32_e32 v24, v20, v22
	s_fmamk_f32 s0, s2, 0x4f800000, s0
	v_xor_b32_e32 v28, v21, v22
	v_xor_b32_e32 v22, s80, v22
	s_delay_alu instid0(SALU_CYCLE_1) | instskip(NEXT) | instid1(TRANS32_DEP_1)
	v_s_rcp_f32 s0, s0
	s_mul_f32 s0, s0, 0x5f7ffffc
	s_delay_alu instid0(SALU_CYCLE_3) | instskip(NEXT) | instid1(SALU_CYCLE_3)
	s_mul_f32 s2, s0, 0x2f800000
	s_trunc_f32 s2, s2
	s_delay_alu instid0(SALU_CYCLE_3) | instskip(SKIP_1) | instid1(SALU_CYCLE_2)
	s_fmamk_f32 s0, s2, 0xcf800000, s0
	s_cvt_u32_f32 s87, s2
	s_cvt_u32_f32 s86, s0
	s_delay_alu instid0(SALU_CYCLE_3) | instskip(NEXT) | instid1(SALU_CYCLE_1)
	s_mul_u64 s[90:91], s[88:89], s[86:87]
	s_mul_hi_u32 s93, s86, s91
	s_mul_i32 s92, s86, s91
	s_mul_hi_u32 s2, s86, s90
	s_mul_i32 s81, s87, s90
	s_add_nc_u64 s[92:93], s[2:3], s[92:93]
	s_mul_hi_u32 s0, s87, s90
	s_mul_hi_u32 s94, s87, s91
	s_add_co_u32 s2, s92, s81
	s_add_co_ci_u32 s2, s93, s0
	s_mul_i32 s90, s87, s91
	s_add_co_ci_u32 s91, s94, 0
	s_delay_alu instid0(SALU_CYCLE_1) | instskip(NEXT) | instid1(SALU_CYCLE_1)
	s_add_nc_u64 s[90:91], s[2:3], s[90:91]
	s_add_co_u32 s86, s86, s90
	s_cselect_b32 s0, -1, 0
	s_delay_alu instid0(SALU_CYCLE_1) | instskip(SKIP_1) | instid1(SALU_CYCLE_1)
	s_cmp_lg_u32 s0, 0
	s_add_co_ci_u32 s87, s87, s91
	s_mul_u64 s[88:89], s[88:89], s[86:87]
	s_delay_alu instid0(SALU_CYCLE_1)
	s_mul_hi_u32 s91, s86, s89
	s_mul_i32 s90, s86, s89
	s_mul_hi_u32 s2, s86, s88
	s_mul_i32 s81, s87, s88
	s_add_nc_u64 s[90:91], s[2:3], s[90:91]
	s_mul_hi_u32 s0, s87, s88
	s_mul_hi_u32 s92, s87, s89
	s_add_co_u32 s2, s90, s81
	s_add_co_ci_u32 s2, s91, s0
	s_mul_i32 s88, s87, s89
	s_add_co_ci_u32 s89, s92, 0
	s_delay_alu instid0(SALU_CYCLE_1) | instskip(NEXT) | instid1(SALU_CYCLE_1)
	s_add_nc_u64 s[88:89], s[2:3], s[88:89]
	s_add_co_u32 s0, s86, s88
	s_cselect_b32 s2, -1, 0
	v_nop
	v_mul_hi_u32 v44, v24, s0
	s_cmp_lg_u32 s2, 0
	s_add_co_ci_u32 s2, s87, s89
	s_and_b64 s[86:87], s[0:1], s[74:75]
	v_mul_u64_e32 v[26:27], s[2:3], v[24:25]
	v_mul_u64_e32 v[20:21], s[86:87], v[28:29]
	;; [unrolled: 1-line block ×3, first 2 shown]
	s_delay_alu instid0(VALU_DEP_3) | instskip(NEXT) | instid1(VALU_DEP_1)
	v_add_nc_u64_e32 v[26:27], v[44:45], v[26:27]
	v_add_co_u32 v3, vcc_lo, v26, v20
	s_delay_alu instid0(VALU_DEP_2) | instskip(NEXT) | instid1(VALU_DEP_4)
	v_add_co_ci_u32_e32 v44, vcc_lo, v27, v21, vcc_lo
	v_add_co_ci_u32_e32 v31, vcc_lo, 0, v31, vcc_lo
	s_delay_alu instid0(VALU_DEP_1) | instskip(NEXT) | instid1(VALU_DEP_1)
	v_add_nc_u64_e32 v[20:21], v[44:45], v[30:31]
                                        ; implicit-def: $vgpr30_vgpr31
	v_mul_u64_e32 v[26:27], s[82:83], v[20:21]
	s_delay_alu instid0(VALU_DEP_1) | instskip(NEXT) | instid1(VALU_DEP_2)
	v_sub_nc_u32_e32 v3, v28, v27
	v_sub_co_u32 v7, vcc_lo, v24, v26
	s_delay_alu instid0(VALU_DEP_1) | instskip(NEXT) | instid1(VALU_DEP_3)
	v_sub_co_ci_u32_e64 v28, null, v28, v27, vcc_lo
	v_subrev_co_ci_u32_e64 v3, null, s83, v3, vcc_lo
	s_delay_alu instid0(VALU_DEP_3) | instskip(SKIP_1) | instid1(VALU_DEP_3)
	v_sub_co_u32 v23, s0, v7, s82
	v_add_nc_u64_e32 v[26:27], 1, v[20:21]
	v_subrev_co_ci_u32_e64 v3, null, 0, v3, s0
	s_delay_alu instid0(VALU_DEP_3) | instskip(SKIP_1) | instid1(VALU_DEP_3)
	v_cmp_le_u32_e32 vcc_lo, s82, v23
	v_cndmask_b32_e64 v23, 0, -1, vcc_lo
	v_cmp_le_u32_e32 vcc_lo, s83, v3
	v_cndmask_b32_e64 v24, 0, -1, vcc_lo
	;; [unrolled: 2-line block ×4, first 2 shown]
	v_cmp_eq_u32_e32 vcc_lo, s83, v3
	v_cndmask_b32_e32 v3, v24, v23, vcc_lo
	v_cmp_eq_u32_e32 vcc_lo, s83, v28
	v_add_nc_u64_e32 v[24:25], 2, v[20:21]
	v_dual_mov_b32 v23, v22 :: v_dual_cndmask_b32 v7, v29, v7, vcc_lo
	s_delay_alu instid0(VALU_DEP_4) | instskip(NEXT) | instid1(VALU_DEP_3)
	v_cmp_ne_u32_e32 vcc_lo, 0, v3
	v_cndmask_b32_e32 v3, v27, v25, vcc_lo
	s_delay_alu instid0(VALU_DEP_3) | instskip(NEXT) | instid1(VALU_DEP_1)
	v_cmp_ne_u32_e64 s0, 0, v7
	v_dual_cndmask_b32 v7, v26, v24, vcc_lo :: v_dual_cndmask_b32 v3, v21, v3, s0
	s_delay_alu instid0(VALU_DEP_1) | instskip(NEXT) | instid1(VALU_DEP_1)
	v_dual_cndmask_b32 v7, v20, v7, s0 :: v_dual_bitop2_b32 v21, v3, v22 bitop3:0x14
	v_xor_b32_e32 v20, v7, v22
                                        ; implicit-def: $vgpr7
	s_delay_alu instid0(VALU_DEP_1)
	v_sub_nc_u64_e32 v[20:21], v[20:21], v[22:23]
.LBB11_53:                              ;   in Loop: Header=BB11_3 Depth=1
	s_and_not1_saveexec_b32 s0, s85
	s_cbranch_execz .LBB11_55
; %bb.54:                               ;   in Loop: Header=BB11_3 Depth=1
	v_rcp_iflag_f32_e32 v3, v7
	s_sub_co_i32 s2, 0, s64
	v_nop
	s_delay_alu instid0(TRANS32_DEP_1) | instskip(NEXT) | instid1(VALU_DEP_1)
	v_mul_f32_e32 v3, 0x4f7ffffe, v3
	v_cvt_u32_f32_e32 v3, v3
	s_delay_alu instid0(VALU_DEP_1) | instskip(NEXT) | instid1(VALU_DEP_1)
	v_mul_lo_u32 v7, s2, v3
	v_mul_hi_u32 v7, v3, v7
	s_delay_alu instid0(VALU_DEP_1) | instskip(NEXT) | instid1(VALU_DEP_1)
	v_add_nc_u32_e32 v3, v3, v7
	v_mul_hi_u32 v3, v30, v3
	s_delay_alu instid0(VALU_DEP_1) | instskip(NEXT) | instid1(VALU_DEP_1)
	v_mul_lo_u32 v7, v3, s64
	v_sub_nc_u32_e32 v7, v30, v7
	s_delay_alu instid0(VALU_DEP_1) | instskip(SKIP_1) | instid1(VALU_DEP_2)
	v_subrev_nc_u32_e32 v21, s64, v7
	v_cmp_le_u32_e32 vcc_lo, s64, v7
	v_dual_cndmask_b32 v7, v7, v21 :: v_dual_add_nc_u32 v20, 1, v3
	s_delay_alu instid0(VALU_DEP_1) | instskip(NEXT) | instid1(VALU_DEP_2)
	v_dual_cndmask_b32 v3, v3, v20, vcc_lo :: v_dual_mov_b32 v21, v2
	v_cmp_le_u32_e32 vcc_lo, s64, v7
	s_delay_alu instid0(VALU_DEP_2) | instskip(NEXT) | instid1(VALU_DEP_1)
	v_add_nc_u32_e32 v20, 1, v3
	v_cndmask_b32_e32 v20, v3, v20, vcc_lo
.LBB11_55:                              ;   in Loop: Header=BB11_3 Depth=1
	s_or_b32 exec_lo, exec_lo, s0
	v_or_b32_e32 v3, s53, v1
                                        ; implicit-def: $vgpr22_vgpr23
	s_mov_b32 s0, exec_lo
	s_delay_alu instid0(VALU_DEP_1)
	v_cmpx_ne_u64_e32 0, v[2:3]
	s_xor_b32 s85, exec_lo, s0
	s_cbranch_execz .LBB11_57
; %bb.56:                               ;   in Loop: Header=BB11_3 Depth=1
	s_ashr_i32 s80, s53, 31
	v_dual_mov_b32 v7, v6 :: v_dual_mov_b32 v25, v2
	s_mov_b32 s81, s80
	v_mov_b32_e32 v45, v2
	s_add_nc_u64 s[82:83], s[52:53], s[80:81]
	s_delay_alu instid0(VALU_DEP_2)
	v_add_nc_u64_e32 v[22:23], v[0:1], v[6:7]
	s_xor_b64 s[82:83], s[82:83], s[80:81]
	v_mov_b32_e32 v29, v2
	s_cvt_f32_u32 s0, s82
	s_cvt_f32_u32 s2, s83
	s_sub_nc_u64 s[88:89], 0, s[82:83]
	s_delay_alu instid0(VALU_DEP_2) | instskip(NEXT) | instid1(SALU_CYCLE_1)
	v_xor_b32_e32 v28, v23, v6
	s_fmamk_f32 s0, s2, 0x4f800000, s0
	v_xor_b32_e32 v24, v22, v6
	s_delay_alu instid0(SALU_CYCLE_2) | instskip(NEXT) | instid1(TRANS32_DEP_1)
	v_s_rcp_f32 s0, s0
	s_mul_f32 s0, s0, 0x5f7ffffc
	s_delay_alu instid0(SALU_CYCLE_3) | instskip(NEXT) | instid1(SALU_CYCLE_3)
	s_mul_f32 s2, s0, 0x2f800000
	s_trunc_f32 s2, s2
	s_delay_alu instid0(SALU_CYCLE_3) | instskip(SKIP_1) | instid1(SALU_CYCLE_2)
	s_fmamk_f32 s0, s2, 0xcf800000, s0
	s_cvt_u32_f32 s87, s2
	s_cvt_u32_f32 s86, s0
	s_delay_alu instid0(SALU_CYCLE_3) | instskip(NEXT) | instid1(SALU_CYCLE_1)
	s_mul_u64 s[90:91], s[88:89], s[86:87]
	s_mul_hi_u32 s93, s86, s91
	s_mul_i32 s92, s86, s91
	s_mul_hi_u32 s2, s86, s90
	s_mul_i32 s81, s87, s90
	s_add_nc_u64 s[92:93], s[2:3], s[92:93]
	s_mul_hi_u32 s0, s87, s90
	s_mul_hi_u32 s94, s87, s91
	s_add_co_u32 s2, s92, s81
	s_add_co_ci_u32 s2, s93, s0
	s_mul_i32 s90, s87, s91
	s_add_co_ci_u32 s91, s94, 0
	s_delay_alu instid0(SALU_CYCLE_1) | instskip(NEXT) | instid1(SALU_CYCLE_1)
	s_add_nc_u64 s[90:91], s[2:3], s[90:91]
	s_add_co_u32 s86, s86, s90
	s_cselect_b32 s0, -1, 0
	s_delay_alu instid0(SALU_CYCLE_1) | instskip(SKIP_1) | instid1(SALU_CYCLE_1)
	s_cmp_lg_u32 s0, 0
	s_add_co_ci_u32 s87, s87, s91
	s_mul_u64 s[88:89], s[88:89], s[86:87]
	s_delay_alu instid0(SALU_CYCLE_1)
	s_mul_hi_u32 s91, s86, s89
	s_mul_i32 s90, s86, s89
	s_mul_hi_u32 s2, s86, s88
	s_mul_i32 s81, s87, s88
	s_add_nc_u64 s[90:91], s[2:3], s[90:91]
	s_mul_hi_u32 s0, s87, s88
	s_mul_hi_u32 s92, s87, s89
	s_add_co_u32 s2, s90, s81
	s_add_co_ci_u32 s2, s91, s0
	s_mul_i32 s88, s87, s89
	s_add_co_ci_u32 s89, s92, 0
	s_delay_alu instid0(SALU_CYCLE_1) | instskip(NEXT) | instid1(SALU_CYCLE_1)
	s_add_nc_u64 s[88:89], s[2:3], s[88:89]
	s_add_co_u32 s0, s86, s88
	s_cselect_b32 s2, -1, 0
	v_nop
	v_mul_hi_u32 v44, v24, s0
	s_cmp_lg_u32 s2, 0
	s_add_co_ci_u32 s2, s87, s89
	s_and_b64 s[86:87], s[0:1], s[74:75]
	v_mul_u64_e32 v[26:27], s[2:3], v[24:25]
	v_mul_u64_e32 v[22:23], s[86:87], v[28:29]
	v_mul_u64_e32 v[30:31], s[2:3], v[28:29]
	s_delay_alu instid0(VALU_DEP_3) | instskip(NEXT) | instid1(VALU_DEP_1)
	v_add_nc_u64_e32 v[26:27], v[44:45], v[26:27]
	v_add_co_u32 v3, vcc_lo, v26, v22
	s_delay_alu instid0(VALU_DEP_2) | instskip(NEXT) | instid1(VALU_DEP_4)
	v_add_co_ci_u32_e32 v44, vcc_lo, v27, v23, vcc_lo
	v_add_co_ci_u32_e32 v31, vcc_lo, 0, v31, vcc_lo
	s_delay_alu instid0(VALU_DEP_1) | instskip(NEXT) | instid1(VALU_DEP_1)
	v_add_nc_u64_e32 v[22:23], v[44:45], v[30:31]
	v_mul_u64_e32 v[26:27], s[82:83], v[22:23]
	s_delay_alu instid0(VALU_DEP_1) | instskip(NEXT) | instid1(VALU_DEP_2)
	v_sub_nc_u32_e32 v3, v28, v27
	v_sub_co_u32 v7, vcc_lo, v24, v26
	s_delay_alu instid0(VALU_DEP_1) | instskip(NEXT) | instid1(VALU_DEP_3)
	v_sub_co_ci_u32_e64 v28, null, v28, v27, vcc_lo
	v_subrev_co_ci_u32_e64 v3, null, s83, v3, vcc_lo
	s_delay_alu instid0(VALU_DEP_3) | instskip(SKIP_1) | instid1(VALU_DEP_3)
	v_sub_co_u32 v24, s0, v7, s82
	v_add_nc_u64_e32 v[26:27], 1, v[22:23]
	v_subrev_co_ci_u32_e64 v3, null, 0, v3, s0
	s_delay_alu instid0(VALU_DEP_3) | instskip(SKIP_1) | instid1(VALU_DEP_3)
	v_cmp_le_u32_e32 vcc_lo, s82, v24
	v_cndmask_b32_e64 v24, 0, -1, vcc_lo
	v_cmp_le_u32_e32 vcc_lo, s83, v3
	v_cndmask_b32_e64 v25, 0, -1, vcc_lo
	v_cmp_le_u32_e32 vcc_lo, s82, v7
	v_cndmask_b32_e64 v7, 0, -1, vcc_lo
	v_cmp_le_u32_e32 vcc_lo, s83, v28
	v_cndmask_b32_e64 v29, 0, -1, vcc_lo
	v_cmp_eq_u32_e32 vcc_lo, s83, v3
	v_cndmask_b32_e32 v3, v25, v24, vcc_lo
	v_cmp_eq_u32_e32 vcc_lo, s83, v28
	v_add_nc_u64_e32 v[24:25], 2, v[22:23]
	v_cndmask_b32_e32 v7, v29, v7, vcc_lo
	s_delay_alu instid0(VALU_DEP_4) | instskip(NEXT) | instid1(VALU_DEP_3)
	v_cmp_ne_u32_e32 vcc_lo, 0, v3
	v_cndmask_b32_e32 v3, v27, v25, vcc_lo
	s_delay_alu instid0(VALU_DEP_3) | instskip(SKIP_1) | instid1(VALU_DEP_1)
	v_cmp_ne_u32_e64 s0, 0, v7
	v_dual_cndmask_b32 v7, v26, v24, vcc_lo :: v_dual_bitop2_b32 v24, s80, v6 bitop3:0x14
	v_dual_cndmask_b32 v3, v23, v3, s0 :: v_dual_mov_b32 v25, v24
	s_delay_alu instid0(VALU_DEP_1) | instskip(NEXT) | instid1(VALU_DEP_1)
	v_dual_cndmask_b32 v7, v22, v7, s0 :: v_dual_bitop2_b32 v23, v3, v24 bitop3:0x14
	v_xor_b32_e32 v22, v7, v24
	s_delay_alu instid0(VALU_DEP_1)
	v_sub_nc_u64_e32 v[22:23], v[22:23], v[24:25]
.LBB11_57:                              ;   in Loop: Header=BB11_3 Depth=1
	s_and_not1_saveexec_b32 s0, s85
	s_cbranch_execz .LBB11_59
; %bb.58:                               ;   in Loop: Header=BB11_3 Depth=1
	v_cvt_f32_u32_e32 v3, s52
	s_sub_co_i32 s2, 0, s52
	s_delay_alu instid0(VALU_DEP_1) | instskip(SKIP_1) | instid1(TRANS32_DEP_1)
	v_rcp_iflag_f32_e32 v3, v3
	v_nop
	v_mul_f32_e32 v3, 0x4f7ffffe, v3
	s_delay_alu instid0(VALU_DEP_1) | instskip(NEXT) | instid1(VALU_DEP_1)
	v_cvt_u32_f32_e32 v3, v3
	v_mul_lo_u32 v7, s2, v3
	s_delay_alu instid0(VALU_DEP_1) | instskip(NEXT) | instid1(VALU_DEP_1)
	v_mul_hi_u32 v7, v3, v7
	v_add_nc_u32_e32 v3, v3, v7
	s_delay_alu instid0(VALU_DEP_1) | instskip(NEXT) | instid1(VALU_DEP_1)
	v_mul_hi_u32 v3, v0, v3
	v_mul_lo_u32 v7, v3, s52
	v_add_nc_u32_e32 v22, 1, v3
	s_delay_alu instid0(VALU_DEP_2) | instskip(NEXT) | instid1(VALU_DEP_1)
	v_sub_nc_u32_e32 v7, v0, v7
	v_subrev_nc_u32_e32 v23, s52, v7
	v_cmp_le_u32_e32 vcc_lo, s52, v7
	s_delay_alu instid0(VALU_DEP_2) | instskip(SKIP_1) | instid1(VALU_DEP_2)
	v_dual_cndmask_b32 v7, v7, v23, vcc_lo :: v_dual_mov_b32 v23, v2
	v_cndmask_b32_e32 v3, v3, v22, vcc_lo
	v_cmp_le_u32_e32 vcc_lo, s52, v7
	s_delay_alu instid0(VALU_DEP_2) | instskip(NEXT) | instid1(VALU_DEP_1)
	v_add_nc_u32_e32 v22, 1, v3
	v_cndmask_b32_e32 v22, v3, v22, vcc_lo
.LBB11_59:                              ;   in Loop: Header=BB11_3 Depth=1
	s_or_b32 exec_lo, exec_lo, s0
	s_delay_alu instid0(VALU_DEP_1) | instskip(SKIP_1) | instid1(VALU_DEP_1)
	v_mad_nc_u64_u32 v[24:25], s72, v22, v[0:1]
	s_mov_b32 s0, exec_lo
	v_mad_u32 v3, s73, v22, v25
	s_delay_alu instid0(VALU_DEP_1) | instskip(SKIP_2) | instid1(VALU_DEP_3)
	v_mad_u32 v25, s72, v23, v3
	v_mul_u64_e32 v[22:23], s[16:17], v[22:23]
	v_or_b32_e32 v3, s57, v1
	v_mul_u64_e32 v[24:25], s[18:19], v[24:25]
	s_delay_alu instid0(VALU_DEP_3) | instskip(NEXT) | instid1(VALU_DEP_1)
	v_lshl_add_u64 v[22:23], v[22:23], 1, s[50:51]
	v_lshl_add_u64 v[22:23], v[24:25], 1, v[22:23]
	global_load_u16 v26, v[22:23], off
                                        ; implicit-def: $vgpr22_vgpr23
	s_wait_xcnt 0x0
	v_cmpx_ne_u64_e32 0, v[2:3]
	s_xor_b32 s85, exec_lo, s0
	s_cbranch_execz .LBB11_61
; %bb.60:                               ;   in Loop: Header=BB11_3 Depth=1
	s_ashr_i32 s80, s57, 31
	v_dual_mov_b32 v7, v6 :: v_dual_mov_b32 v25, v2
	s_mov_b32 s81, s80
	v_mov_b32_e32 v47, v2
	s_add_nc_u64 s[82:83], s[56:57], s[80:81]
	s_delay_alu instid0(VALU_DEP_2)
	v_add_nc_u64_e32 v[22:23], v[0:1], v[6:7]
	s_xor_b64 s[82:83], s[82:83], s[80:81]
	v_mov_b32_e32 v31, v2
	s_cvt_f32_u32 s0, s82
	s_cvt_f32_u32 s2, s83
	s_sub_nc_u64 s[88:89], 0, s[82:83]
	s_delay_alu instid0(VALU_DEP_2) | instskip(NEXT) | instid1(SALU_CYCLE_1)
	v_xor_b32_e32 v24, v22, v6
	s_fmamk_f32 s0, s2, 0x4f800000, s0
	v_xor_b32_e32 v30, v23, v6
	s_delay_alu instid0(SALU_CYCLE_2) | instskip(NEXT) | instid1(TRANS32_DEP_1)
	v_s_rcp_f32 s0, s0
	s_mul_f32 s0, s0, 0x5f7ffffc
	s_delay_alu instid0(SALU_CYCLE_3) | instskip(NEXT) | instid1(SALU_CYCLE_3)
	s_mul_f32 s2, s0, 0x2f800000
	s_trunc_f32 s2, s2
	s_delay_alu instid0(SALU_CYCLE_3) | instskip(SKIP_1) | instid1(SALU_CYCLE_2)
	s_fmamk_f32 s0, s2, 0xcf800000, s0
	s_cvt_u32_f32 s87, s2
	s_cvt_u32_f32 s86, s0
	s_delay_alu instid0(SALU_CYCLE_3) | instskip(NEXT) | instid1(SALU_CYCLE_1)
	s_mul_u64 s[90:91], s[88:89], s[86:87]
	s_mul_hi_u32 s93, s86, s91
	s_mul_i32 s92, s86, s91
	s_mul_hi_u32 s2, s86, s90
	s_mul_i32 s81, s87, s90
	s_add_nc_u64 s[92:93], s[2:3], s[92:93]
	s_mul_hi_u32 s0, s87, s90
	s_mul_hi_u32 s94, s87, s91
	s_add_co_u32 s2, s92, s81
	s_add_co_ci_u32 s2, s93, s0
	s_mul_i32 s90, s87, s91
	s_add_co_ci_u32 s91, s94, 0
	s_delay_alu instid0(SALU_CYCLE_1) | instskip(NEXT) | instid1(SALU_CYCLE_1)
	s_add_nc_u64 s[90:91], s[2:3], s[90:91]
	s_add_co_u32 s86, s86, s90
	s_cselect_b32 s0, -1, 0
	s_delay_alu instid0(SALU_CYCLE_1) | instskip(SKIP_1) | instid1(SALU_CYCLE_1)
	s_cmp_lg_u32 s0, 0
	s_add_co_ci_u32 s87, s87, s91
	s_mul_u64 s[88:89], s[88:89], s[86:87]
	s_delay_alu instid0(SALU_CYCLE_1)
	s_mul_hi_u32 s91, s86, s89
	s_mul_i32 s90, s86, s89
	s_mul_hi_u32 s2, s86, s88
	s_mul_i32 s81, s87, s88
	s_add_nc_u64 s[90:91], s[2:3], s[90:91]
	s_mul_hi_u32 s0, s87, s88
	s_mul_hi_u32 s92, s87, s89
	s_add_co_u32 s2, s90, s81
	s_add_co_ci_u32 s2, s91, s0
	s_mul_i32 s88, s87, s89
	s_add_co_ci_u32 s89, s92, 0
	s_delay_alu instid0(SALU_CYCLE_1) | instskip(NEXT) | instid1(SALU_CYCLE_1)
	s_add_nc_u64 s[88:89], s[2:3], s[88:89]
	s_add_co_u32 s0, s86, s88
	s_cselect_b32 s2, -1, 0
	v_nop
	v_mul_hi_u32 v46, v24, s0
	s_cmp_lg_u32 s2, 0
	s_add_co_ci_u32 s2, s87, s89
	s_and_b64 s[86:87], s[0:1], s[74:75]
	v_mul_u64_e32 v[28:29], s[2:3], v[24:25]
	v_mul_u64_e32 v[22:23], s[86:87], v[30:31]
	;; [unrolled: 1-line block ×3, first 2 shown]
	s_delay_alu instid0(VALU_DEP_3) | instskip(NEXT) | instid1(VALU_DEP_1)
	v_add_nc_u64_e32 v[28:29], v[46:47], v[28:29]
	v_add_co_u32 v3, vcc_lo, v28, v22
	s_delay_alu instid0(VALU_DEP_2) | instskip(NEXT) | instid1(VALU_DEP_4)
	v_add_co_ci_u32_e32 v46, vcc_lo, v29, v23, vcc_lo
	v_add_co_ci_u32_e32 v45, vcc_lo, 0, v45, vcc_lo
	s_delay_alu instid0(VALU_DEP_1) | instskip(NEXT) | instid1(VALU_DEP_1)
	v_add_nc_u64_e32 v[22:23], v[46:47], v[44:45]
	v_mul_u64_e32 v[28:29], s[82:83], v[22:23]
	s_delay_alu instid0(VALU_DEP_1) | instskip(NEXT) | instid1(VALU_DEP_2)
	v_sub_nc_u32_e32 v3, v30, v29
	v_sub_co_u32 v7, vcc_lo, v24, v28
	s_delay_alu instid0(VALU_DEP_1) | instskip(NEXT) | instid1(VALU_DEP_3)
	v_sub_co_ci_u32_e64 v27, null, v30, v29, vcc_lo
	v_subrev_co_ci_u32_e64 v3, null, s83, v3, vcc_lo
	s_delay_alu instid0(VALU_DEP_3) | instskip(SKIP_1) | instid1(VALU_DEP_3)
	v_sub_co_u32 v24, s0, v7, s82
	v_add_nc_u64_e32 v[28:29], 1, v[22:23]
	v_subrev_co_ci_u32_e64 v3, null, 0, v3, s0
	s_delay_alu instid0(VALU_DEP_3) | instskip(SKIP_1) | instid1(VALU_DEP_3)
	v_cmp_le_u32_e32 vcc_lo, s82, v24
	v_cndmask_b32_e64 v24, 0, -1, vcc_lo
	v_cmp_le_u32_e32 vcc_lo, s83, v3
	v_cndmask_b32_e64 v25, 0, -1, vcc_lo
	;; [unrolled: 2-line block ×4, first 2 shown]
	v_cmp_eq_u32_e32 vcc_lo, s83, v3
	v_cndmask_b32_e32 v3, v25, v24, vcc_lo
	v_cmp_eq_u32_e32 vcc_lo, s83, v27
	v_add_nc_u64_e32 v[24:25], 2, v[22:23]
	v_cndmask_b32_e32 v7, v30, v7, vcc_lo
	s_delay_alu instid0(VALU_DEP_4) | instskip(NEXT) | instid1(VALU_DEP_2)
	v_cmp_ne_u32_e32 vcc_lo, 0, v3
	v_cmp_ne_u32_e64 s0, 0, v7
	s_delay_alu instid0(VALU_DEP_4) | instskip(NEXT) | instid1(VALU_DEP_1)
	v_dual_cndmask_b32 v3, v29, v25, vcc_lo :: v_dual_cndmask_b32 v7, v28, v24, vcc_lo
	v_dual_cndmask_b32 v3, v23, v3, s0 :: v_dual_bitop2_b32 v24, s80, v6 bitop3:0x14
	s_delay_alu instid0(VALU_DEP_1) | instskip(NEXT) | instid1(VALU_DEP_2)
	v_dual_mov_b32 v25, v24 :: v_dual_cndmask_b32 v7, v22, v7, s0
	v_xor_b32_e32 v23, v3, v24
	s_delay_alu instid0(VALU_DEP_2) | instskip(NEXT) | instid1(VALU_DEP_1)
	v_xor_b32_e32 v22, v7, v24
	v_sub_nc_u64_e32 v[22:23], v[22:23], v[24:25]
.LBB11_61:                              ;   in Loop: Header=BB11_3 Depth=1
	s_and_not1_saveexec_b32 s0, s85
	s_cbranch_execz .LBB11_63
; %bb.62:                               ;   in Loop: Header=BB11_3 Depth=1
	v_cvt_f32_u32_e32 v3, s56
	s_sub_co_i32 s2, 0, s56
	s_delay_alu instid0(VALU_DEP_1) | instskip(SKIP_1) | instid1(TRANS32_DEP_1)
	v_rcp_iflag_f32_e32 v3, v3
	v_nop
	v_mul_f32_e32 v3, 0x4f7ffffe, v3
	s_delay_alu instid0(VALU_DEP_1) | instskip(NEXT) | instid1(VALU_DEP_1)
	v_cvt_u32_f32_e32 v3, v3
	v_mul_lo_u32 v7, s2, v3
	s_delay_alu instid0(VALU_DEP_1) | instskip(NEXT) | instid1(VALU_DEP_1)
	v_mul_hi_u32 v7, v3, v7
	v_add_nc_u32_e32 v3, v3, v7
	s_delay_alu instid0(VALU_DEP_1) | instskip(NEXT) | instid1(VALU_DEP_1)
	v_mul_hi_u32 v3, v0, v3
	v_mul_lo_u32 v7, v3, s56
	v_add_nc_u32_e32 v22, 1, v3
	s_delay_alu instid0(VALU_DEP_2) | instskip(NEXT) | instid1(VALU_DEP_1)
	v_sub_nc_u32_e32 v7, v0, v7
	v_subrev_nc_u32_e32 v23, s56, v7
	v_cmp_le_u32_e32 vcc_lo, s56, v7
	s_delay_alu instid0(VALU_DEP_2) | instskip(SKIP_1) | instid1(VALU_DEP_2)
	v_dual_cndmask_b32 v7, v7, v23, vcc_lo :: v_dual_mov_b32 v23, v2
	v_cndmask_b32_e32 v3, v3, v22, vcc_lo
	v_cmp_le_u32_e32 vcc_lo, s56, v7
	s_delay_alu instid0(VALU_DEP_2) | instskip(NEXT) | instid1(VALU_DEP_1)
	v_add_nc_u32_e32 v22, 1, v3
	v_cndmask_b32_e32 v22, v3, v22, vcc_lo
.LBB11_63:                              ;   in Loop: Header=BB11_3 Depth=1
	s_or_b32 exec_lo, exec_lo, s0
	v_or_b32_e32 v3, s61, v1
                                        ; implicit-def: $vgpr24_vgpr25
	s_mov_b32 s0, exec_lo
	s_delay_alu instid0(VALU_DEP_1)
	v_cmpx_ne_u64_e32 0, v[2:3]
	s_xor_b32 s85, exec_lo, s0
	s_cbranch_execnz .LBB11_67
; %bb.64:                               ;   in Loop: Header=BB11_3 Depth=1
	s_and_not1_saveexec_b32 s0, s85
	s_cbranch_execnz .LBB11_68
.LBB11_65:                              ;   in Loop: Header=BB11_3 Depth=1
	s_or_b32 exec_lo, exec_lo, s0
	s_delay_alu instid0(SALU_CYCLE_1)
	s_and_not1_b32 vcc_lo, exec_lo, s1
	s_cbranch_vccnz .LBB11_69
.LBB11_66:                              ;   in Loop: Header=BB11_3 Depth=1
	v_sub_nc_u64_e32 v[28:29], 1, v[10:11]
	v_mad_nc_u64_u32 v[6:7], s70, v10, v[0:1]
	v_sub_nc_u64_e32 v[30:31], 2, v[10:11]
	v_sub_nc_u64_e32 v[44:45], 3, v[10:11]
	s_delay_alu instid0(VALU_DEP_4) | instskip(NEXT) | instid1(VALU_DEP_3)
	v_mad_nc_u64_u32 v[46:47], s4, v28, v[0:1]
	v_mad_nc_u64_u32 v[48:49], s4, v30, v[0:1]
	s_delay_alu instid0(VALU_DEP_3) | instskip(SKIP_1) | instid1(VALU_DEP_4)
	v_mad_nc_u64_u32 v[50:51], s4, v44, v[0:1]
	v_mad_u32 v3, s71, v10, v7
	v_mad_u32 v10, s5, v28, v47
	s_delay_alu instid0(VALU_DEP_4) | instskip(NEXT) | instid1(VALU_DEP_4)
	v_mad_u32 v27, s5, v30, v49
	v_mad_u32 v28, s5, v44, v51
	s_delay_alu instid0(VALU_DEP_4) | instskip(NEXT) | instid1(VALU_DEP_4)
	;; [unrolled: 3-line block ×3, first 2 shown]
	v_mad_u32 v49, s4, v31, v27
	v_mad_u32 v51, s4, v45, v28
	s_delay_alu instid0(VALU_DEP_4)
	v_mul_u64_e32 v[10:11], s[44:45], v[6:7]
	v_mul_u64_e32 v[6:7], s[48:49], v[6:7]
	v_mul_u64_e32 v[28:29], s[44:45], v[46:47]
	v_mul_u64_e32 v[44:45], s[48:49], v[46:47]
	v_mul_u64_e32 v[30:31], s[44:45], v[48:49]
	v_mul_u64_e32 v[48:49], s[48:49], v[48:49]
	v_mul_u64_e32 v[46:47], s[44:45], v[50:51]
	v_mul_u64_e32 v[50:51], s[48:49], v[50:51]
	v_lshl_add_u64 v[10:11], v[10:11], 1, s[40:41]
	v_lshl_add_u64 v[6:7], v[6:7], 1, s[46:47]
	global_load_u16 v3, v[10:11], off
	global_load_u16 v27, v[6:7], off
	s_wait_xcnt 0x0
	v_lshl_add_u64 v[6:7], v[28:29], 1, s[40:41]
	v_lshl_add_u64 v[28:29], v[44:45], 1, s[46:47]
	;; [unrolled: 1-line block ×6, first 2 shown]
	global_load_u16 v6, v[6:7], off
	global_load_u16 v7, v[28:29], off
	;; [unrolled: 1-line block ×6, first 2 shown]
	s_wait_loadcnt 0x7
	v_cvt_f32_f16_e32 v29, v3
	s_wait_loadcnt 0x6
	v_cvt_f32_f16_e32 v11, v27
	;; [unrolled: 2-line block ×8, first 2 shown]
	s_branch .LBB11_70
.LBB11_67:                              ;   in Loop: Header=BB11_3 Depth=1
	s_ashr_i32 s80, s61, 31
	v_dual_mov_b32 v7, v6 :: v_dual_mov_b32 v29, v2
	s_mov_b32 s81, s80
	v_mov_b32_e32 v45, v2
	s_add_nc_u64 s[82:83], s[60:61], s[80:81]
	s_delay_alu instid0(VALU_DEP_2)
	v_add_nc_u64_e32 v[24:25], v[0:1], v[6:7]
	s_xor_b64 s[82:83], s[82:83], s[80:81]
	v_mov_b32_e32 v49, v2
	s_cvt_f32_u32 s0, s82
	s_cvt_f32_u32 s2, s83
	s_sub_nc_u64 s[88:89], 0, s[82:83]
	s_delay_alu instid0(VALU_DEP_2) | instskip(NEXT) | instid1(SALU_CYCLE_1)
	v_xor_b32_e32 v28, v24, v6
	s_fmamk_f32 s0, s2, 0x4f800000, s0
	v_xor_b32_e32 v44, v25, v6
	v_xor_b32_e32 v6, s80, v6
	s_delay_alu instid0(SALU_CYCLE_1) | instskip(NEXT) | instid1(TRANS32_DEP_1)
	v_s_rcp_f32 s0, s0
	s_mul_f32 s0, s0, 0x5f7ffffc
	s_delay_alu instid0(SALU_CYCLE_3) | instskip(NEXT) | instid1(SALU_CYCLE_3)
	s_mul_f32 s2, s0, 0x2f800000
	s_trunc_f32 s2, s2
	s_delay_alu instid0(SALU_CYCLE_3) | instskip(SKIP_1) | instid1(SALU_CYCLE_2)
	s_fmamk_f32 s0, s2, 0xcf800000, s0
	s_cvt_u32_f32 s87, s2
	s_cvt_u32_f32 s86, s0
	s_delay_alu instid0(SALU_CYCLE_3) | instskip(NEXT) | instid1(SALU_CYCLE_1)
	s_mul_u64 s[90:91], s[88:89], s[86:87]
	s_mul_hi_u32 s93, s86, s91
	s_mul_i32 s92, s86, s91
	s_mul_hi_u32 s2, s86, s90
	s_mul_i32 s81, s87, s90
	s_add_nc_u64 s[92:93], s[2:3], s[92:93]
	s_mul_hi_u32 s0, s87, s90
	s_mul_hi_u32 s94, s87, s91
	s_add_co_u32 s2, s92, s81
	s_add_co_ci_u32 s2, s93, s0
	s_mul_i32 s90, s87, s91
	s_add_co_ci_u32 s91, s94, 0
	s_delay_alu instid0(SALU_CYCLE_1) | instskip(NEXT) | instid1(SALU_CYCLE_1)
	s_add_nc_u64 s[90:91], s[2:3], s[90:91]
	s_add_co_u32 s86, s86, s90
	s_cselect_b32 s0, -1, 0
	s_delay_alu instid0(SALU_CYCLE_1) | instskip(SKIP_1) | instid1(SALU_CYCLE_1)
	s_cmp_lg_u32 s0, 0
	s_add_co_ci_u32 s87, s87, s91
	s_mul_u64 s[88:89], s[88:89], s[86:87]
	s_delay_alu instid0(SALU_CYCLE_1)
	s_mul_hi_u32 s91, s86, s89
	s_mul_i32 s90, s86, s89
	s_mul_hi_u32 s2, s86, s88
	s_mul_i32 s81, s87, s88
	s_add_nc_u64 s[90:91], s[2:3], s[90:91]
	s_mul_hi_u32 s0, s87, s88
	s_mul_hi_u32 s92, s87, s89
	s_add_co_u32 s2, s90, s81
	s_add_co_ci_u32 s2, s91, s0
	s_mul_i32 s88, s87, s89
	s_add_co_ci_u32 s89, s92, 0
	s_delay_alu instid0(SALU_CYCLE_1) | instskip(NEXT) | instid1(SALU_CYCLE_1)
	s_add_nc_u64 s[88:89], s[2:3], s[88:89]
	s_add_co_u32 s0, s86, s88
	s_cselect_b32 s2, -1, 0
	v_nop
	v_mul_hi_u32 v48, v28, s0
	s_cmp_lg_u32 s2, 0
	s_add_co_ci_u32 s2, s87, s89
	s_and_b64 s[86:87], s[0:1], s[74:75]
	v_mul_u64_e32 v[30:31], s[2:3], v[28:29]
	v_mul_u64_e32 v[24:25], s[86:87], v[44:45]
	;; [unrolled: 1-line block ×3, first 2 shown]
	s_delay_alu instid0(VALU_DEP_3) | instskip(NEXT) | instid1(VALU_DEP_1)
	v_add_nc_u64_e32 v[30:31], v[48:49], v[30:31]
	v_add_co_u32 v3, vcc_lo, v30, v24
	s_delay_alu instid0(VALU_DEP_2) | instskip(NEXT) | instid1(VALU_DEP_4)
	v_add_co_ci_u32_e32 v48, vcc_lo, v31, v25, vcc_lo
	v_add_co_ci_u32_e32 v47, vcc_lo, 0, v47, vcc_lo
	s_delay_alu instid0(VALU_DEP_1) | instskip(NEXT) | instid1(VALU_DEP_1)
	v_add_nc_u64_e32 v[24:25], v[48:49], v[46:47]
	v_mul_u64_e32 v[30:31], s[82:83], v[24:25]
	s_delay_alu instid0(VALU_DEP_1) | instskip(NEXT) | instid1(VALU_DEP_2)
	v_sub_nc_u32_e32 v3, v44, v31
	v_sub_co_u32 v7, vcc_lo, v28, v30
	s_delay_alu instid0(VALU_DEP_1) | instskip(NEXT) | instid1(VALU_DEP_3)
	v_sub_co_ci_u32_e64 v43, null, v44, v31, vcc_lo
	v_subrev_co_ci_u32_e64 v3, null, s83, v3, vcc_lo
	s_delay_alu instid0(VALU_DEP_3) | instskip(SKIP_1) | instid1(VALU_DEP_3)
	v_sub_co_u32 v27, s0, v7, s82
	v_add_nc_u64_e32 v[30:31], 1, v[24:25]
	v_subrev_co_ci_u32_e64 v3, null, 0, v3, s0
	s_delay_alu instid0(VALU_DEP_3) | instskip(SKIP_1) | instid1(VALU_DEP_3)
	v_cmp_le_u32_e32 vcc_lo, s82, v27
	v_cndmask_b32_e64 v27, 0, -1, vcc_lo
	v_cmp_le_u32_e32 vcc_lo, s83, v3
	v_cndmask_b32_e64 v28, 0, -1, vcc_lo
	v_cmp_le_u32_e32 vcc_lo, s82, v7
	v_cndmask_b32_e64 v7, 0, -1, vcc_lo
	v_cmp_le_u32_e32 vcc_lo, s83, v43
	v_cndmask_b32_e64 v44, 0, -1, vcc_lo
	v_cmp_eq_u32_e32 vcc_lo, s83, v3
	v_cndmask_b32_e32 v3, v28, v27, vcc_lo
	v_cmp_eq_u32_e32 vcc_lo, s83, v43
	v_add_nc_u64_e32 v[28:29], 2, v[24:25]
	v_cndmask_b32_e32 v7, v44, v7, vcc_lo
	s_delay_alu instid0(VALU_DEP_4) | instskip(NEXT) | instid1(VALU_DEP_3)
	v_cmp_ne_u32_e32 vcc_lo, 0, v3
	v_cndmask_b32_e32 v3, v31, v29, vcc_lo
	s_delay_alu instid0(VALU_DEP_3) | instskip(NEXT) | instid1(VALU_DEP_1)
	v_cmp_ne_u32_e64 s0, 0, v7
	v_dual_cndmask_b32 v7, v30, v28, vcc_lo :: v_dual_cndmask_b32 v3, v25, v3, s0
	s_delay_alu instid0(VALU_DEP_1) | instskip(NEXT) | instid1(VALU_DEP_2)
	v_dual_cndmask_b32 v24, v24, v7, s0 :: v_dual_mov_b32 v7, v6
	v_xor_b32_e32 v25, v3, v6
	s_delay_alu instid0(VALU_DEP_2) | instskip(NEXT) | instid1(VALU_DEP_1)
	v_xor_b32_e32 v24, v24, v6
	v_sub_nc_u64_e32 v[24:25], v[24:25], v[6:7]
	s_and_not1_saveexec_b32 s0, s85
	s_cbranch_execz .LBB11_65
.LBB11_68:                              ;   in Loop: Header=BB11_3 Depth=1
	v_cvt_f32_u32_e32 v3, s60
	s_sub_co_i32 s2, 0, s60
	v_mov_b32_e32 v25, v2
	s_delay_alu instid0(VALU_DEP_2) | instskip(SKIP_1) | instid1(TRANS32_DEP_1)
	v_rcp_iflag_f32_e32 v3, v3
	v_nop
	v_mul_f32_e32 v3, 0x4f7ffffe, v3
	s_delay_alu instid0(VALU_DEP_1) | instskip(NEXT) | instid1(VALU_DEP_1)
	v_cvt_u32_f32_e32 v3, v3
	v_mul_lo_u32 v6, s2, v3
	s_delay_alu instid0(VALU_DEP_1) | instskip(NEXT) | instid1(VALU_DEP_1)
	v_mul_hi_u32 v6, v3, v6
	v_add_nc_u32_e32 v3, v3, v6
	s_delay_alu instid0(VALU_DEP_1) | instskip(NEXT) | instid1(VALU_DEP_1)
	v_mul_hi_u32 v3, v0, v3
	v_mul_lo_u32 v6, v3, s60
	s_delay_alu instid0(VALU_DEP_1) | instskip(NEXT) | instid1(VALU_DEP_1)
	v_dual_add_nc_u32 v7, 1, v3 :: v_dual_sub_nc_u32 v6, v0, v6
	v_subrev_nc_u32_e32 v24, s60, v6
	v_cmp_le_u32_e32 vcc_lo, s60, v6
	s_delay_alu instid0(VALU_DEP_2) | instskip(NEXT) | instid1(VALU_DEP_1)
	v_dual_cndmask_b32 v6, v6, v24 :: v_dual_cndmask_b32 v3, v3, v7
	v_cmp_le_u32_e32 vcc_lo, s60, v6
	s_delay_alu instid0(VALU_DEP_2) | instskip(NEXT) | instid1(VALU_DEP_1)
	v_add_nc_u32_e32 v7, 1, v3
	v_cndmask_b32_e32 v24, v3, v7, vcc_lo
	s_or_b32 exec_lo, exec_lo, s0
	s_delay_alu instid0(SALU_CYCLE_1)
	s_and_not1_b32 vcc_lo, exec_lo, s1
	s_cbranch_vccz .LBB11_66
.LBB11_69:                              ;   in Loop: Header=BB11_3 Depth=1
	v_dual_mov_b32 v3, 0 :: v_dual_mov_b32 v6, 0
	v_dual_mov_b32 v7, 0 :: v_dual_mov_b32 v11, 0
	;; [unrolled: 1-line block ×4, first 2 shown]
.LBB11_70:                              ;   in Loop: Header=BB11_3 Depth=1
	s_wait_loadcnt 0x6
	v_cvt_f32_f16_e32 v30, v37
	s_wait_loadcnt 0x2
	v_cvt_f32_f16_e32 v31, v41
	s_delay_alu instid0(VALU_DEP_1) | instskip(NEXT) | instid1(VALU_DEP_1)
	v_add_f32_e32 v30, v30, v31
	v_add_f32_e32 v10, v30, v10
	s_delay_alu instid0(VALU_DEP_1) | instskip(NEXT) | instid1(VALU_DEP_1)
	v_add_f32_e32 v6, v6, v10
                                        ; implicit-def: $vgpr10
	v_cmp_ngt_f32_e64 s0, 0x3f200000, |v6|
	s_wait_xcnt 0x0
	s_and_saveexec_b32 s2, s0
	s_delay_alu instid0(SALU_CYCLE_1)
	s_xor_b32 s0, exec_lo, s2
	s_cbranch_execz .LBB11_72
; %bb.71:                               ;   in Loop: Header=BB11_3 Depth=1
	v_add_f32_e64 v10, |v6|, |v6|
	s_delay_alu instid0(VALU_DEP_1) | instskip(SKIP_1) | instid1(VALU_DEP_2)
	v_mul_f32_e32 v30, 0x3fb8aa3b, v10
	v_cmp_ngt_f32_e32 vcc_lo, 0xc2ce8ed0, v10
	v_rndne_f32_e32 v31, v30
	v_fma_f32 v37, 0x3fb8aa3b, v10, -v30
	s_delay_alu instid0(VALU_DEP_1) | instskip(SKIP_1) | instid1(VALU_DEP_2)
	v_dual_sub_f32 v30, v30, v31 :: v_dual_fmac_f32 v37, 0x32a5705f, v10
	v_cvt_i32_f32_e32 v31, v31
	v_add_f32_e32 v30, v30, v37
	s_delay_alu instid0(VALU_DEP_1) | instskip(SKIP_1) | instid1(TRANS32_DEP_1)
	v_exp_f32_e32 v30, v30
	v_nop
	v_ldexp_f32 v30, v30, v31
	s_delay_alu instid0(VALU_DEP_1) | instskip(SKIP_1) | instid1(VALU_DEP_2)
	v_cndmask_b32_e32 v30, 0, v30, vcc_lo
	v_cmp_nlt_f32_e32 vcc_lo, 0x42b17218, v10
	v_cndmask_b32_e32 v10, 0x7f800000, v30, vcc_lo
	s_delay_alu instid0(VALU_DEP_1) | instskip(NEXT) | instid1(VALU_DEP_1)
	v_add_f32_e32 v10, 1.0, v10
	v_rcp_f32_e32 v10, v10
	v_nop
	s_delay_alu instid0(TRANS32_DEP_1)
	v_fma_f32 v10, v10, -2.0, 1.0
.LBB11_72:                              ;   in Loop: Header=BB11_3 Depth=1
	s_and_not1_saveexec_b32 s0, s0
	s_cbranch_execz .LBB11_74
; %bb.73:                               ;   in Loop: Header=BB11_3 Depth=1
	v_mul_f32_e32 v10, v6, v6
	s_delay_alu instid0(VALU_DEP_1) | instskip(NEXT) | instid1(VALU_DEP_1)
	v_fmaak_f32 v30, s33, v10, 0x3ca908c9
	v_fmaak_f32 v30, v10, v30, 0xbd5c1c4e
	s_delay_alu instid0(VALU_DEP_1) | instskip(NEXT) | instid1(VALU_DEP_1)
	v_fmaak_f32 v30, v10, v30, 0x3e088382
	v_fmaak_f32 v30, v10, v30, 0xbeaaaa99
	s_delay_alu instid0(VALU_DEP_1) | instskip(NEXT) | instid1(VALU_DEP_1)
	v_mul_f32_e64 v30, |v6|, v30
	v_fma_f32 v10, v10, v30, |v6|
.LBB11_74:                              ;   in Loop: Header=BB11_3 Depth=1
	s_or_b32 exec_lo, exec_lo, s0
	v_cvt_f32_f16_e32 v30, v35
	v_cvt_f32_f16_e32 v31, v39
	;; [unrolled: 1-line block ×4, first 2 shown]
	s_delay_alu instid0(VALU_DEP_1) | instskip(NEXT) | instid1(VALU_DEP_1)
	v_dual_add_f32 v30, v30, v31 :: v_dual_add_f32 v31, v35, v36
	v_dual_add_f32 v29, v30, v29 :: v_dual_add_f32 v27, v31, v27
	s_delay_alu instid0(VALU_DEP_1) | instskip(NEXT) | instid1(VALU_DEP_2)
	v_add_f32_e32 v11, v11, v29
	v_add_f32_e32 v7, v7, v27
	s_delay_alu instid0(VALU_DEP_1) | instskip(NEXT) | instid1(VALU_DEP_1)
	v_mul_f32_e32 v29, 0xbfb8aa3b, v7
	v_rndne_f32_e32 v36, v29
	v_fma_f32 v35, 0xbfb8aa3b, v7, -v29
	s_delay_alu instid0(VALU_DEP_2) | instskip(SKIP_2) | instid1(VALU_DEP_2)
	v_sub_f32_e32 v29, v29, v36
	v_mul_f32_e32 v27, 0xbfb8aa3b, v11
	v_cmp_nlt_f32_e32 vcc_lo, 0x42ce8ed0, v11
	v_fma_f32 v30, 0xbfb8aa3b, v11, -v27
	v_rndne_f32_e32 v31, v27
	s_delay_alu instid0(VALU_DEP_2) | instskip(NEXT) | instid1(VALU_DEP_2)
	v_fmac_f32_e32 v30, 0xb2a5705f, v11
	v_sub_f32_e32 v27, v27, v31
	s_delay_alu instid0(VALU_DEP_1) | instskip(SKIP_2) | instid1(VALU_DEP_3)
	v_add_f32_e32 v27, v27, v30
	v_cvt_i32_f32_e32 v30, v31
	v_cvt_i32_f32_e32 v31, v36
	v_exp_f32_e32 v27, v27
	v_nop
	s_delay_alu instid0(TRANS32_DEP_1) | instskip(NEXT) | instid1(VALU_DEP_1)
	v_ldexp_f32 v27, v27, v30
	v_cndmask_b32_e32 v27, 0, v27, vcc_lo
	v_fmac_f32_e32 v35, 0xb2a5705f, v7
	v_cmp_nlt_f32_e32 vcc_lo, 0x42ce8ed0, v7
	s_delay_alu instid0(VALU_DEP_2) | instskip(NEXT) | instid1(VALU_DEP_1)
	v_add_f32_e32 v29, v29, v35
	v_exp_f32_e32 v29, v29
	v_nop
	s_delay_alu instid0(TRANS32_DEP_1) | instskip(NEXT) | instid1(VALU_DEP_1)
	v_ldexp_f32 v29, v29, v31
	v_cndmask_b32_e32 v29, 0, v29, vcc_lo
	v_cmp_ngt_f32_e32 vcc_lo, 0xc2b17218, v11
	v_cndmask_b32_e32 v31, 0x7f800000, v27, vcc_lo
	v_cmp_ngt_f32_e32 vcc_lo, 0xc2b17218, v7
	s_delay_alu instid0(VALU_DEP_4) | instskip(NEXT) | instid1(VALU_DEP_1)
	v_cndmask_b32_e32 v30, 0x7f800000, v29, vcc_lo
	v_pk_add_f32 v[30:31], v[30:31], 1.0 op_sel_hi:[1,0]
	s_delay_alu instid0(VALU_DEP_1) | instskip(NEXT) | instid1(VALU_DEP_2)
	v_div_scale_f32 v7, null, v31, v31, 1.0
	v_div_scale_f32 v11, null, v30, v30, 1.0
	v_div_scale_f32 v37, vcc_lo, 1.0, v31, 1.0
	s_delay_alu instid0(VALU_DEP_3) | instskip(NEXT) | instid1(VALU_DEP_2)
	v_rcp_f32_e32 v27, v7
	v_rcp_f32_e32 v29, v11
	s_delay_alu instid0(TRANS32_DEP_2) | instskip(NEXT) | instid1(TRANS32_DEP_1)
	v_fma_f32 v35, -v7, v27, 1.0
	v_fma_f32 v36, -v11, v29, 1.0
	s_delay_alu instid0(VALU_DEP_1) | instskip(SKIP_1) | instid1(VALU_DEP_2)
	v_dual_fmac_f32 v27, v35, v27 :: v_dual_fmac_f32 v29, v36, v29
	v_div_scale_f32 v35, s0, 1.0, v30, 1.0
	v_mul_f32_e32 v36, v37, v27
	s_delay_alu instid0(VALU_DEP_1) | instskip(NEXT) | instid1(VALU_DEP_1)
	v_fma_f32 v40, -v7, v36, v37
	v_dual_mul_f32 v39, v35, v29 :: v_dual_fmac_f32 v36, v40, v27
	s_delay_alu instid0(VALU_DEP_1) | instskip(NEXT) | instid1(VALU_DEP_1)
	v_fma_f32 v41, -v11, v39, v35
	v_dual_fma_f32 v7, -v7, v36, v37 :: v_dual_fmac_f32 v39, v41, v29
	s_delay_alu instid0(VALU_DEP_1) | instskip(NEXT) | instid1(VALU_DEP_2)
	v_div_fmas_f32 v7, v7, v27, v36
	v_fma_f32 v11, -v11, v39, v35
	s_mov_b32 vcc_lo, s0
	s_delay_alu instid0(VALU_DEP_2) | instskip(NEXT) | instid1(VALU_DEP_2)
	v_div_fixup_f32 v7, v7, v31, 1.0
	v_div_fmas_f32 v27, v11, v29, v39
	v_bfi_b32 v11, 0x7fffffff, v10, v6
	s_wait_loadcnt 0x0
	v_cvt_f32_f16_e32 v10, v26
	s_delay_alu instid0(VALU_DEP_3) | instskip(NEXT) | instid1(VALU_DEP_3)
	v_div_fixup_f32 v6, v27, v30, 1.0
	v_mul_f32_e32 v26, v7, v11
	s_delay_alu instid0(VALU_DEP_1) | instskip(NEXT) | instid1(VALU_DEP_1)
	v_pk_fma_f32 v[26:27], v[6:7], v[10:11], v[26:27] op_sel_hi:[1,1,0]
                                        ; implicit-def: $vgpr10
	v_cmp_ngt_f32_e64 s0, 0x3f200000, |v26|
	s_and_saveexec_b32 s2, s0
	s_delay_alu instid0(SALU_CYCLE_1)
	s_xor_b32 s0, exec_lo, s2
	s_cbranch_execz .LBB11_76
; %bb.75:                               ;   in Loop: Header=BB11_3 Depth=1
	v_add_f32_e64 v10, |v26|, |v26|
	s_delay_alu instid0(VALU_DEP_1) | instskip(SKIP_1) | instid1(VALU_DEP_2)
	v_mul_f32_e32 v27, 0x3fb8aa3b, v10
	v_cmp_ngt_f32_e32 vcc_lo, 0xc2ce8ed0, v10
	v_rndne_f32_e32 v29, v27
	v_fma_f32 v30, 0x3fb8aa3b, v10, -v27
	s_delay_alu instid0(VALU_DEP_1) | instskip(SKIP_1) | instid1(VALU_DEP_2)
	v_dual_sub_f32 v27, v27, v29 :: v_dual_fmac_f32 v30, 0x32a5705f, v10
	v_cvt_i32_f32_e32 v29, v29
	v_add_f32_e32 v27, v27, v30
	s_delay_alu instid0(VALU_DEP_1) | instskip(SKIP_1) | instid1(TRANS32_DEP_1)
	v_exp_f32_e32 v27, v27
	v_nop
	v_ldexp_f32 v27, v27, v29
	s_delay_alu instid0(VALU_DEP_1) | instskip(SKIP_1) | instid1(VALU_DEP_2)
	v_cndmask_b32_e32 v27, 0, v27, vcc_lo
	v_cmp_nlt_f32_e32 vcc_lo, 0x42b17218, v10
	v_cndmask_b32_e32 v10, 0x7f800000, v27, vcc_lo
	s_delay_alu instid0(VALU_DEP_1) | instskip(NEXT) | instid1(VALU_DEP_1)
	v_add_f32_e32 v10, 1.0, v10
	v_rcp_f32_e32 v10, v10
	v_nop
	s_delay_alu instid0(TRANS32_DEP_1)
	v_fma_f32 v10, v10, -2.0, 1.0
.LBB11_76:                              ;   in Loop: Header=BB11_3 Depth=1
	s_and_not1_saveexec_b32 s0, s0
	s_cbranch_execz .LBB11_2
; %bb.77:                               ;   in Loop: Header=BB11_3 Depth=1
	v_mul_f32_e32 v10, v26, v26
	s_delay_alu instid0(VALU_DEP_1) | instskip(NEXT) | instid1(VALU_DEP_1)
	v_fmaak_f32 v27, s33, v10, 0x3ca908c9
	v_fmaak_f32 v27, v10, v27, 0xbd5c1c4e
	s_delay_alu instid0(VALU_DEP_1) | instskip(NEXT) | instid1(VALU_DEP_1)
	v_fmaak_f32 v27, v10, v27, 0x3e088382
	v_fmaak_f32 v27, v10, v27, 0xbeaaaa99
	s_delay_alu instid0(VALU_DEP_1) | instskip(NEXT) | instid1(VALU_DEP_1)
	v_mul_f32_e64 v27, |v26|, v27
	v_fma_f32 v10, v10, v27, |v26|
	s_branch .LBB11_2
.LBB11_78:
	s_endpgm
	.section	.rodata,"a",@progbits
	.p2align	6, 0x0
	.amdhsa_kernel _ZN2at6native12_GLOBAL__N_16kernel17lstm_cell_forwardIN3c104HalfEflLi2EEEvNS_4cuda6detail10TensorInfoIT_T1_EESB_SB_SB_SB_SB_SB_SB_SA_SA_
		.amdhsa_group_segment_fixed_size 0
		.amdhsa_private_segment_fixed_size 0
		.amdhsa_kernarg_size 3600
		.amdhsa_user_sgpr_count 2
		.amdhsa_user_sgpr_dispatch_ptr 0
		.amdhsa_user_sgpr_queue_ptr 0
		.amdhsa_user_sgpr_kernarg_segment_ptr 1
		.amdhsa_user_sgpr_dispatch_id 0
		.amdhsa_user_sgpr_kernarg_preload_length 0
		.amdhsa_user_sgpr_kernarg_preload_offset 0
		.amdhsa_user_sgpr_private_segment_size 0
		.amdhsa_wavefront_size32 1
		.amdhsa_uses_dynamic_stack 0
		.amdhsa_enable_private_segment 0
		.amdhsa_system_sgpr_workgroup_id_x 1
		.amdhsa_system_sgpr_workgroup_id_y 0
		.amdhsa_system_sgpr_workgroup_id_z 0
		.amdhsa_system_sgpr_workgroup_info 0
		.amdhsa_system_vgpr_workitem_id 0
		.amdhsa_next_free_vgpr 52
		.amdhsa_next_free_sgpr 95
		.amdhsa_named_barrier_count 0
		.amdhsa_reserve_vcc 1
		.amdhsa_float_round_mode_32 0
		.amdhsa_float_round_mode_16_64 0
		.amdhsa_float_denorm_mode_32 3
		.amdhsa_float_denorm_mode_16_64 3
		.amdhsa_fp16_overflow 0
		.amdhsa_memory_ordered 1
		.amdhsa_forward_progress 1
		.amdhsa_inst_pref_size 117
		.amdhsa_round_robin_scheduling 0
		.amdhsa_exception_fp_ieee_invalid_op 0
		.amdhsa_exception_fp_denorm_src 0
		.amdhsa_exception_fp_ieee_div_zero 0
		.amdhsa_exception_fp_ieee_overflow 0
		.amdhsa_exception_fp_ieee_underflow 0
		.amdhsa_exception_fp_ieee_inexact 0
		.amdhsa_exception_int_div_zero 0
	.end_amdhsa_kernel
	.section	.text._ZN2at6native12_GLOBAL__N_16kernel17lstm_cell_forwardIN3c104HalfEflLi2EEEvNS_4cuda6detail10TensorInfoIT_T1_EESB_SB_SB_SB_SB_SB_SB_SA_SA_,"axG",@progbits,_ZN2at6native12_GLOBAL__N_16kernel17lstm_cell_forwardIN3c104HalfEflLi2EEEvNS_4cuda6detail10TensorInfoIT_T1_EESB_SB_SB_SB_SB_SB_SB_SA_SA_,comdat
.Lfunc_end11:
	.size	_ZN2at6native12_GLOBAL__N_16kernel17lstm_cell_forwardIN3c104HalfEflLi2EEEvNS_4cuda6detail10TensorInfoIT_T1_EESB_SB_SB_SB_SB_SB_SB_SA_SA_, .Lfunc_end11-_ZN2at6native12_GLOBAL__N_16kernel17lstm_cell_forwardIN3c104HalfEflLi2EEEvNS_4cuda6detail10TensorInfoIT_T1_EESB_SB_SB_SB_SB_SB_SB_SA_SA_
                                        ; -- End function
	.set _ZN2at6native12_GLOBAL__N_16kernel17lstm_cell_forwardIN3c104HalfEflLi2EEEvNS_4cuda6detail10TensorInfoIT_T1_EESB_SB_SB_SB_SB_SB_SB_SA_SA_.num_vgpr, 52
	.set _ZN2at6native12_GLOBAL__N_16kernel17lstm_cell_forwardIN3c104HalfEflLi2EEEvNS_4cuda6detail10TensorInfoIT_T1_EESB_SB_SB_SB_SB_SB_SB_SA_SA_.num_agpr, 0
	.set _ZN2at6native12_GLOBAL__N_16kernel17lstm_cell_forwardIN3c104HalfEflLi2EEEvNS_4cuda6detail10TensorInfoIT_T1_EESB_SB_SB_SB_SB_SB_SB_SA_SA_.numbered_sgpr, 95
	.set _ZN2at6native12_GLOBAL__N_16kernel17lstm_cell_forwardIN3c104HalfEflLi2EEEvNS_4cuda6detail10TensorInfoIT_T1_EESB_SB_SB_SB_SB_SB_SB_SA_SA_.num_named_barrier, 0
	.set _ZN2at6native12_GLOBAL__N_16kernel17lstm_cell_forwardIN3c104HalfEflLi2EEEvNS_4cuda6detail10TensorInfoIT_T1_EESB_SB_SB_SB_SB_SB_SB_SA_SA_.private_seg_size, 0
	.set _ZN2at6native12_GLOBAL__N_16kernel17lstm_cell_forwardIN3c104HalfEflLi2EEEvNS_4cuda6detail10TensorInfoIT_T1_EESB_SB_SB_SB_SB_SB_SB_SA_SA_.uses_vcc, 1
	.set _ZN2at6native12_GLOBAL__N_16kernel17lstm_cell_forwardIN3c104HalfEflLi2EEEvNS_4cuda6detail10TensorInfoIT_T1_EESB_SB_SB_SB_SB_SB_SB_SA_SA_.uses_flat_scratch, 0
	.set _ZN2at6native12_GLOBAL__N_16kernel17lstm_cell_forwardIN3c104HalfEflLi2EEEvNS_4cuda6detail10TensorInfoIT_T1_EESB_SB_SB_SB_SB_SB_SB_SA_SA_.has_dyn_sized_stack, 0
	.set _ZN2at6native12_GLOBAL__N_16kernel17lstm_cell_forwardIN3c104HalfEflLi2EEEvNS_4cuda6detail10TensorInfoIT_T1_EESB_SB_SB_SB_SB_SB_SB_SA_SA_.has_recursion, 0
	.set _ZN2at6native12_GLOBAL__N_16kernel17lstm_cell_forwardIN3c104HalfEflLi2EEEvNS_4cuda6detail10TensorInfoIT_T1_EESB_SB_SB_SB_SB_SB_SB_SA_SA_.has_indirect_call, 0
	.section	.AMDGPU.csdata,"",@progbits
; Kernel info:
; codeLenInByte = 14904
; TotalNumSgprs: 97
; NumVgprs: 52
; ScratchSize: 0
; MemoryBound: 0
; FloatMode: 240
; IeeeMode: 1
; LDSByteSize: 0 bytes/workgroup (compile time only)
; SGPRBlocks: 0
; VGPRBlocks: 3
; NumSGPRsForWavesPerEU: 97
; NumVGPRsForWavesPerEU: 52
; NamedBarCnt: 0
; Occupancy: 16
; WaveLimiterHint : 1
; COMPUTE_PGM_RSRC2:SCRATCH_EN: 0
; COMPUTE_PGM_RSRC2:USER_SGPR: 2
; COMPUTE_PGM_RSRC2:TRAP_HANDLER: 0
; COMPUTE_PGM_RSRC2:TGID_X_EN: 1
; COMPUTE_PGM_RSRC2:TGID_Y_EN: 0
; COMPUTE_PGM_RSRC2:TGID_Z_EN: 0
; COMPUTE_PGM_RSRC2:TIDIG_COMP_CNT: 0
	.section	.text._ZN2at6native12_GLOBAL__N_16kernel17lstm_cell_forwardIN3c108BFloat16EfiLi1EEEvNS_4cuda6detail10TensorInfoIT_T1_EESB_SB_SB_SB_SB_SB_SB_SA_SA_,"axG",@progbits,_ZN2at6native12_GLOBAL__N_16kernel17lstm_cell_forwardIN3c108BFloat16EfiLi1EEEvNS_4cuda6detail10TensorInfoIT_T1_EESB_SB_SB_SB_SB_SB_SB_SA_SA_,comdat
	.globl	_ZN2at6native12_GLOBAL__N_16kernel17lstm_cell_forwardIN3c108BFloat16EfiLi1EEEvNS_4cuda6detail10TensorInfoIT_T1_EESB_SB_SB_SB_SB_SB_SB_SA_SA_ ; -- Begin function _ZN2at6native12_GLOBAL__N_16kernel17lstm_cell_forwardIN3c108BFloat16EfiLi1EEEvNS_4cuda6detail10TensorInfoIT_T1_EESB_SB_SB_SB_SB_SB_SB_SA_SA_
	.p2align	8
	.type	_ZN2at6native12_GLOBAL__N_16kernel17lstm_cell_forwardIN3c108BFloat16EfiLi1EEEvNS_4cuda6detail10TensorInfoIT_T1_EESB_SB_SB_SB_SB_SB_SB_SA_SA_,@function
_ZN2at6native12_GLOBAL__N_16kernel17lstm_cell_forwardIN3c108BFloat16EfiLi1EEEvNS_4cuda6detail10TensorInfoIT_T1_EESB_SB_SB_SB_SB_SB_SB_SA_SA_: ; @_ZN2at6native12_GLOBAL__N_16kernel17lstm_cell_forwardIN3c108BFloat16EfiLi1EEEvNS_4cuda6detail10TensorInfoIT_T1_EESB_SB_SB_SB_SB_SB_SB_SA_SA_
; %bb.0:
	s_clause 0x1
	s_load_b32 s4, s[0:1], 0x6d4
	s_load_b64 s[2:3], s[0:1], 0x6c0
	s_bfe_u32 s5, ttmp6, 0x4000c
	s_and_b32 s6, ttmp6, 15
	s_add_co_i32 s5, s5, 1
	s_getreg_b32 s7, hwreg(HW_REG_IB_STS2, 6, 4)
	s_mul_i32 s5, ttmp9, s5
	s_delay_alu instid0(SALU_CYCLE_1)
	s_add_co_i32 s6, s6, s5
	s_wait_kmcnt 0x0
	s_and_b32 s4, s4, 0xffff
	s_cmp_eq_u32 s7, 0
	s_cselect_b32 s5, ttmp9, s6
	s_mov_b32 s6, exec_lo
	v_mad_u32 v12, s5, s4, v0
	s_mov_b32 s5, 0
	s_delay_alu instid0(VALU_DEP_1)
	v_cmpx_gt_i32_e64 s3, v12
	s_cbranch_execz .LBB12_13
; %bb.1:
	s_clause 0x6
	s_load_b64 s[6:7], s[0:1], 0x1b0
	s_load_b32 s36, s[0:1], 0x57c
	s_load_b32 s22, s[0:1], 0x21c
	s_load_b64 s[8:9], s[0:1], 0x288
	s_load_b32 s23, s[0:1], 0x2f4
	s_load_b32 s34, s[0:1], 0x3cc
	;; [unrolled: 1-line block ×3, first 2 shown]
	s_add_nc_u64 s[10:11], s[0:1], 0x6c8
	v_mov_b32_e32 v1, 0
	s_load_b32 s30, s[10:11], 0x0
	s_wait_xcnt 0x0
	s_clause 0x1
	s_load_b64 s[10:11], s[0:1], 0x360
	s_load_b64 s[12:13], s[0:1], 0x438
	s_mov_b32 s29, 0xbbbac73d
	s_mov_b32 s37, s5
	s_wait_kmcnt 0x0
	s_cmp_lg_u64 s[6:7], 0
	v_mul_lo_u32 v13, v12, s34
	s_cselect_b32 s24, -1, 0
	s_abs_i32 s25, s2
	v_mul_lo_u32 v14, v12, s35
	s_cvt_f32_u32 s14, s25
	v_mul_lo_u32 v15, v12, s36
	s_mul_i32 s30, s30, s4
	s_sub_co_i32 s4, 0, s25
	v_rcp_iflag_f32_e32 v0, s14
	s_clause 0x6
	s_load_b64 s[14:15], s[0:1], 0x0
	s_load_b32 s26, s[0:1], 0x6c
	s_load_b64 s[16:17], s[0:1], 0xd8
	s_load_b32 s27, s[0:1], 0x144
	s_load_b64 s[18:19], s[0:1], 0x510
	s_load_b64 s[20:21], s[0:1], 0x5e8
	s_load_b32 s28, s[0:1], 0x654
	s_wait_xcnt 0x0
	s_mul_i32 s1, s2, 3
	s_ashr_i32 s31, s2, 31
	s_sub_co_i32 s33, 0, s2
	s_mul_i32 s34, s30, s34
	s_mul_i32 s35, s30, s35
	v_nop
	v_readfirstlane_b32 s0, v0
	s_mul_i32 s36, s30, s36
	s_mul_f32 s0, s0, 0x4f7ffffe
	s_delay_alu instid0(SALU_CYCLE_3) | instskip(NEXT) | instid1(SALU_CYCLE_3)
	s_cvt_u32_f32 s0, s0
	s_mul_i32 s4, s4, s0
	s_delay_alu instid0(SALU_CYCLE_1) | instskip(NEXT) | instid1(SALU_CYCLE_1)
	s_mul_hi_u32 s4, s0, s4
	s_add_co_i32 s4, s0, s4
	s_branch .LBB12_3
.LBB12_2:                               ;   in Loop: Header=BB12_3 Depth=1
	s_or_b32 exec_lo, exec_lo, s0
	v_dual_lshlrev_b32 v4, 16, v19 :: v_dual_lshlrev_b32 v6, 16, v20
	s_delay_alu instid0(VALU_DEP_2)
	v_bfi_b32 v2, 0x7fffffff, v2, v10
	v_cmp_o_f32_e64 s0, v10, v10
	v_mul_lo_u32 v17, v17, s28
	v_dual_add_nc_u32 v12, s30, v12 :: v_dual_add_nc_u32 v13, s34, v13
	v_add_f32_e32 v4, v4, v6
	v_mul_lo_u32 v18, v18, s28
	v_mul_lo_u32 v16, v16, s28
	;; [unrolled: 1-line block ×3, first 2 shown]
	s_delay_alu instid0(VALU_DEP_4) | instskip(NEXT) | instid1(VALU_DEP_1)
	v_add_f32_e32 v4, v4, v5
	v_add_f32_e32 v3, v3, v4
	s_delay_alu instid0(VALU_DEP_1) | instskip(NEXT) | instid1(VALU_DEP_1)
	v_mul_f32_e32 v4, 0xbfb8aa3b, v3
	v_fma_f32 v5, 0xbfb8aa3b, v3, -v4
	v_rndne_f32_e32 v6, v4
	s_delay_alu instid0(VALU_DEP_1) | instskip(SKIP_1) | instid1(VALU_DEP_2)
	v_dual_sub_f32 v4, v4, v6 :: v_dual_fmac_f32 v5, 0xb2a5705f, v3
	v_cmp_nlt_f32_e32 vcc_lo, 0x42ce8ed0, v3
	v_add_f32_e32 v4, v4, v5
	v_cvt_i32_f32_e32 v5, v6
	s_delay_alu instid0(VALU_DEP_2) | instskip(SKIP_1) | instid1(TRANS32_DEP_1)
	v_exp_f32_e32 v4, v4
	v_nop
	v_ldexp_f32 v4, v4, v5
	s_delay_alu instid0(VALU_DEP_1) | instskip(SKIP_1) | instid1(VALU_DEP_2)
	v_cndmask_b32_e32 v4, 0, v4, vcc_lo
	v_cmp_ngt_f32_e32 vcc_lo, 0xc2b17218, v3
	v_cndmask_b32_e32 v3, 0x7f800000, v4, vcc_lo
	s_delay_alu instid0(VALU_DEP_1) | instskip(NEXT) | instid1(VALU_DEP_1)
	v_add_f32_e32 v3, 1.0, v3
	v_div_scale_f32 v4, null, v3, v3, 1.0
	v_div_scale_f32 v11, vcc_lo, 1.0, v3, 1.0
	s_delay_alu instid0(VALU_DEP_2) | instskip(SKIP_1) | instid1(TRANS32_DEP_1)
	v_rcp_f32_e32 v5, v4
	v_nop
	v_fma_f32 v6, -v4, v5, 1.0
	s_delay_alu instid0(VALU_DEP_1) | instskip(NEXT) | instid1(VALU_DEP_1)
	v_fmac_f32_e32 v5, v6, v5
	v_mul_f32_e32 v6, v11, v5
	s_delay_alu instid0(VALU_DEP_1) | instskip(NEXT) | instid1(VALU_DEP_1)
	v_fma_f32 v19, -v4, v6, v11
	v_fmac_f32_e32 v6, v19, v5
	v_bfe_u32 v19, v7, 16, 1
	s_delay_alu instid0(VALU_DEP_2) | instskip(SKIP_1) | instid1(VALU_DEP_2)
	v_fma_f32 v4, -v4, v6, v11
	v_bfe_u32 v11, v8, 16, 1
	v_div_fmas_f32 v4, v4, v5, v6
	v_bfe_u32 v5, v10, 16, 1
	v_bfe_u32 v6, v9, 16, 1
	v_cmp_le_i32_e32 vcc_lo, s3, v12
	s_delay_alu instid0(VALU_DEP_4) | instskip(NEXT) | instid1(VALU_DEP_4)
	v_div_fixup_f32 v3, v4, v3, 1.0
	v_add3_u32 v4, v10, v5, 0x7fff
	s_delay_alu instid0(VALU_DEP_4) | instskip(SKIP_2) | instid1(VALU_DEP_4)
	v_add3_u32 v5, v9, v6, 0x7fff
	v_add3_u32 v6, v8, v11, 0x7fff
	;; [unrolled: 1-line block ×3, first 2 shown]
	v_dual_mul_f32 v2, v3, v2 :: v_dual_lshrrev_b32 v4, 16, v4
	s_delay_alu instid0(VALU_DEP_3) | instskip(NEXT) | instid1(VALU_DEP_3)
	v_dual_lshrrev_b32 v5, 16, v5 :: v_dual_lshrrev_b32 v6, 16, v6
	v_lshrrev_b32_e32 v11, 16, v11
	s_delay_alu instid0(VALU_DEP_3) | instskip(NEXT) | instid1(VALU_DEP_4)
	v_bfe_u32 v19, v2, 16, 1
	v_cndmask_b32_e64 v4, 0x7fc0, v4, s0
	v_cmp_o_f32_e64 s0, v9, v9
	v_bfe_u32 v20, v3, 16, 1
	s_or_b32 s37, vcc_lo, s37
	v_add3_u32 v19, v2, v19, 0x7fff
	v_cndmask_b32_e64 v5, 0x7fc0, v5, s0
	v_cmp_o_f32_e64 s0, v8, v8
	v_add3_u32 v10, v3, v20, 0x7fff
	s_delay_alu instid0(VALU_DEP_4) | instskip(NEXT) | instid1(VALU_DEP_3)
	v_lshrrev_b32_e32 v9, 16, v19
	v_cndmask_b32_e64 v6, 0x7fc0, v6, s0
	v_cmp_o_f32_e64 s0, v2, v2
	s_delay_alu instid0(VALU_DEP_4) | instskip(NEXT) | instid1(VALU_DEP_2)
	v_lshrrev_b32_e32 v8, 16, v10
	v_cndmask_b32_e64 v2, 0x7fc0, v9, s0
	v_cmp_o_f32_e64 s0, v7, v7
	global_store_b16 v14, v2, s[12:13] scale_offset
	global_store_b16 v15, v4, s[18:19] scale_offset
	;; [unrolled: 1-line block ×3, first 2 shown]
	v_cndmask_b32_e64 v7, 0x7fc0, v11, s0
	v_cmp_o_f32_e64 s0, v3, v3
	s_wait_xcnt 0x1
	v_dual_add_nc_u32 v14, s35, v14 :: v_dual_add_nc_u32 v15, s36, v15
	global_store_b16 v18, v6, s[20:21] scale_offset
	v_cndmask_b32_e64 v3, 0x7fc0, v8, s0
	s_clause 0x1
	global_store_b16 v16, v7, s[20:21] scale_offset
	global_store_b16 v0, v3, s[20:21] scale_offset
	s_wait_xcnt 0x0
	s_and_not1_b32 exec_lo, exec_lo, s37
	s_cbranch_execz .LBB12_13
.LBB12_3:                               ; =>This Inner Loop Header: Depth=1
	v_sub_nc_u32_e32 v0, 0, v12
	s_delay_alu instid0(VALU_DEP_1) | instskip(NEXT) | instid1(VALU_DEP_1)
	v_max_i32_e32 v0, v12, v0
	v_mul_u64_e32 v[2:3], s[4:5], v[0:1]
	s_delay_alu instid0(VALU_DEP_1) | instskip(NEXT) | instid1(VALU_DEP_1)
	v_mul_lo_u32 v2, v3, s25
	v_dual_sub_nc_u32 v0, v0, v2 :: v_dual_add_nc_u32 v2, 1, v3
	s_delay_alu instid0(VALU_DEP_1) | instskip(NEXT) | instid1(VALU_DEP_2)
	v_cmp_le_u32_e32 vcc_lo, s25, v0
	v_dual_cndmask_b32 v2, v3, v2 :: v_dual_ashrrev_i32 v3, 31, v12
	v_subrev_nc_u32_e32 v4, s25, v0
	s_delay_alu instid0(VALU_DEP_1) | instskip(NEXT) | instid1(VALU_DEP_1)
	v_dual_cndmask_b32 v0, v0, v4, vcc_lo :: v_dual_add_nc_u32 v4, 1, v2
	v_cmp_le_u32_e32 vcc_lo, s25, v0
	s_delay_alu instid0(VALU_DEP_2) | instskip(SKIP_1) | instid1(VALU_DEP_1)
	v_dual_cndmask_b32 v0, v2, v4, vcc_lo :: v_dual_bitop2_b32 v26, s31, v3 bitop3:0x14
	s_and_not1_b32 vcc_lo, exec_lo, s24
	v_xor_b32_e32 v27, v0, v26
	v_mul_i32_i24_e32 v0, 3, v26
	s_delay_alu instid0(VALU_DEP_2) | instskip(NEXT) | instid1(VALU_DEP_1)
	v_lshl_add_u32 v2, v27, 1, v27
	v_dual_sub_nc_u32 v0, v2, v0 :: v_dual_sub_nc_u32 v28, v27, v26
	s_delay_alu instid0(VALU_DEP_1) | instskip(SKIP_2) | instid1(VALU_DEP_4)
	v_add_nc_u32_e32 v3, 2, v0
	v_mul_lo_u32 v2, s2, v0
	v_add_nc_u32_e32 v0, 3, v0
	v_mad_u32 v17, s1, v28, v12
	s_delay_alu instid0(VALU_DEP_4) | instskip(NEXT) | instid1(VALU_DEP_3)
	v_mad_u32 v16, s2, v3, v12
	v_mad_u32 v0, s2, v0, v12
	v_add3_u32 v18, v2, s2, v12
	s_wait_kmcnt 0x0
	s_delay_alu instid0(VALU_DEP_4)
	v_mul_lo_u32 v2, v17, s26
	v_mul_lo_u32 v22, v17, s27
	;; [unrolled: 1-line block ×8, first 2 shown]
	s_clause 0x3
	global_load_u16 v11, v2, s[14:15] scale_offset
	global_load_u16 v8, v3, s[14:15] scale_offset
	;; [unrolled: 1-line block ×4, first 2 shown]
	s_clause 0x3
	global_load_u16 v21, v22, s[16:17] scale_offset
	global_load_u16 v9, v23, s[16:17] scale_offset
	;; [unrolled: 1-line block ×5, first 2 shown]
	s_wait_xcnt 0x7
	v_dual_mov_b32 v2, 0 :: v_dual_mov_b32 v3, 0
	s_wait_xcnt 0x3
	v_dual_mov_b32 v22, 0 :: v_dual_mov_b32 v23, 0
	v_dual_mov_b32 v4, 0 :: v_dual_mov_b32 v5, 0
	s_wait_xcnt 0x1
	v_dual_mov_b32 v24, 0 :: v_dual_mov_b32 v25, 0
	s_cbranch_vccnz .LBB12_5
; %bb.4:                                ;   in Loop: Header=BB12_3 Depth=1
	v_sub_nc_u32_e32 v2, v26, v27
	v_mad_u32 v5, s33, v28, v12
	s_delay_alu instid0(VALU_DEP_2) | instskip(SKIP_1) | instid1(VALU_DEP_1)
	v_mul_lo_u32 v3, s2, v2
	v_dual_add_nc_u32 v4, 2, v2 :: v_dual_add_nc_u32 v2, 3, v2
	v_mad_u32 v4, s2, v4, v12
	s_delay_alu instid0(VALU_DEP_2) | instskip(SKIP_3) | instid1(VALU_DEP_1)
	v_mad_u32 v2, s2, v2, v12
	v_mul_lo_u32 v22, v5, s22
	v_mul_lo_u32 v5, v5, s23
	v_add3_u32 v3, v3, s2, v12
	v_mul_lo_u32 v23, v3, s22
	v_mul_lo_u32 v3, v3, s23
	v_mul_lo_u32 v24, v4, s22
	v_mul_lo_u32 v25, v2, s22
	v_mul_lo_u32 v4, v4, s23
	v_mul_lo_u32 v2, v2, s23
	global_load_u16 v26, v22, s[6:7] scale_offset
	global_load_u16 v27, v5, s[8:9] scale_offset
	;; [unrolled: 1-line block ×4, first 2 shown]
	s_clause 0x1
	global_load_u16 v30, v24, s[6:7] scale_offset
	global_load_u16 v31, v25, s[6:7] scale_offset
	s_clause 0x1
	global_load_u16 v32, v4, s[8:9] scale_offset
	global_load_u16 v33, v2, s[8:9] scale_offset
	s_wait_loadcnt 0x6
	s_wait_xcnt 0x2
	v_dual_lshlrev_b32 v25, 16, v26 :: v_dual_lshlrev_b32 v23, 16, v27
	s_wait_loadcnt 0x4
	v_dual_lshlrev_b32 v24, 16, v28 :: v_dual_lshlrev_b32 v22, 16, v29
	s_wait_loadcnt 0x2
	s_wait_xcnt 0x1
	v_dual_lshlrev_b32 v4, 16, v30 :: v_dual_lshlrev_b32 v5, 16, v31
	s_wait_loadcnt 0x0
	s_wait_xcnt 0x0
	v_dual_lshlrev_b32 v2, 16, v32 :: v_dual_lshlrev_b32 v3, 16, v33
.LBB12_5:                               ;   in Loop: Header=BB12_3 Depth=1
	s_wait_loadcnt 0x2
	v_dual_lshlrev_b32 v7, 16, v7 :: v_dual_lshlrev_b32 v6, 16, v6
	s_delay_alu instid0(VALU_DEP_1) | instskip(NEXT) | instid1(VALU_DEP_1)
	v_mov_b32_e32 v26, v7
	v_pk_add_f32 v[6:7], v[26:27], v[6:7]
	s_delay_alu instid0(VALU_DEP_1) | instskip(NEXT) | instid1(VALU_DEP_1)
	v_pk_add_f32 v[6:7], v[6:7], v[4:5]
	v_pk_add_f32 v[6:7], v[2:3], v[6:7]
                                        ; implicit-def: $vgpr2
	s_delay_alu instid0(VALU_DEP_1) | instskip(SKIP_2) | instid1(SALU_CYCLE_1)
	v_cmp_ngt_f32_e64 s0, 0x3f200000, |v6|
	s_wait_xcnt 0x0
	s_and_saveexec_b32 s38, s0
	s_xor_b32 s0, exec_lo, s38
	s_cbranch_execz .LBB12_7
; %bb.6:                                ;   in Loop: Header=BB12_3 Depth=1
	v_add_f32_e64 v2, |v6|, |v6|
	s_delay_alu instid0(VALU_DEP_1) | instskip(SKIP_1) | instid1(VALU_DEP_2)
	v_mul_f32_e32 v4, 0x3fb8aa3b, v2
	v_cmp_ngt_f32_e32 vcc_lo, 0xc2ce8ed0, v2
	v_rndne_f32_e32 v7, v4
	v_fma_f32 v26, 0x3fb8aa3b, v2, -v4
	s_delay_alu instid0(VALU_DEP_2) | instskip(NEXT) | instid1(VALU_DEP_2)
	v_sub_f32_e32 v4, v4, v7
	v_fmac_f32_e32 v26, 0x32a5705f, v2
	v_cvt_i32_f32_e32 v7, v7
	s_delay_alu instid0(VALU_DEP_2) | instskip(NEXT) | instid1(VALU_DEP_1)
	v_add_f32_e32 v4, v4, v26
	v_exp_f32_e32 v4, v4
	v_nop
	s_delay_alu instid0(TRANS32_DEP_1) | instskip(NEXT) | instid1(VALU_DEP_1)
	v_ldexp_f32 v4, v4, v7
	v_cndmask_b32_e32 v4, 0, v4, vcc_lo
	v_cmp_nlt_f32_e32 vcc_lo, 0x42b17218, v2
	s_delay_alu instid0(VALU_DEP_2) | instskip(NEXT) | instid1(VALU_DEP_1)
	v_cndmask_b32_e32 v2, 0x7f800000, v4, vcc_lo
	v_add_f32_e32 v2, 1.0, v2
	s_delay_alu instid0(VALU_DEP_1) | instskip(SKIP_1) | instid1(TRANS32_DEP_1)
	v_rcp_f32_e32 v2, v2
	v_nop
	v_fma_f32 v2, v2, -2.0, 1.0
.LBB12_7:                               ;   in Loop: Header=BB12_3 Depth=1
	s_and_not1_saveexec_b32 s0, s0
	s_cbranch_execz .LBB12_9
; %bb.8:                                ;   in Loop: Header=BB12_3 Depth=1
	v_mul_f32_e32 v2, v6, v6
	s_delay_alu instid0(VALU_DEP_1) | instskip(NEXT) | instid1(VALU_DEP_1)
	v_fmaak_f32 v4, s29, v2, 0x3ca908c9
	v_fmaak_f32 v4, v2, v4, 0xbd5c1c4e
	s_delay_alu instid0(VALU_DEP_1) | instskip(NEXT) | instid1(VALU_DEP_1)
	v_fmaak_f32 v4, v2, v4, 0x3e088382
	v_fmaak_f32 v4, v2, v4, 0xbeaaaa99
	s_delay_alu instid0(VALU_DEP_1) | instskip(NEXT) | instid1(VALU_DEP_1)
	v_mul_f32_e64 v4, |v6|, v4
	v_fma_f32 v2, v2, v4, |v6|
.LBB12_9:                               ;   in Loop: Header=BB12_3 Depth=1
	s_or_b32 exec_lo, exec_lo, s0
	v_dual_lshlrev_b32 v4, 16, v11 :: v_dual_lshlrev_b32 v7, 16, v21
	v_dual_lshlrev_b32 v8, 16, v8 :: v_dual_lshlrev_b32 v9, 16, v9
	s_delay_alu instid0(VALU_DEP_2) | instskip(NEXT) | instid1(VALU_DEP_2)
	v_add_f32_e32 v4, v7, v4
	v_add_f32_e32 v7, v9, v8
	s_delay_alu instid0(VALU_DEP_1) | instskip(NEXT) | instid1(VALU_DEP_1)
	v_add_f32_e32 v7, v7, v24
	v_dual_add_f32 v7, v22, v7 :: v_dual_add_f32 v4, v4, v25
	s_delay_alu instid0(VALU_DEP_1) | instskip(NEXT) | instid1(VALU_DEP_1)
	v_dual_mul_f32 v9, 0xbfb8aa3b, v7 :: v_dual_add_f32 v4, v23, v4
	v_rndne_f32_e32 v23, v9
	s_delay_alu instid0(VALU_DEP_2) | instskip(SKIP_2) | instid1(VALU_DEP_4)
	v_mul_f32_e32 v8, 0xbfb8aa3b, v4
	v_fma_f32 v22, 0xbfb8aa3b, v7, -v9
	v_cmp_nlt_f32_e32 vcc_lo, 0x42ce8ed0, v4
	v_sub_f32_e32 v9, v9, v23
	s_delay_alu instid0(VALU_DEP_4) | instskip(SKIP_1) | instid1(VALU_DEP_2)
	v_fma_f32 v11, 0xbfb8aa3b, v4, -v8
	v_rndne_f32_e32 v21, v8
	v_dual_fmac_f32 v22, 0xb2a5705f, v7 :: v_dual_fmac_f32 v11, 0xb2a5705f, v4
	s_delay_alu instid0(VALU_DEP_1) | instskip(NEXT) | instid1(VALU_DEP_1)
	v_dual_sub_f32 v8, v8, v21 :: v_dual_add_f32 v9, v9, v22
	v_add_f32_e32 v8, v8, v11
	v_cvt_i32_f32_e32 v11, v21
	s_delay_alu instid0(VALU_DEP_3) | instskip(SKIP_1) | instid1(VALU_DEP_3)
	v_exp_f32_e32 v9, v9
	v_cvt_i32_f32_e32 v21, v23
	v_exp_f32_e32 v8, v8
	s_delay_alu instid0(TRANS32_DEP_2) | instid1(VALU_DEP_1)
	v_ldexp_f32 v9, v9, v21
	s_delay_alu instid0(TRANS32_DEP_1) | instskip(NEXT) | instid1(VALU_DEP_1)
	v_ldexp_f32 v8, v8, v11
	v_cndmask_b32_e32 v8, 0, v8, vcc_lo
	v_cmp_nlt_f32_e32 vcc_lo, 0x42ce8ed0, v7
	s_delay_alu instid0(VALU_DEP_4) | instskip(SKIP_1) | instid1(VALU_DEP_4)
	v_cndmask_b32_e32 v11, 0, v9, vcc_lo
	v_cmp_ngt_f32_e32 vcc_lo, 0xc2b17218, v4
	v_cndmask_b32_e32 v9, 0x7f800000, v8, vcc_lo
	v_cmp_ngt_f32_e32 vcc_lo, 0xc2b17218, v7
	s_delay_alu instid0(VALU_DEP_4) | instskip(NEXT) | instid1(VALU_DEP_1)
	v_cndmask_b32_e32 v8, 0x7f800000, v11, vcc_lo
	v_pk_add_f32 v[8:9], v[8:9], 1.0 op_sel_hi:[1,0]
	s_delay_alu instid0(VALU_DEP_1) | instskip(NEXT) | instid1(VALU_DEP_2)
	v_div_scale_f32 v4, null, v9, v9, 1.0
	v_div_scale_f32 v7, null, v8, v8, 1.0
	v_div_scale_f32 v24, vcc_lo, 1.0, v9, 1.0
	s_delay_alu instid0(VALU_DEP_3) | instskip(NEXT) | instid1(VALU_DEP_2)
	v_rcp_f32_e32 v11, v4
	v_rcp_f32_e32 v21, v7
	s_delay_alu instid0(TRANS32_DEP_2) | instskip(NEXT) | instid1(TRANS32_DEP_1)
	v_fma_f32 v22, -v4, v11, 1.0
	v_fma_f32 v23, -v7, v21, 1.0
	s_delay_alu instid0(VALU_DEP_2) | instskip(SKIP_1) | instid1(VALU_DEP_2)
	v_fmac_f32_e32 v11, v22, v11
	v_div_scale_f32 v22, s0, 1.0, v8, 1.0
	v_dual_fmac_f32 v21, v23, v21 :: v_dual_mul_f32 v23, v24, v11
	s_delay_alu instid0(VALU_DEP_1) | instskip(NEXT) | instid1(VALU_DEP_1)
	v_dual_mul_f32 v25, v22, v21 :: v_dual_fma_f32 v26, -v4, v23, v24
	v_dual_fma_f32 v27, -v7, v25, v22 :: v_dual_fmac_f32 v23, v26, v11
	s_delay_alu instid0(VALU_DEP_1) | instskip(NEXT) | instid1(VALU_DEP_1)
	v_dual_fmac_f32 v25, v27, v21 :: v_dual_fma_f32 v4, -v4, v23, v24
	v_fma_f32 v7, -v7, v25, v22
	s_delay_alu instid0(VALU_DEP_2) | instskip(SKIP_1) | instid1(VALU_DEP_2)
	v_div_fmas_f32 v4, v4, v11, v23
	s_mov_b32 vcc_lo, s0
	v_div_fmas_f32 v11, v7, v21, v25
	v_bfi_b32 v7, 0x7fffffff, v2, v6
	s_delay_alu instid0(VALU_DEP_3) | instskip(SKIP_3) | instid1(VALU_DEP_3)
	v_div_fixup_f32 v9, v4, v9, 1.0
	s_wait_loadcnt 0x0
	v_lshlrev_b32_e32 v6, 16, v10
	v_div_fixup_f32 v8, v11, v8, 1.0
	v_mul_f32_e32 v2, v9, v7
	s_delay_alu instid0(VALU_DEP_1) | instskip(NEXT) | instid1(VALU_DEP_1)
	v_pk_fma_f32 v[10:11], v[8:9], v[6:7], v[2:3] op_sel_hi:[1,1,0]
                                        ; implicit-def: $vgpr2
	v_cmp_ngt_f32_e64 s0, 0x3f200000, |v10|
	s_and_saveexec_b32 s38, s0
	s_delay_alu instid0(SALU_CYCLE_1)
	s_xor_b32 s0, exec_lo, s38
	s_cbranch_execz .LBB12_11
; %bb.10:                               ;   in Loop: Header=BB12_3 Depth=1
	v_add_f32_e64 v2, |v10|, |v10|
	s_delay_alu instid0(VALU_DEP_1) | instskip(SKIP_1) | instid1(VALU_DEP_2)
	v_mul_f32_e32 v4, 0x3fb8aa3b, v2
	v_cmp_ngt_f32_e32 vcc_lo, 0xc2ce8ed0, v2
	v_rndne_f32_e32 v6, v4
	v_fma_f32 v11, 0x3fb8aa3b, v2, -v4
	s_delay_alu instid0(VALU_DEP_2) | instskip(NEXT) | instid1(VALU_DEP_2)
	v_sub_f32_e32 v4, v4, v6
	v_fmac_f32_e32 v11, 0x32a5705f, v2
	v_cvt_i32_f32_e32 v6, v6
	s_delay_alu instid0(VALU_DEP_2) | instskip(NEXT) | instid1(VALU_DEP_1)
	v_add_f32_e32 v4, v4, v11
	v_exp_f32_e32 v4, v4
	v_nop
	s_delay_alu instid0(TRANS32_DEP_1) | instskip(NEXT) | instid1(VALU_DEP_1)
	v_ldexp_f32 v4, v4, v6
	v_cndmask_b32_e32 v4, 0, v4, vcc_lo
	v_cmp_nlt_f32_e32 vcc_lo, 0x42b17218, v2
	s_delay_alu instid0(VALU_DEP_2) | instskip(NEXT) | instid1(VALU_DEP_1)
	v_cndmask_b32_e32 v2, 0x7f800000, v4, vcc_lo
	v_add_f32_e32 v2, 1.0, v2
	s_delay_alu instid0(VALU_DEP_1) | instskip(SKIP_1) | instid1(TRANS32_DEP_1)
	v_rcp_f32_e32 v2, v2
	v_nop
	v_fma_f32 v2, v2, -2.0, 1.0
.LBB12_11:                              ;   in Loop: Header=BB12_3 Depth=1
	s_and_not1_saveexec_b32 s0, s0
	s_cbranch_execz .LBB12_2
; %bb.12:                               ;   in Loop: Header=BB12_3 Depth=1
	v_mul_f32_e32 v2, v10, v10
	s_delay_alu instid0(VALU_DEP_1) | instskip(NEXT) | instid1(VALU_DEP_1)
	v_fmaak_f32 v4, s29, v2, 0x3ca908c9
	v_fmaak_f32 v4, v2, v4, 0xbd5c1c4e
	s_delay_alu instid0(VALU_DEP_1) | instskip(NEXT) | instid1(VALU_DEP_1)
	v_fmaak_f32 v4, v2, v4, 0x3e088382
	v_fmaak_f32 v4, v2, v4, 0xbeaaaa99
	s_delay_alu instid0(VALU_DEP_1) | instskip(NEXT) | instid1(VALU_DEP_1)
	v_mul_f32_e64 v4, |v10|, v4
	v_fma_f32 v2, v2, v4, |v10|
	s_branch .LBB12_2
.LBB12_13:
	s_endpgm
	.section	.rodata,"a",@progbits
	.p2align	6, 0x0
	.amdhsa_kernel _ZN2at6native12_GLOBAL__N_16kernel17lstm_cell_forwardIN3c108BFloat16EfiLi1EEEvNS_4cuda6detail10TensorInfoIT_T1_EESB_SB_SB_SB_SB_SB_SB_SA_SA_
		.amdhsa_group_segment_fixed_size 0
		.amdhsa_private_segment_fixed_size 0
		.amdhsa_kernarg_size 1992
		.amdhsa_user_sgpr_count 2
		.amdhsa_user_sgpr_dispatch_ptr 0
		.amdhsa_user_sgpr_queue_ptr 0
		.amdhsa_user_sgpr_kernarg_segment_ptr 1
		.amdhsa_user_sgpr_dispatch_id 0
		.amdhsa_user_sgpr_kernarg_preload_length 0
		.amdhsa_user_sgpr_kernarg_preload_offset 0
		.amdhsa_user_sgpr_private_segment_size 0
		.amdhsa_wavefront_size32 1
		.amdhsa_uses_dynamic_stack 0
		.amdhsa_enable_private_segment 0
		.amdhsa_system_sgpr_workgroup_id_x 1
		.amdhsa_system_sgpr_workgroup_id_y 0
		.amdhsa_system_sgpr_workgroup_id_z 0
		.amdhsa_system_sgpr_workgroup_info 0
		.amdhsa_system_vgpr_workitem_id 0
		.amdhsa_next_free_vgpr 34
		.amdhsa_next_free_sgpr 39
		.amdhsa_named_barrier_count 0
		.amdhsa_reserve_vcc 1
		.amdhsa_float_round_mode_32 0
		.amdhsa_float_round_mode_16_64 0
		.amdhsa_float_denorm_mode_32 3
		.amdhsa_float_denorm_mode_16_64 3
		.amdhsa_fp16_overflow 0
		.amdhsa_memory_ordered 1
		.amdhsa_forward_progress 1
		.amdhsa_inst_pref_size 23
		.amdhsa_round_robin_scheduling 0
		.amdhsa_exception_fp_ieee_invalid_op 0
		.amdhsa_exception_fp_denorm_src 0
		.amdhsa_exception_fp_ieee_div_zero 0
		.amdhsa_exception_fp_ieee_overflow 0
		.amdhsa_exception_fp_ieee_underflow 0
		.amdhsa_exception_fp_ieee_inexact 0
		.amdhsa_exception_int_div_zero 0
	.end_amdhsa_kernel
	.section	.text._ZN2at6native12_GLOBAL__N_16kernel17lstm_cell_forwardIN3c108BFloat16EfiLi1EEEvNS_4cuda6detail10TensorInfoIT_T1_EESB_SB_SB_SB_SB_SB_SB_SA_SA_,"axG",@progbits,_ZN2at6native12_GLOBAL__N_16kernel17lstm_cell_forwardIN3c108BFloat16EfiLi1EEEvNS_4cuda6detail10TensorInfoIT_T1_EESB_SB_SB_SB_SB_SB_SB_SA_SA_,comdat
.Lfunc_end12:
	.size	_ZN2at6native12_GLOBAL__N_16kernel17lstm_cell_forwardIN3c108BFloat16EfiLi1EEEvNS_4cuda6detail10TensorInfoIT_T1_EESB_SB_SB_SB_SB_SB_SB_SA_SA_, .Lfunc_end12-_ZN2at6native12_GLOBAL__N_16kernel17lstm_cell_forwardIN3c108BFloat16EfiLi1EEEvNS_4cuda6detail10TensorInfoIT_T1_EESB_SB_SB_SB_SB_SB_SB_SA_SA_
                                        ; -- End function
	.set _ZN2at6native12_GLOBAL__N_16kernel17lstm_cell_forwardIN3c108BFloat16EfiLi1EEEvNS_4cuda6detail10TensorInfoIT_T1_EESB_SB_SB_SB_SB_SB_SB_SA_SA_.num_vgpr, 34
	.set _ZN2at6native12_GLOBAL__N_16kernel17lstm_cell_forwardIN3c108BFloat16EfiLi1EEEvNS_4cuda6detail10TensorInfoIT_T1_EESB_SB_SB_SB_SB_SB_SB_SA_SA_.num_agpr, 0
	.set _ZN2at6native12_GLOBAL__N_16kernel17lstm_cell_forwardIN3c108BFloat16EfiLi1EEEvNS_4cuda6detail10TensorInfoIT_T1_EESB_SB_SB_SB_SB_SB_SB_SA_SA_.numbered_sgpr, 39
	.set _ZN2at6native12_GLOBAL__N_16kernel17lstm_cell_forwardIN3c108BFloat16EfiLi1EEEvNS_4cuda6detail10TensorInfoIT_T1_EESB_SB_SB_SB_SB_SB_SB_SA_SA_.num_named_barrier, 0
	.set _ZN2at6native12_GLOBAL__N_16kernel17lstm_cell_forwardIN3c108BFloat16EfiLi1EEEvNS_4cuda6detail10TensorInfoIT_T1_EESB_SB_SB_SB_SB_SB_SB_SA_SA_.private_seg_size, 0
	.set _ZN2at6native12_GLOBAL__N_16kernel17lstm_cell_forwardIN3c108BFloat16EfiLi1EEEvNS_4cuda6detail10TensorInfoIT_T1_EESB_SB_SB_SB_SB_SB_SB_SA_SA_.uses_vcc, 1
	.set _ZN2at6native12_GLOBAL__N_16kernel17lstm_cell_forwardIN3c108BFloat16EfiLi1EEEvNS_4cuda6detail10TensorInfoIT_T1_EESB_SB_SB_SB_SB_SB_SB_SA_SA_.uses_flat_scratch, 0
	.set _ZN2at6native12_GLOBAL__N_16kernel17lstm_cell_forwardIN3c108BFloat16EfiLi1EEEvNS_4cuda6detail10TensorInfoIT_T1_EESB_SB_SB_SB_SB_SB_SB_SA_SA_.has_dyn_sized_stack, 0
	.set _ZN2at6native12_GLOBAL__N_16kernel17lstm_cell_forwardIN3c108BFloat16EfiLi1EEEvNS_4cuda6detail10TensorInfoIT_T1_EESB_SB_SB_SB_SB_SB_SB_SA_SA_.has_recursion, 0
	.set _ZN2at6native12_GLOBAL__N_16kernel17lstm_cell_forwardIN3c108BFloat16EfiLi1EEEvNS_4cuda6detail10TensorInfoIT_T1_EESB_SB_SB_SB_SB_SB_SB_SA_SA_.has_indirect_call, 0
	.section	.AMDGPU.csdata,"",@progbits
; Kernel info:
; codeLenInByte = 2880
; TotalNumSgprs: 41
; NumVgprs: 34
; ScratchSize: 0
; MemoryBound: 0
; FloatMode: 240
; IeeeMode: 1
; LDSByteSize: 0 bytes/workgroup (compile time only)
; SGPRBlocks: 0
; VGPRBlocks: 2
; NumSGPRsForWavesPerEU: 41
; NumVGPRsForWavesPerEU: 34
; NamedBarCnt: 0
; Occupancy: 16
; WaveLimiterHint : 1
; COMPUTE_PGM_RSRC2:SCRATCH_EN: 0
; COMPUTE_PGM_RSRC2:USER_SGPR: 2
; COMPUTE_PGM_RSRC2:TRAP_HANDLER: 0
; COMPUTE_PGM_RSRC2:TGID_X_EN: 1
; COMPUTE_PGM_RSRC2:TGID_Y_EN: 0
; COMPUTE_PGM_RSRC2:TGID_Z_EN: 0
; COMPUTE_PGM_RSRC2:TIDIG_COMP_CNT: 0
	.section	.text._ZN2at6native12_GLOBAL__N_16kernel17lstm_cell_forwardIN3c108BFloat16EfiLi2EEEvNS_4cuda6detail10TensorInfoIT_T1_EESB_SB_SB_SB_SB_SB_SB_SA_SA_,"axG",@progbits,_ZN2at6native12_GLOBAL__N_16kernel17lstm_cell_forwardIN3c108BFloat16EfiLi2EEEvNS_4cuda6detail10TensorInfoIT_T1_EESB_SB_SB_SB_SB_SB_SB_SA_SA_,comdat
	.globl	_ZN2at6native12_GLOBAL__N_16kernel17lstm_cell_forwardIN3c108BFloat16EfiLi2EEEvNS_4cuda6detail10TensorInfoIT_T1_EESB_SB_SB_SB_SB_SB_SB_SA_SA_ ; -- Begin function _ZN2at6native12_GLOBAL__N_16kernel17lstm_cell_forwardIN3c108BFloat16EfiLi2EEEvNS_4cuda6detail10TensorInfoIT_T1_EESB_SB_SB_SB_SB_SB_SB_SA_SA_
	.p2align	8
	.type	_ZN2at6native12_GLOBAL__N_16kernel17lstm_cell_forwardIN3c108BFloat16EfiLi2EEEvNS_4cuda6detail10TensorInfoIT_T1_EESB_SB_SB_SB_SB_SB_SB_SA_SA_,@function
_ZN2at6native12_GLOBAL__N_16kernel17lstm_cell_forwardIN3c108BFloat16EfiLi2EEEvNS_4cuda6detail10TensorInfoIT_T1_EESB_SB_SB_SB_SB_SB_SB_SA_SA_: ; @_ZN2at6native12_GLOBAL__N_16kernel17lstm_cell_forwardIN3c108BFloat16EfiLi2EEEvNS_4cuda6detail10TensorInfoIT_T1_EESB_SB_SB_SB_SB_SB_SB_SA_SA_
; %bb.0:
	s_clause 0x1
	s_load_b32 s2, s[0:1], 0x6d4
	s_load_b64 s[6:7], s[0:1], 0x6c0
	s_bfe_u32 s3, ttmp6, 0x4000c
	s_and_b32 s4, ttmp6, 15
	s_add_co_i32 s3, s3, 1
	s_getreg_b32 s5, hwreg(HW_REG_IB_STS2, 6, 4)
	s_mul_i32 s3, ttmp9, s3
	s_mov_b32 s9, 0
	s_add_co_i32 s4, s4, s3
	s_wait_kmcnt 0x0
	s_and_b32 s2, s2, 0xffff
	s_cmp_eq_u32 s5, 0
	s_cselect_b32 s3, ttmp9, s4
	s_delay_alu instid0(SALU_CYCLE_1) | instskip(SKIP_1) | instid1(VALU_DEP_1)
	v_mad_u32 v20, s3, s2, v0
	s_mov_b32 s3, exec_lo
	v_cmpx_gt_i32_e64 s7, v20
	s_cbranch_execz .LBB13_13
; %bb.1:
	s_clause 0x1
	s_load_b64 s[10:11], s[0:1], 0x1b0
	s_load_b32 s5, s[0:1], 0xc
	s_add_nc_u64 s[24:25], s[0:1], 0x6c8
	s_clause 0x5
	s_load_b64 s[12:13], s[0:1], 0x0
	s_load_b64 s[14:15], s[0:1], 0x6c
	;; [unrolled: 1-line block ×3, first 2 shown]
	s_load_b32 s33, s[0:1], 0xe4
	s_load_b64 s[18:19], s[0:1], 0x144
	s_load_b32 s52, s[0:1], 0x21c
	s_load_b32 s58, s[24:25], 0x0
	s_clause 0x4
	s_load_b64 s[20:21], s[0:1], 0x288
	s_load_b32 s53, s[0:1], 0x2f4
	s_load_b64 s[22:23], s[0:1], 0x360
	s_load_b32 s3, s[0:1], 0x36c
	s_load_b32 s54, s[0:1], 0x5f4
	s_wait_xcnt 0x0
	s_clause 0x3
	s_load_b64 s[24:25], s[0:1], 0x3cc
	s_load_b64 s[26:27], s[0:1], 0x438
	s_load_b32 s74, s[0:1], 0x444
	s_load_b64 s[28:29], s[0:1], 0x4a4
	s_mov_b32 s43, s9
	s_mov_b32 s47, s9
	;; [unrolled: 1-line block ×3, first 2 shown]
	s_mul_i32 s71, s6, 3
	s_mov_b32 s76, 0xbbbac73d
	s_mov_b32 s77, s9
	s_wait_kmcnt 0x0
	s_mul_i32 s58, s58, s2
	s_cmp_lg_u64 s[10:11], 0
	s_cselect_b32 s55, -1, 0
	s_abs_i32 s56, s6
	s_abs_i32 s57, s5
	s_cvt_f32_u32 s4, s56
	s_cvt_f32_u32 s8, s57
	s_abs_i32 s60, s33
	s_abs_i32 s62, s54
	v_rcp_iflag_f32_e32 v0, s4
	v_rcp_iflag_f32_e32 v1, s8
	s_clause 0x4
	s_load_b64 s[30:31], s[0:1], 0x510
	s_load_b32 s4, s[0:1], 0x51c
	s_load_b64 s[34:35], s[0:1], 0x57c
	s_load_b64 s[36:37], s[0:1], 0x5e8
	;; [unrolled: 1-line block ×3, first 2 shown]
	s_wait_xcnt 0x0
	s_cvt_f32_u32 s1, s60
	s_sub_co_i32 s8, 0, s56
	s_cvt_f32_u32 s41, s62
	s_abs_i32 s63, s3
	v_readfirstlane_b32 s0, v0
	v_readfirstlane_b32 s2, v1
	v_rcp_iflag_f32_e32 v0, s1
	s_abs_i32 s65, s74
	s_sub_co_i32 s44, 0, s62
	s_mul_f32 s0, s0, 0x4f7ffffe
	s_mul_f32 s1, s2, 0x4f7ffffe
	s_sub_co_i32 s2, 0, s57
	s_sub_co_i32 s45, 0, s63
	s_cvt_u32_f32 s0, s0
	s_cvt_u32_f32 s1, s1
	v_nop
	v_readfirstlane_b32 s40, v0
	v_rcp_iflag_f32_e32 v0, s41
	s_mul_i32 s8, s8, s0
	s_mul_i32 s2, s2, s1
	s_mul_hi_u32 s8, s0, s8
	s_wait_kmcnt 0x0
	s_abs_i32 s67, s4
	s_add_co_i32 s8, s0, s8
	s_mul_hi_u32 s0, s1, s2
	s_mul_f32 s2, s40, 0x4f7ffffe
	s_add_co_i32 s40, s1, s0
	s_cvt_f32_u32 s1, s63
	s_sub_co_i32 s49, 0, s67
	s_cvt_u32_f32 s0, s2
	s_sub_co_i32 s2, 0, s60
	v_rcp_iflag_f32_e32 v1, s1
	v_nop
	v_readfirstlane_b32 s1, v0
	s_mul_i32 s2, s2, s0
	s_ashr_i32 s59, s6, 31
	s_mul_hi_u32 s2, s0, s2
	s_ashr_i32 s61, s5, 31
	s_add_co_i32 s42, s0, s2
	s_cvt_f32_u32 s2, s65
	s_mul_f32 s0, s1, 0x4f7ffffe
	v_readfirstlane_b32 s1, v1
	s_mov_b32 s41, s9
	v_rcp_iflag_f32_e32 v0, s2
	s_cvt_f32_u32 s2, s67
	s_cvt_u32_f32 s0, s0
	s_mul_f32 s1, s1, 0x4f7ffffe
	s_ashr_i32 s64, s33, 31
	v_rcp_iflag_f32_e32 v1, s2
	s_mul_i32 s44, s44, s0
	v_nop
	v_readfirstlane_b32 s2, v0
	s_cvt_u32_f32 s1, s1
	s_mul_hi_u32 s44, s0, s44
	s_ashr_i32 s66, s54, 31
	s_add_co_i32 s44, s0, s44
	v_readfirstlane_b32 s48, v1
	s_mul_i32 s0, s45, s1
	s_mul_f32 s2, s2, 0x4f7ffffe
	s_mul_hi_u32 s0, s1, s0
	v_mov_b32_e32 v1, 0
	s_add_co_i32 s46, s1, s0
	s_cvt_u32_f32 s0, s2
	s_mul_f32 s1, s48, 0x4f7ffffe
	s_sub_co_i32 s2, 0, s65
	s_mov_b32 s45, s9
	s_mul_i32 s2, s2, s0
	s_cvt_u32_f32 s1, s1
	s_mul_hi_u32 s2, s0, s2
	s_ashr_i32 s68, s3, 31
	s_add_co_i32 s48, s0, s2
	s_mul_i32 s0, s49, s1
	s_ashr_i32 s69, s74, 31
	s_mul_hi_u32 s0, s1, s0
	s_mov_b32 s49, s9
	s_ashr_i32 s70, s4, 31
	s_add_co_i32 s50, s1, s0
	s_sub_co_i32 s72, 0, s6
	s_sub_co_i32 s73, 0, s3
	;; [unrolled: 1-line block ×4, first 2 shown]
	s_branch .LBB13_3
.LBB13_2:                               ;   in Loop: Header=BB13_3 Depth=1
	s_or_b32 exec_lo, exec_lo, s0
	v_mul_u64_e32 v[32:33], s[44:45], v[6:7]
	v_dual_lshlrev_b32 v14, 16, v30 :: v_dual_lshlrev_b32 v16, 16, v31
	v_mul_u64_e32 v[30:31], s[44:45], v[2:3]
	v_mul_u64_e32 v[36:37], s[44:45], v[8:9]
	;; [unrolled: 1-line block ×3, first 2 shown]
	s_delay_alu instid0(VALU_DEP_4) | instskip(SKIP_3) | instid1(VALU_DEP_4)
	v_dual_add_f32 v3, v14, v16 :: v_dual_bitop2_b32 v7, s66, v26 bitop3:0x14
	v_mul_u64_e32 v[34:35], s[44:45], v[4:5]
	v_mul_u64_e32 v[40:41], s[50:51], v[0:1]
	v_bfi_b32 v12, 0x7fffffff, v12, v18
	v_dual_add_f32 v3, v3, v17 :: v_dual_bitop2_b32 v16, s66, v28 bitop3:0x14
	s_delay_alu instid0(VALU_DEP_1) | instskip(SKIP_1) | instid1(VALU_DEP_2)
	v_add_f32_e32 v3, v15, v3
	v_xor_b32_e32 v15, s66, v27
	v_mul_f32_e32 v5, 0xbfb8aa3b, v3
	v_cmp_nlt_f32_e64 s2, 0x42ce8ed0, v3
	v_cmp_ngt_f32_e64 s3, 0xc2b17218, v3
	v_add_nc_u32_e32 v28, 1, v33
	s_delay_alu instid0(VALU_DEP_4) | instskip(SKIP_3) | instid1(VALU_DEP_4)
	v_fma_f32 v9, 0xbfb8aa3b, v3, -v5
	v_rndne_f32_e32 v14, v5
	v_xor_b32_e32 v17, s66, v29
	v_mul_lo_u32 v19, v31, s62
	v_dual_fmac_f32 v9, 0xb2a5705f, v3 :: v_dual_add_nc_u32 v36, 1, v37
	s_delay_alu instid0(VALU_DEP_4) | instskip(SKIP_3) | instid1(VALU_DEP_4)
	v_dual_sub_f32 v5, v5, v14 :: v_dual_add_nc_u32 v26, 1, v31
	v_mul_lo_u32 v30, v37, s62
	v_mul_lo_u32 v27, v33, s62
	;; [unrolled: 1-line block ×3, first 2 shown]
	v_add_f32_e32 v5, v5, v9
	v_cvt_i32_f32_e32 v14, v14
	v_mul_lo_u32 v29, v35, s62
	v_sub_nc_u32_e32 v2, v2, v19
	v_mul_lo_u32 v34, v41, s67
	v_exp_f32_e32 v5, v5
	v_add_nc_u32_e32 v38, 1, v39
	v_dual_add_nc_u32 v9, 1, v35 :: v_dual_add_nc_u32 v40, 1, v41
	v_sub_nc_u32_e32 v8, v8, v30
	v_cmp_le_u32_e32 vcc_lo, s62, v2
	v_dual_sub_nc_u32 v6, v6, v27 :: v_dual_sub_nc_u32 v19, v0, v32
	s_delay_alu instid0(TRANS32_DEP_1) | instskip(SKIP_1) | instid1(VALU_DEP_3)
	v_ldexp_f32 v5, v5, v14
	v_dual_sub_nc_u32 v4, v4, v29 :: v_dual_cndmask_b32 v14, v31, v26, vcc_lo
	v_cmp_le_u32_e64 s0, s62, v6
	s_delay_alu instid0(VALU_DEP_3) | instskip(NEXT) | instid1(VALU_DEP_3)
	v_dual_sub_nc_u32 v0, v0, v34 :: v_dual_cndmask_b32 v5, 0, v5, s2
	v_cmp_le_u32_e64 s1, s62, v4
	v_subrev_nc_u32_e32 v26, s62, v2
	s_delay_alu instid0(VALU_DEP_4)
	v_cndmask_b32_e64 v27, v33, v28, s0
	v_subrev_nc_u32_e32 v28, s62, v6
	v_cndmask_b32_e64 v3, 0x7f800000, v5, s3
	v_cmp_le_u32_e64 s3, s65, v19
	v_cmp_le_u32_e64 s4, s67, v0
	;; [unrolled: 1-line block ×3, first 2 shown]
	s_delay_alu instid0(VALU_DEP_4) | instskip(NEXT) | instid1(VALU_DEP_4)
	v_dual_cndmask_b32 v9, v35, v9, s1 :: v_dual_add_f32 v3, 1.0, v3
	v_cndmask_b32_e64 v31, v39, v38, s3
	v_subrev_nc_u32_e32 v29, s62, v4
	v_dual_cndmask_b32 v33, v41, v40, s4 :: v_dual_cndmask_b32 v2, v2, v26, vcc_lo
	s_delay_alu instid0(VALU_DEP_4) | instskip(SKIP_2) | instid1(VALU_DEP_3)
	v_div_scale_f32 v35, null, v3, v3, 1.0
	v_dual_add_nc_u32 v26, 1, v14 :: v_dual_cndmask_b32 v6, v6, v28, s0
	v_cndmask_b32_e64 v30, v37, v36, s2
	v_rcp_f32_e32 v36, v35
	v_subrev_nc_u32_e32 v5, s62, v8
	v_subrev_nc_u32_e32 v32, s65, v19
	v_dual_add_nc_u32 v28, 1, v27 :: v_dual_cndmask_b32 v4, v4, v29, s1
	v_cmp_le_u32_e32 vcc_lo, s62, v2
	v_cmp_le_u32_e64 s0, s62, v6
	v_add_nc_u32_e32 v29, 1, v9
	v_dual_cndmask_b32 v5, v8, v5, s2 :: v_dual_cndmask_b32 v19, v19, v32, s3
	v_dual_add_nc_u32 v8, 1, v30 :: v_dual_add_nc_u32 v32, 1, v31
	v_cndmask_b32_e32 v2, v14, v26, vcc_lo
	v_fma_f32 v37, -v35, v36, 1.0
	v_cndmask_b32_e64 v6, v27, v28, s0
	v_cmp_le_u32_e64 s0, s62, v4
	v_div_scale_f32 v14, vcc_lo, 1.0, v3, 1.0
	s_delay_alu instid0(VALU_DEP_4) | instskip(NEXT) | instid1(VALU_DEP_3)
	v_dual_fmac_f32 v36, v37, v36 :: v_dual_bitop2_b32 v2, v2, v7 bitop3:0x14
	v_cndmask_b32_e64 v4, v9, v29, s0
	v_cmp_le_u32_e64 s0, s62, v5
	v_subrev_nc_u32_e32 v34, s67, v0
	s_delay_alu instid0(VALU_DEP_3) | instskip(NEXT) | instid1(VALU_DEP_3)
	v_dual_sub_nc_u32 v2, v2, v7 :: v_dual_bitop2_b32 v4, v4, v16 bitop3:0x14
	v_cndmask_b32_e64 v5, v30, v8, s0
	v_mul_f32_e32 v9, v14, v36
	v_xor_b32_e32 v6, v6, v15
	s_delay_alu instid0(VALU_DEP_4) | instskip(NEXT) | instid1(VALU_DEP_4)
	v_mul_lo_u32 v7, v2, s54
	v_dual_sub_nc_u32 v4, v4, v16 :: v_dual_bitop2_b32 v5, v5, v17 bitop3:0x14
	s_delay_alu instid0(VALU_DEP_3) | instskip(SKIP_2) | instid1(VALU_DEP_3)
	v_dual_fma_f32 v8, -v35, v9, v14 :: v_dual_sub_nc_u32 v6, v6, v15
	v_cndmask_b32_e64 v0, v0, v34, s4
	v_cmp_le_u32_e64 s0, s65, v19
	v_dual_sub_nc_u32 v5, v5, v17 :: v_dual_fmac_f32 v9, v8, v36
	s_delay_alu instid0(VALU_DEP_4) | instskip(NEXT) | instid1(VALU_DEP_3)
	v_mul_lo_u32 v8, v6, s54
	v_dual_cndmask_b32 v19, v31, v32, s0 :: v_dual_bitop2_b32 v16, s69, v21 bitop3:0x14
	v_add_nc_u32_e32 v17, 1, v33
	s_delay_alu instid0(VALU_DEP_4) | instskip(SKIP_3) | instid1(VALU_DEP_4)
	v_dual_fma_f32 v14, -v35, v9, v14 :: v_dual_sub_nc_u32 v7, v24, v7
	v_cmp_le_u32_e64 s0, s67, v0
	v_xor_b32_e32 v21, s70, v21
	v_mul_lo_u32 v15, v4, s54
	v_div_fmas_f32 v9, v14, v36, v9
	v_dual_add_nc_u32 v7, v20, v7 :: v_dual_sub_nc_u32 v8, v22, v8
	v_dual_cndmask_b32 v0, v33, v17, s0 :: v_dual_bitop2_b32 v17, v19, v16 bitop3:0x14
	s_delay_alu instid0(VALU_DEP_3) | instskip(SKIP_1) | instid1(VALU_DEP_4)
	v_div_fixup_f32 v3, v9, v3, 1.0
	v_mul_lo_u32 v14, v5, s54
	v_add_nc_u32_e32 v8, v20, v8
	s_delay_alu instid0(VALU_DEP_4) | instskip(SKIP_2) | instid1(VALU_DEP_3)
	v_dual_sub_nc_u32 v9, v17, v16 :: v_dual_bitop2_b32 v0, v0, v21 bitop3:0x14
	v_mul_lo_u32 v7, v7, s39
	v_dual_mul_f32 v12, v3, v12 :: v_dual_sub_nc_u32 v15, v25, v15
	v_sub_nc_u32_e32 v0, v0, v21
	s_delay_alu instid0(VALU_DEP_4) | instskip(SKIP_1) | instid1(VALU_DEP_4)
	v_mad_u32 v16, s74, v9, v20
	v_bfe_u32 v21, v18, 16, 1
	v_bfe_u32 v19, v12, 16, 1
	v_sub_nc_u32_e32 v14, v23, v14
	v_mad_u32 v17, s75, v0, v20
	v_mul_lo_u32 v8, v8, s39
	v_add_nc_u32_e32 v15, v20, v15
	v_mad_u32 v2, v2, s38, v7
	v_add_nc_u32_e32 v14, v20, v14
	v_add3_u32 v7, v12, v19, 0x7fff
	v_add_nc_u32_e32 v20, s58, v20
	v_mul_lo_u32 v16, v16, s29
	v_mul_lo_u32 v15, v15, s39
	v_mul_lo_u32 v14, v14, s39
	v_lshrrev_b32_e32 v7, 16, v7
	v_mul_lo_u32 v17, v17, s35
	v_mad_u32 v6, v6, s38, v8
	v_add3_u32 v8, v18, v21, 0x7fff
	v_cmp_o_f32_e32 vcc_lo, v12, v12
	v_cmp_o_f32_e64 s0, v3, v3
	v_mad_u32 v9, v9, s28, v16
	s_delay_alu instid0(VALU_DEP_4)
	v_dual_cndmask_b32 v7, 0x7fc0, v7 :: v_dual_lshrrev_b32 v8, 16, v8
	v_mad_u32 v5, v5, s38, v14
	v_mad_u32 v0, v0, s34, v17
	v_bfe_u32 v14, v11, 16, 1
	v_cmp_o_f32_e32 vcc_lo, v18, v18
	v_mad_u32 v4, v4, s38, v15
	s_delay_alu instid0(VALU_DEP_3)
	v_add3_u32 v12, v11, v14, 0x7fff
	global_store_b16 v9, v7, s[26:27] scale_offset
	s_wait_xcnt 0x0
	v_bfe_u32 v7, v13, 16, 1
	v_bfe_u32 v14, v10, 16, 1
	;; [unrolled: 1-line block ×3, first 2 shown]
	s_delay_alu instid0(VALU_DEP_3) | instskip(SKIP_2) | instid1(VALU_DEP_4)
	v_add3_u32 v7, v13, v7, 0x7fff
	v_cndmask_b32_e32 v8, 0x7fc0, v8, vcc_lo
	v_cmp_o_f32_e32 vcc_lo, v11, v11
	v_add3_u32 v9, v3, v9, 0x7fff
	s_delay_alu instid0(VALU_DEP_4) | instskip(SKIP_4) | instid1(VALU_DEP_2)
	v_lshrrev_b32_e32 v7, 16, v7
	global_store_b16 v0, v8, s[30:31] scale_offset
	s_wait_xcnt 0x0
	v_dual_lshrrev_b32 v0, 16, v12 :: v_dual_lshrrev_b32 v9, 16, v9
	v_add3_u32 v8, v10, v14, 0x7fff
	v_cndmask_b32_e32 v0, 0x7fc0, v0, vcc_lo
	v_cmp_o_f32_e32 vcc_lo, v10, v10
	s_delay_alu instid0(VALU_DEP_3) | instskip(SKIP_1) | instid1(VALU_DEP_2)
	v_lshrrev_b32_e32 v8, 16, v8
	v_cndmask_b32_e64 v3, 0x7fc0, v9, s0
	v_cndmask_b32_e32 v8, 0x7fc0, v8, vcc_lo
	v_cmp_o_f32_e32 vcc_lo, v13, v13
	s_clause 0x1
	global_store_b16 v2, v0, s[36:37] scale_offset
	global_store_b16 v6, v8, s[36:37] scale_offset
	v_cndmask_b32_e32 v7, 0x7fc0, v7, vcc_lo
	v_cmp_le_i32_e32 vcc_lo, s7, v20
	s_clause 0x1
	global_store_b16 v4, v7, s[36:37] scale_offset
	global_store_b16 v5, v3, s[36:37] scale_offset
	s_or_b32 s77, vcc_lo, s77
	s_wait_xcnt 0x0
	s_and_not1_b32 exec_lo, exec_lo, s77
	s_cbranch_execz .LBB13_13
.LBB13_3:                               ; =>This Inner Loop Header: Depth=1
	v_dual_mov_b32 v7, v1 :: v_dual_sub_nc_u32 v0, 0, v20
	s_delay_alu instid0(VALU_DEP_1) | instskip(NEXT) | instid1(VALU_DEP_1)
	v_dual_mov_b32 v9, v1 :: v_dual_max_i32 v0, v20, v0
	v_mul_u64_e32 v[2:3], s[8:9], v[0:1]
	s_delay_alu instid0(VALU_DEP_1) | instskip(NEXT) | instid1(VALU_DEP_1)
	v_mul_lo_u32 v2, v3, s56
	v_dual_add_nc_u32 v4, 1, v3 :: v_dual_sub_nc_u32 v2, v0, v2
	s_delay_alu instid0(VALU_DEP_1) | instskip(NEXT) | instid1(VALU_DEP_2)
	v_cmp_le_u32_e32 vcc_lo, s56, v2
	v_cndmask_b32_e32 v3, v3, v4, vcc_lo
	v_subrev_nc_u32_e32 v5, s56, v2
	s_delay_alu instid0(VALU_DEP_2) | instskip(NEXT) | instid1(VALU_DEP_2)
	v_dual_ashrrev_i32 v21, 31, v20 :: v_dual_add_nc_u32 v4, 1, v3
	v_cndmask_b32_e32 v2, v2, v5, vcc_lo
	v_mul_u64_e32 v[14:15], s[46:47], v[0:1]
	s_delay_alu instid0(VALU_DEP_2) | instskip(NEXT) | instid1(VALU_DEP_4)
	v_cmp_le_u32_e32 vcc_lo, s56, v2
	v_dual_cndmask_b32 v2, v3, v4, vcc_lo :: v_dual_bitop2_b32 v11, s59, v21 bitop3:0x14
	s_delay_alu instid0(VALU_DEP_1) | instskip(SKIP_1) | instid1(VALU_DEP_2)
	v_xor_b32_e32 v13, v2, v11
	v_mul_i32_i24_e32 v2, 3, v11
	v_lshl_add_u32 v3, v13, 1, v13
	s_delay_alu instid0(VALU_DEP_1) | instskip(NEXT) | instid1(VALU_DEP_1)
	v_dual_sub_nc_u32 v2, v3, v2 :: v_dual_sub_nc_u32 v10, v13, v11
	v_dual_mov_b32 v3, v1 :: v_dual_add_nc_u32 v4, 2, v2
	s_delay_alu instid0(VALU_DEP_2)
	v_mul_lo_u32 v24, s71, v10
	v_mad_u32 v22, s6, v2, s6
	v_add_nc_u32_e32 v2, 3, v2
	v_mul_lo_u32 v6, v15, s63
	v_mul_lo_u32 v25, s6, v4
	v_add_nc_u32_e32 v4, 1, v15
	s_delay_alu instid0(VALU_DEP_4) | instskip(SKIP_1) | instid1(VALU_DEP_4)
	v_mul_lo_u32 v23, s6, v2
	v_dual_mov_b32 v5, v1 :: v_dual_add_nc_u32 v8, v20, v24
	v_dual_add_nc_u32 v2, v20, v22 :: v_dual_add_nc_u32 v12, v20, v25
	s_delay_alu instid0(VALU_DEP_2) | instskip(NEXT) | instid1(VALU_DEP_2)
	v_dual_ashrrev_i32 v26, 31, v8 :: v_dual_sub_nc_u32 v8, v0, v6
	v_dual_ashrrev_i32 v27, 31, v2 :: v_dual_ashrrev_i32 v28, 31, v12
	s_delay_alu instid0(VALU_DEP_2) | instskip(NEXT) | instid1(VALU_DEP_3)
	v_add3_u32 v6, v26, v24, v20
	v_cmp_le_u32_e32 vcc_lo, s63, v8
	v_add_nc_u32_e32 v14, v20, v23
	v_subrev_nc_u32_e32 v12, s63, v8
	s_delay_alu instid0(VALU_DEP_4) | instskip(SKIP_1) | instid1(VALU_DEP_4)
	v_dual_cndmask_b32 v36, v15, v4, vcc_lo :: v_dual_bitop2_b32 v2, v6, v26 bitop3:0x14
	v_add3_u32 v4, v27, v22, v20
	v_ashrrev_i32_e32 v29, 31, v14
	s_delay_alu instid0(VALU_DEP_3) | instskip(SKIP_1) | instid1(VALU_DEP_4)
	v_mul_u64_e32 v[14:15], s[40:41], v[2:3]
	v_mul_u64_e32 v[16:17], s[42:43], v[2:3]
	v_xor_b32_e32 v6, v4, v27
	v_add3_u32 v4, v28, v25, v20
	v_add3_u32 v14, v29, v23, v20
	v_dual_cndmask_b32 v12, v8, v12, vcc_lo :: v_dual_bitop2_b32 v16, s68, v21 bitop3:0x14
	s_delay_alu instid0(VALU_DEP_4)
	v_mul_u64_e32 v[18:19], s[40:41], v[6:7]
	v_mul_u64_e32 v[30:31], s[42:43], v[6:7]
	v_xor_b32_e32 v4, v4, v28
	v_dual_add_nc_u32 v14, 1, v36 :: v_dual_bitop2_b32 v8, v14, v29 bitop3:0x14
	v_cmp_le_u32_e32 vcc_lo, s63, v12
	v_xor_b32_e32 v18, s61, v27
	s_delay_alu instid0(VALU_DEP_3) | instskip(SKIP_3) | instid1(VALU_DEP_2)
	v_mul_u64_e32 v[34:35], s[40:41], v[8:9]
	v_mul_u64_e32 v[38:39], s[42:43], v[8:9]
	v_dual_cndmask_b32 v12, v36, v14, vcc_lo :: v_dual_bitop2_b32 v40, s64, v29 bitop3:0x14
	v_xor_b32_e32 v14, s61, v26
	v_dual_add_nc_u32 v42, 1, v15 :: v_dual_bitop2_b32 v12, v12, v16 bitop3:0x14
	v_mul_u64_e32 v[32:33], s[40:41], v[4:5]
	v_mul_u64_e32 v[36:37], s[42:43], v[4:5]
	v_mul_lo_u32 v41, v17, s60
	v_mul_lo_u32 v34, v15, s57
	v_dual_add_nc_u32 v43, 1, v17 :: v_dual_bitop2_b32 v30, s64, v27 bitop3:0x14
	v_mul_lo_u32 v44, v19, s57
	v_mul_lo_u32 v46, v31, s60
	v_dual_sub_nc_u32 v12, v12, v16 :: v_dual_bitop2_b32 v16, s64, v26 bitop3:0x14
	v_dual_add_nc_u32 v45, 1, v19 :: v_dual_bitop2_b32 v32, s61, v28 bitop3:0x14
	v_dual_add_nc_u32 v47, 1, v31 :: v_dual_sub_nc_u32 v41, v2, v41
	v_sub_nc_u32_e32 v34, v2, v34
	v_mul_lo_u32 v50, v35, s57
	v_xor_b32_e32 v38, s64, v28
	v_sub_nc_u32_e32 v44, v6, v44
	v_cmp_le_u32_e64 s0, s60, v41
	v_cmp_le_u32_e32 vcc_lo, s57, v34
	v_subrev_nc_u32_e32 v52, s57, v34
	v_dual_add_nc_u32 v53, 1, v39 :: v_dual_bitop2_b32 v36, s61, v29 bitop3:0x14
	s_delay_alu instid0(VALU_DEP_4) | instskip(NEXT) | instid1(VALU_DEP_3)
	v_dual_cndmask_b32 v17, v17, v43, s0 :: v_dual_cndmask_b32 v15, v15, v42, vcc_lo
	v_cndmask_b32_e32 v34, v34, v52, vcc_lo
	v_subrev_nc_u32_e32 v52, s60, v41
	v_dual_add_nc_u32 v42, 1, v35 :: v_dual_sub_nc_u32 v50, v8, v50
	s_delay_alu instid0(VALU_DEP_2)
	v_dual_cndmask_b32 v41, v41, v52, s0 :: v_dual_add_nc_u32 v52, 1, v17
	v_mul_lo_u32 v48, v33, s57
	v_add_nc_u32_e32 v43, 1, v37
	v_cmp_le_u32_e64 s1, s57, v44
	v_sub_nc_u32_e32 v46, v6, v46
	v_mul_lo_u32 v51, v37, s60
	v_cmp_le_u32_e64 s0, s57, v34
	v_add_nc_u32_e32 v49, 1, v33
	v_cndmask_b32_e64 v19, v19, v45, s1
	v_mul_lo_u32 v45, v39, s60
	v_cmp_le_u32_e32 vcc_lo, s60, v46
	v_subrev_nc_u32_e32 v54, s57, v44
	v_sub_nc_u32_e32 v48, v4, v48
	v_subrev_nc_u32_e32 v34, s60, v46
	v_cmp_le_u32_e64 s2, s60, v41
	v_cndmask_b32_e32 v31, v31, v47, vcc_lo
	v_dual_add_nc_u32 v47, 1, v15 :: v_dual_cndmask_b32 v44, v44, v54, s1
	v_cmp_le_u32_e64 s1, s57, v50
	s_delay_alu instid0(VALU_DEP_3) | instskip(NEXT) | instid1(VALU_DEP_3)
	v_dual_cndmask_b32 v34, v46, v34 :: v_dual_add_nc_u32 v41, 1, v31
	v_dual_sub_nc_u32 v45, v8, v45 :: v_dual_cndmask_b32 v15, v15, v47, s0
	v_cmp_le_u32_e64 s0, s57, v48
	v_sub_nc_u32_e32 v51, v4, v51
	v_dual_add_nc_u32 v47, 1, v19 :: v_dual_cndmask_b32 v35, v35, v42, s1
	v_cndmask_b32_e64 v17, v17, v52, s2
	s_delay_alu instid0(VALU_DEP_4)
	v_cndmask_b32_e64 v33, v33, v49, s0
	v_subrev_nc_u32_e32 v49, s57, v48
	v_cmp_le_u32_e32 vcc_lo, s60, v51
	v_subrev_nc_u32_e32 v42, s57, v50
	v_cmp_le_u32_e64 s2, s60, v45
	v_xor_b32_e32 v15, v15, v14
	v_cmp_le_u32_e64 s3, s57, v44
	v_cndmask_b32_e32 v37, v37, v43, vcc_lo
	v_subrev_nc_u32_e32 v43, s60, v51
	v_cndmask_b32_e64 v44, v48, v49, s0
	v_cndmask_b32_e64 v39, v39, v53, s2
	v_dual_cndmask_b32 v19, v19, v47, s3 :: v_dual_add_nc_u32 v47, 1, v33
	v_dual_cndmask_b32 v42, v50, v42, s1 :: v_dual_add_nc_u32 v48, 1, v35
	v_cmp_le_u32_e64 s0, s60, v34
	v_cndmask_b32_e32 v34, v51, v43, vcc_lo
	v_cmp_le_u32_e32 vcc_lo, s57, v44
	v_subrev_nc_u32_e32 v46, s60, v45
	s_delay_alu instid0(VALU_DEP_4)
	v_dual_cndmask_b32 v31, v31, v41, s0 :: v_dual_bitop2_b32 v17, v17, v16 bitop3:0x14
	v_sub_nc_u32_e32 v14, v15, v14
	v_dual_cndmask_b32 v19, v33, v47, vcc_lo :: v_dual_bitop2_b32 v15, v19, v18 bitop3:0x14
	v_cmp_le_u32_e32 vcc_lo, s57, v42
	v_dual_add_nc_u32 v41, 1, v37 :: v_dual_cndmask_b32 v43, v45, v46, s2
	v_dual_add_nc_u32 v45, 1, v39 :: v_dual_sub_nc_u32 v16, v17, v16
	v_cndmask_b32_e32 v33, v35, v48, vcc_lo
	v_cmp_le_u32_e32 vcc_lo, s60, v34
	v_sub_nc_u32_e32 v15, v15, v18
	v_xor_b32_e32 v18, v19, v32
	v_xor_b32_e32 v17, v31, v30
	v_mul_lo_u32 v35, v14, s5
	v_cndmask_b32_e32 v31, v37, v41, vcc_lo
	v_cmp_le_u32_e32 vcc_lo, s60, v43
	v_xor_b32_e32 v19, v33, v36
	v_dual_sub_nc_u32 v18, v18, v32 :: v_dual_sub_nc_u32 v17, v17, v30
	s_delay_alu instid0(VALU_DEP_4) | instskip(SKIP_4) | instid1(VALU_DEP_3)
	v_xor_b32_e32 v30, v31, v38
	v_cndmask_b32_e32 v34, v39, v45, vcc_lo
	v_mul_lo_u32 v33, v16, s33
	s_and_not1_b32 vcc_lo, exec_lo, s55
	v_mul_lo_u32 v32, v17, s33
	v_dual_sub_nc_u32 v35, v24, v35 :: v_dual_bitop2_b32 v31, v34, v40 bitop3:0x14
	v_mul_lo_u32 v34, v15, s5
	s_delay_alu instid0(VALU_DEP_2) | instskip(SKIP_3) | instid1(VALU_DEP_4)
	v_sub_nc_u32_e32 v31, v31, v40
	v_dual_sub_nc_u32 v19, v19, v36 :: v_dual_sub_nc_u32 v30, v30, v38
	v_mul_lo_u32 v36, v18, s5
	v_sub_nc_u32_e32 v33, v24, v33
	v_mul_lo_u32 v39, v31, s33
	s_delay_alu instid0(VALU_DEP_4) | instskip(SKIP_4) | instid1(VALU_DEP_3)
	v_mul_lo_u32 v37, v19, s5
	v_mul_lo_u32 v38, v30, s33
	v_dual_add_nc_u32 v35, v20, v35 :: v_dual_sub_nc_u32 v34, v22, v34
	v_dual_add_nc_u32 v33, v20, v33 :: v_dual_sub_nc_u32 v32, v22, v32
	v_mad_u32 v40, s73, v12, v20
	v_mul_lo_u32 v35, v35, s15
	s_delay_alu instid0(VALU_DEP_4) | instskip(NEXT) | instid1(VALU_DEP_4)
	v_dual_add_nc_u32 v34, v20, v34 :: v_dual_sub_nc_u32 v36, v25, v36
	v_dual_add_nc_u32 v32, v20, v32 :: v_dual_sub_nc_u32 v37, v23, v37
	v_dual_sub_nc_u32 v38, v25, v38 :: v_dual_sub_nc_u32 v39, v23, v39
	s_delay_alu instid0(VALU_DEP_3) | instskip(NEXT) | instid1(VALU_DEP_4)
	v_add_nc_u32_e32 v36, v20, v36
	v_mul_lo_u32 v34, v34, s15
	s_delay_alu instid0(VALU_DEP_3) | instskip(NEXT) | instid1(VALU_DEP_4)
	v_dual_add_nc_u32 v37, v20, v37 :: v_dual_add_nc_u32 v38, v20, v38
	v_add_nc_u32_e32 v39, v20, v39
	s_delay_alu instid0(VALU_DEP_4) | instskip(SKIP_1) | instid1(VALU_DEP_4)
	v_mul_lo_u32 v36, v36, s15
	v_mul_lo_u32 v33, v33, s19
	;; [unrolled: 1-line block ×7, first 2 shown]
	v_mad_u32 v14, v14, s14, v35
	v_mad_u32 v15, v15, s14, v34
	v_mad_u32 v34, v18, s14, v36
	v_mad_u32 v16, v16, s18, v33
	v_mad_u32 v19, v19, s14, v37
	v_mad_u32 v17, v17, s18, v32
	v_mad_u32 v35, v30, s18, v38
	v_mad_u32 v31, v31, s18, v39
	v_mad_u32 v12, v12, s24, v40
	s_clause 0x3
	global_load_u16 v32, v14, s[12:13] scale_offset
	global_load_u16 v18, v15, s[12:13] scale_offset
	;; [unrolled: 1-line block ×4, first 2 shown]
	s_clause 0x3
	global_load_u16 v33, v16, s[16:17] scale_offset
	global_load_u16 v19, v17, s[16:17] scale_offset
	global_load_u16 v39, v35, s[16:17] scale_offset
	global_load_u16 v31, v31, s[16:17] scale_offset
	global_load_u16 v12, v12, s[22:23] scale_offset
	v_dual_mov_b32 v14, v1 :: v_dual_mov_b32 v15, v1
	s_wait_xcnt 0x2
	v_dual_mov_b32 v34, v1 :: v_dual_mov_b32 v35, v1
	v_dual_mov_b32 v16, v1 :: v_dual_mov_b32 v17, v1
	;; [unrolled: 1-line block ×3, first 2 shown]
	s_cbranch_vccnz .LBB13_5
; %bb.4:                                ;   in Loop: Header=BB13_3 Depth=1
	v_sub_nc_u32_e32 v11, v11, v13
	v_mad_u32 v10, s72, v10, v20
	s_delay_alu instid0(VALU_DEP_2) | instskip(SKIP_1) | instid1(VALU_DEP_1)
	v_mul_lo_u32 v13, s6, v11
	v_dual_add_nc_u32 v14, 2, v11 :: v_dual_add_nc_u32 v11, 3, v11
	v_mad_u32 v14, s6, v14, v20
	s_delay_alu instid0(VALU_DEP_2) | instskip(SKIP_3) | instid1(VALU_DEP_1)
	v_mad_u32 v11, s6, v11, v20
	v_mul_lo_u32 v15, v10, s52
	v_mul_lo_u32 v10, v10, s53
	v_add3_u32 v13, v13, s6, v20
	v_mul_lo_u32 v16, v13, s52
	v_mul_lo_u32 v13, v13, s53
	;; [unrolled: 1-line block ×6, first 2 shown]
	global_load_u16 v15, v15, s[10:11] scale_offset
	global_load_u16 v10, v10, s[20:21] scale_offset
	;; [unrolled: 1-line block ×4, first 2 shown]
	s_clause 0x1
	global_load_u16 v17, v17, s[10:11] scale_offset
	global_load_u16 v40, v34, s[10:11] scale_offset
	s_clause 0x1
	global_load_u16 v14, v14, s[20:21] scale_offset
	global_load_u16 v11, v11, s[20:21] scale_offset
	s_wait_loadcnt 0x6
	v_dual_lshlrev_b32 v37, 16, v15 :: v_dual_lshlrev_b32 v35, 16, v10
	s_wait_loadcnt 0x4
	s_wait_xcnt 0x2
	v_dual_lshlrev_b32 v36, 16, v16 :: v_dual_lshlrev_b32 v34, 16, v13
	s_wait_loadcnt 0x2
	v_dual_lshlrev_b32 v16, 16, v17 :: v_dual_lshlrev_b32 v17, 16, v40
	s_wait_loadcnt 0x0
	s_wait_xcnt 0x1
	v_dual_lshlrev_b32 v14, 16, v14 :: v_dual_lshlrev_b32 v15, 16, v11
.LBB13_5:                               ;   in Loop: Header=BB13_3 Depth=1
	s_wait_loadcnt 0x2
	s_wait_xcnt 0x0
	v_dual_lshlrev_b32 v11, 16, v39 :: v_dual_lshlrev_b32 v10, 16, v38
                                        ; implicit-def: $vgpr13
	s_delay_alu instid0(VALU_DEP_1) | instskip(NEXT) | instid1(VALU_DEP_1)
	v_mov_b32_e32 v38, v11
	v_pk_add_f32 v[10:11], v[38:39], v[10:11]
	s_delay_alu instid0(VALU_DEP_1) | instskip(NEXT) | instid1(VALU_DEP_1)
	v_pk_add_f32 v[10:11], v[10:11], v[16:17]
	v_pk_add_f32 v[10:11], v[14:15], v[10:11]
	s_delay_alu instid0(VALU_DEP_1) | instskip(SKIP_2) | instid1(SALU_CYCLE_1)
	v_cmp_ngt_f32_e64 s0, 0x3f200000, |v10|
	s_wait_xcnt 0x0
	s_and_saveexec_b32 s1, s0
	s_xor_b32 s0, exec_lo, s1
	s_cbranch_execz .LBB13_7
; %bb.6:                                ;   in Loop: Header=BB13_3 Depth=1
	v_add_f32_e64 v11, |v10|, |v10|
	s_delay_alu instid0(VALU_DEP_1) | instskip(SKIP_1) | instid1(VALU_DEP_2)
	v_mul_f32_e32 v13, 0x3fb8aa3b, v11
	v_cmp_ngt_f32_e32 vcc_lo, 0xc2ce8ed0, v11
	v_rndne_f32_e32 v14, v13
	v_fma_f32 v16, 0x3fb8aa3b, v11, -v13
	s_delay_alu instid0(VALU_DEP_1) | instskip(SKIP_1) | instid1(VALU_DEP_2)
	v_dual_sub_f32 v13, v13, v14 :: v_dual_fmac_f32 v16, 0x32a5705f, v11
	v_cvt_i32_f32_e32 v14, v14
	v_add_f32_e32 v13, v13, v16
	s_delay_alu instid0(VALU_DEP_1) | instskip(SKIP_1) | instid1(TRANS32_DEP_1)
	v_exp_f32_e32 v13, v13
	v_nop
	v_ldexp_f32 v13, v13, v14
	s_delay_alu instid0(VALU_DEP_1) | instskip(SKIP_1) | instid1(VALU_DEP_2)
	v_cndmask_b32_e32 v13, 0, v13, vcc_lo
	v_cmp_nlt_f32_e32 vcc_lo, 0x42b17218, v11
	v_cndmask_b32_e32 v11, 0x7f800000, v13, vcc_lo
	s_delay_alu instid0(VALU_DEP_1) | instskip(NEXT) | instid1(VALU_DEP_1)
	v_add_f32_e32 v11, 1.0, v11
	v_rcp_f32_e32 v11, v11
	v_nop
	s_delay_alu instid0(TRANS32_DEP_1)
	v_fma_f32 v13, v11, -2.0, 1.0
.LBB13_7:                               ;   in Loop: Header=BB13_3 Depth=1
	s_and_not1_saveexec_b32 s0, s0
	s_cbranch_execz .LBB13_9
; %bb.8:                                ;   in Loop: Header=BB13_3 Depth=1
	v_mul_f32_e32 v11, v10, v10
	s_delay_alu instid0(VALU_DEP_1) | instskip(NEXT) | instid1(VALU_DEP_1)
	v_fmaak_f32 v13, s76, v11, 0x3ca908c9
	v_fmaak_f32 v13, v11, v13, 0xbd5c1c4e
	s_delay_alu instid0(VALU_DEP_1) | instskip(NEXT) | instid1(VALU_DEP_1)
	v_fmaak_f32 v13, v11, v13, 0x3e088382
	v_fmaak_f32 v13, v11, v13, 0xbeaaaa99
	s_delay_alu instid0(VALU_DEP_1) | instskip(NEXT) | instid1(VALU_DEP_1)
	v_mul_f32_e64 v13, |v10|, v13
	v_fma_f32 v13, v11, v13, |v10|
.LBB13_9:                               ;   in Loop: Header=BB13_3 Depth=1
	s_or_b32 exec_lo, exec_lo, s0
	v_dual_lshlrev_b32 v11, 16, v32 :: v_dual_lshlrev_b32 v14, 16, v33
	v_dual_lshlrev_b32 v16, 16, v18 :: v_dual_lshlrev_b32 v18, 16, v19
	s_delay_alu instid0(VALU_DEP_3) | instskip(SKIP_1) | instid1(VALU_DEP_3)
	v_bfi_b32 v13, 0x7fffffff, v13, v10
	s_wait_loadcnt 0x0
	v_dual_add_f32 v11, v14, v11 :: v_dual_lshlrev_b32 v12, 16, v12
	s_delay_alu instid0(VALU_DEP_3) | instskip(NEXT) | instid1(VALU_DEP_1)
	v_add_f32_e32 v14, v18, v16
	v_dual_add_f32 v14, v14, v36 :: v_dual_add_f32 v11, v11, v37
	s_delay_alu instid0(VALU_DEP_1) | instskip(NEXT) | instid1(VALU_DEP_1)
	v_dual_add_f32 v14, v34, v14 :: v_dual_add_f32 v11, v35, v11
	v_mul_f32_e32 v18, 0xbfb8aa3b, v14
	s_delay_alu instid0(VALU_DEP_2) | instskip(SKIP_1) | instid1(VALU_DEP_3)
	v_mul_f32_e32 v16, 0xbfb8aa3b, v11
	v_cmp_nlt_f32_e32 vcc_lo, 0x42ce8ed0, v11
	v_fma_f32 v33, 0xbfb8aa3b, v14, -v18
	s_delay_alu instid0(VALU_DEP_3) | instskip(SKIP_2) | instid1(VALU_DEP_2)
	v_fma_f32 v19, 0xbfb8aa3b, v11, -v16
	v_rndne_f32_e32 v32, v16
	v_rndne_f32_e32 v34, v18
	v_dual_fmac_f32 v19, 0xb2a5705f, v11 :: v_dual_sub_f32 v16, v16, v32
	s_delay_alu instid0(VALU_DEP_1) | instskip(SKIP_1) | instid1(VALU_DEP_4)
	v_dual_fmac_f32 v33, 0xb2a5705f, v14 :: v_dual_add_f32 v16, v16, v19
	v_cvt_i32_f32_e32 v19, v32
	v_cvt_i32_f32_e32 v32, v34
	s_delay_alu instid0(VALU_DEP_3) | instskip(SKIP_1) | instid1(TRANS32_DEP_1)
	v_exp_f32_e32 v16, v16
	v_nop
	v_ldexp_f32 v16, v16, v19
	s_delay_alu instid0(VALU_DEP_1) | instskip(NEXT) | instid1(VALU_DEP_1)
	v_dual_sub_f32 v18, v18, v34 :: v_dual_cndmask_b32 v16, 0, v16, vcc_lo
	v_add_f32_e32 v18, v18, v33
	v_cmp_nlt_f32_e32 vcc_lo, 0x42ce8ed0, v14
	s_delay_alu instid0(VALU_DEP_2) | instskip(SKIP_1) | instid1(TRANS32_DEP_1)
	v_exp_f32_e32 v18, v18
	v_nop
	v_ldexp_f32 v18, v18, v32
	s_delay_alu instid0(VALU_DEP_1) | instskip(SKIP_3) | instid1(VALU_DEP_4)
	v_cndmask_b32_e32 v18, 0, v18, vcc_lo
	v_cmp_ngt_f32_e32 vcc_lo, 0xc2b17218, v11
	v_cndmask_b32_e32 v19, 0x7f800000, v16, vcc_lo
	v_cmp_ngt_f32_e32 vcc_lo, 0xc2b17218, v14
	v_cndmask_b32_e32 v18, 0x7f800000, v18, vcc_lo
	s_delay_alu instid0(VALU_DEP_1) | instskip(NEXT) | instid1(VALU_DEP_1)
	v_pk_add_f32 v[18:19], v[18:19], 1.0 op_sel_hi:[1,0]
	v_div_scale_f32 v11, null, v19, v19, 1.0
	s_delay_alu instid0(VALU_DEP_2) | instskip(SKIP_1) | instid1(VALU_DEP_3)
	v_div_scale_f32 v14, null, v18, v18, 1.0
	v_div_scale_f32 v35, vcc_lo, 1.0, v19, 1.0
	v_rcp_f32_e32 v16, v11
	s_delay_alu instid0(VALU_DEP_2) | instskip(NEXT) | instid1(TRANS32_DEP_2)
	v_rcp_f32_e32 v32, v14
	v_fma_f32 v33, -v11, v16, 1.0
	s_delay_alu instid0(TRANS32_DEP_1) | instskip(NEXT) | instid1(VALU_DEP_2)
	v_fma_f32 v34, -v14, v32, 1.0
	v_fmac_f32_e32 v16, v33, v16
	s_delay_alu instid0(VALU_DEP_2) | instskip(SKIP_1) | instid1(VALU_DEP_3)
	v_fmac_f32_e32 v32, v34, v32
	v_div_scale_f32 v33, s0, 1.0, v18, 1.0
	v_mul_f32_e32 v34, v35, v16
	s_delay_alu instid0(VALU_DEP_1) | instskip(NEXT) | instid1(VALU_DEP_1)
	v_fma_f32 v37, -v11, v34, v35
	v_fmac_f32_e32 v34, v37, v16
	s_delay_alu instid0(VALU_DEP_1) | instskip(NEXT) | instid1(VALU_DEP_1)
	v_dual_mul_f32 v36, v33, v32 :: v_dual_fma_f32 v11, -v11, v34, v35
	v_fma_f32 v38, -v14, v36, v33
	s_delay_alu instid0(VALU_DEP_2) | instskip(NEXT) | instid1(VALU_DEP_2)
	v_div_fmas_f32 v11, v11, v16, v34
	v_fmac_f32_e32 v36, v38, v32
	s_mov_b32 vcc_lo, s0
	s_delay_alu instid0(VALU_DEP_2) | instskip(NEXT) | instid1(VALU_DEP_2)
	v_div_fixup_f32 v11, v11, v19, 1.0
	v_fma_f32 v14, -v14, v36, v33
	s_delay_alu instid0(VALU_DEP_1) | instskip(NEXT) | instid1(VALU_DEP_1)
	v_div_fmas_f32 v14, v14, v32, v36
	v_div_fixup_f32 v10, v14, v18, 1.0
	s_delay_alu instid0(VALU_DEP_4) | instskip(NEXT) | instid1(VALU_DEP_1)
	v_mul_f32_e32 v14, v11, v13
	v_pk_fma_f32 v[18:19], v[10:11], v[12:13], v[14:15] op_sel_hi:[1,1,0]
                                        ; implicit-def: $vgpr12
	s_delay_alu instid0(VALU_DEP_1) | instskip(SKIP_1) | instid1(SALU_CYCLE_1)
	v_cmp_ngt_f32_e64 s0, 0x3f200000, |v18|
	s_and_saveexec_b32 s1, s0
	s_xor_b32 s0, exec_lo, s1
	s_cbranch_execz .LBB13_11
; %bb.10:                               ;   in Loop: Header=BB13_3 Depth=1
	v_add_f32_e64 v12, |v18|, |v18|
	s_delay_alu instid0(VALU_DEP_1) | instskip(SKIP_1) | instid1(VALU_DEP_2)
	v_mul_f32_e32 v14, 0x3fb8aa3b, v12
	v_cmp_ngt_f32_e32 vcc_lo, 0xc2ce8ed0, v12
	v_rndne_f32_e32 v16, v14
	v_fma_f32 v19, 0x3fb8aa3b, v12, -v14
	s_delay_alu instid0(VALU_DEP_2) | instskip(NEXT) | instid1(VALU_DEP_2)
	v_sub_f32_e32 v14, v14, v16
	v_fmac_f32_e32 v19, 0x32a5705f, v12
	v_cvt_i32_f32_e32 v16, v16
	s_delay_alu instid0(VALU_DEP_2) | instskip(NEXT) | instid1(VALU_DEP_1)
	v_add_f32_e32 v14, v14, v19
	v_exp_f32_e32 v14, v14
	v_nop
	s_delay_alu instid0(TRANS32_DEP_1) | instskip(NEXT) | instid1(VALU_DEP_1)
	v_ldexp_f32 v14, v14, v16
	v_cndmask_b32_e32 v14, 0, v14, vcc_lo
	v_cmp_nlt_f32_e32 vcc_lo, 0x42b17218, v12
	s_delay_alu instid0(VALU_DEP_2) | instskip(NEXT) | instid1(VALU_DEP_1)
	v_cndmask_b32_e32 v12, 0x7f800000, v14, vcc_lo
	v_add_f32_e32 v12, 1.0, v12
	s_delay_alu instid0(VALU_DEP_1) | instskip(SKIP_1) | instid1(TRANS32_DEP_1)
	v_rcp_f32_e32 v12, v12
	v_nop
	v_fma_f32 v12, v12, -2.0, 1.0
.LBB13_11:                              ;   in Loop: Header=BB13_3 Depth=1
	s_and_not1_saveexec_b32 s0, s0
	s_cbranch_execz .LBB13_2
; %bb.12:                               ;   in Loop: Header=BB13_3 Depth=1
	v_mul_f32_e32 v12, v18, v18
	s_delay_alu instid0(VALU_DEP_1) | instskip(NEXT) | instid1(VALU_DEP_1)
	v_fmaak_f32 v14, s76, v12, 0x3ca908c9
	v_fmaak_f32 v14, v12, v14, 0xbd5c1c4e
	s_delay_alu instid0(VALU_DEP_1) | instskip(NEXT) | instid1(VALU_DEP_1)
	v_fmaak_f32 v14, v12, v14, 0x3e088382
	v_fmaak_f32 v14, v12, v14, 0xbeaaaa99
	s_delay_alu instid0(VALU_DEP_1) | instskip(NEXT) | instid1(VALU_DEP_1)
	v_mul_f32_e64 v14, |v18|, v14
	v_fma_f32 v12, v12, v14, |v18|
	s_branch .LBB13_2
.LBB13_13:
	s_endpgm
	.section	.rodata,"a",@progbits
	.p2align	6, 0x0
	.amdhsa_kernel _ZN2at6native12_GLOBAL__N_16kernel17lstm_cell_forwardIN3c108BFloat16EfiLi2EEEvNS_4cuda6detail10TensorInfoIT_T1_EESB_SB_SB_SB_SB_SB_SB_SA_SA_
		.amdhsa_group_segment_fixed_size 0
		.amdhsa_private_segment_fixed_size 0
		.amdhsa_kernarg_size 1992
		.amdhsa_user_sgpr_count 2
		.amdhsa_user_sgpr_dispatch_ptr 0
		.amdhsa_user_sgpr_queue_ptr 0
		.amdhsa_user_sgpr_kernarg_segment_ptr 1
		.amdhsa_user_sgpr_dispatch_id 0
		.amdhsa_user_sgpr_kernarg_preload_length 0
		.amdhsa_user_sgpr_kernarg_preload_offset 0
		.amdhsa_user_sgpr_private_segment_size 0
		.amdhsa_wavefront_size32 1
		.amdhsa_uses_dynamic_stack 0
		.amdhsa_enable_private_segment 0
		.amdhsa_system_sgpr_workgroup_id_x 1
		.amdhsa_system_sgpr_workgroup_id_y 0
		.amdhsa_system_sgpr_workgroup_id_z 0
		.amdhsa_system_sgpr_workgroup_info 0
		.amdhsa_system_vgpr_workitem_id 0
		.amdhsa_next_free_vgpr 55
		.amdhsa_next_free_sgpr 78
		.amdhsa_named_barrier_count 0
		.amdhsa_reserve_vcc 1
		.amdhsa_float_round_mode_32 0
		.amdhsa_float_round_mode_16_64 0
		.amdhsa_float_denorm_mode_32 3
		.amdhsa_float_denorm_mode_16_64 3
		.amdhsa_fp16_overflow 0
		.amdhsa_memory_ordered 1
		.amdhsa_forward_progress 1
		.amdhsa_inst_pref_size 39
		.amdhsa_round_robin_scheduling 0
		.amdhsa_exception_fp_ieee_invalid_op 0
		.amdhsa_exception_fp_denorm_src 0
		.amdhsa_exception_fp_ieee_div_zero 0
		.amdhsa_exception_fp_ieee_overflow 0
		.amdhsa_exception_fp_ieee_underflow 0
		.amdhsa_exception_fp_ieee_inexact 0
		.amdhsa_exception_int_div_zero 0
	.end_amdhsa_kernel
	.section	.text._ZN2at6native12_GLOBAL__N_16kernel17lstm_cell_forwardIN3c108BFloat16EfiLi2EEEvNS_4cuda6detail10TensorInfoIT_T1_EESB_SB_SB_SB_SB_SB_SB_SA_SA_,"axG",@progbits,_ZN2at6native12_GLOBAL__N_16kernel17lstm_cell_forwardIN3c108BFloat16EfiLi2EEEvNS_4cuda6detail10TensorInfoIT_T1_EESB_SB_SB_SB_SB_SB_SB_SA_SA_,comdat
.Lfunc_end13:
	.size	_ZN2at6native12_GLOBAL__N_16kernel17lstm_cell_forwardIN3c108BFloat16EfiLi2EEEvNS_4cuda6detail10TensorInfoIT_T1_EESB_SB_SB_SB_SB_SB_SB_SA_SA_, .Lfunc_end13-_ZN2at6native12_GLOBAL__N_16kernel17lstm_cell_forwardIN3c108BFloat16EfiLi2EEEvNS_4cuda6detail10TensorInfoIT_T1_EESB_SB_SB_SB_SB_SB_SB_SA_SA_
                                        ; -- End function
	.set _ZN2at6native12_GLOBAL__N_16kernel17lstm_cell_forwardIN3c108BFloat16EfiLi2EEEvNS_4cuda6detail10TensorInfoIT_T1_EESB_SB_SB_SB_SB_SB_SB_SA_SA_.num_vgpr, 55
	.set _ZN2at6native12_GLOBAL__N_16kernel17lstm_cell_forwardIN3c108BFloat16EfiLi2EEEvNS_4cuda6detail10TensorInfoIT_T1_EESB_SB_SB_SB_SB_SB_SB_SA_SA_.num_agpr, 0
	.set _ZN2at6native12_GLOBAL__N_16kernel17lstm_cell_forwardIN3c108BFloat16EfiLi2EEEvNS_4cuda6detail10TensorInfoIT_T1_EESB_SB_SB_SB_SB_SB_SB_SA_SA_.numbered_sgpr, 78
	.set _ZN2at6native12_GLOBAL__N_16kernel17lstm_cell_forwardIN3c108BFloat16EfiLi2EEEvNS_4cuda6detail10TensorInfoIT_T1_EESB_SB_SB_SB_SB_SB_SB_SA_SA_.num_named_barrier, 0
	.set _ZN2at6native12_GLOBAL__N_16kernel17lstm_cell_forwardIN3c108BFloat16EfiLi2EEEvNS_4cuda6detail10TensorInfoIT_T1_EESB_SB_SB_SB_SB_SB_SB_SA_SA_.private_seg_size, 0
	.set _ZN2at6native12_GLOBAL__N_16kernel17lstm_cell_forwardIN3c108BFloat16EfiLi2EEEvNS_4cuda6detail10TensorInfoIT_T1_EESB_SB_SB_SB_SB_SB_SB_SA_SA_.uses_vcc, 1
	.set _ZN2at6native12_GLOBAL__N_16kernel17lstm_cell_forwardIN3c108BFloat16EfiLi2EEEvNS_4cuda6detail10TensorInfoIT_T1_EESB_SB_SB_SB_SB_SB_SB_SA_SA_.uses_flat_scratch, 0
	.set _ZN2at6native12_GLOBAL__N_16kernel17lstm_cell_forwardIN3c108BFloat16EfiLi2EEEvNS_4cuda6detail10TensorInfoIT_T1_EESB_SB_SB_SB_SB_SB_SB_SA_SA_.has_dyn_sized_stack, 0
	.set _ZN2at6native12_GLOBAL__N_16kernel17lstm_cell_forwardIN3c108BFloat16EfiLi2EEEvNS_4cuda6detail10TensorInfoIT_T1_EESB_SB_SB_SB_SB_SB_SB_SA_SA_.has_recursion, 0
	.set _ZN2at6native12_GLOBAL__N_16kernel17lstm_cell_forwardIN3c108BFloat16EfiLi2EEEvNS_4cuda6detail10TensorInfoIT_T1_EESB_SB_SB_SB_SB_SB_SB_SA_SA_.has_indirect_call, 0
	.section	.AMDGPU.csdata,"",@progbits
; Kernel info:
; codeLenInByte = 4960
; TotalNumSgprs: 80
; NumVgprs: 55
; ScratchSize: 0
; MemoryBound: 0
; FloatMode: 240
; IeeeMode: 1
; LDSByteSize: 0 bytes/workgroup (compile time only)
; SGPRBlocks: 0
; VGPRBlocks: 3
; NumSGPRsForWavesPerEU: 80
; NumVGPRsForWavesPerEU: 55
; NamedBarCnt: 0
; Occupancy: 16
; WaveLimiterHint : 1
; COMPUTE_PGM_RSRC2:SCRATCH_EN: 0
; COMPUTE_PGM_RSRC2:USER_SGPR: 2
; COMPUTE_PGM_RSRC2:TRAP_HANDLER: 0
; COMPUTE_PGM_RSRC2:TGID_X_EN: 1
; COMPUTE_PGM_RSRC2:TGID_Y_EN: 0
; COMPUTE_PGM_RSRC2:TGID_Z_EN: 0
; COMPUTE_PGM_RSRC2:TIDIG_COMP_CNT: 0
	.section	.text._ZN2at6native12_GLOBAL__N_16kernel17lstm_cell_forwardIN3c108BFloat16EflLi1EEEvNS_4cuda6detail10TensorInfoIT_T1_EESB_SB_SB_SB_SB_SB_SB_SA_SA_,"axG",@progbits,_ZN2at6native12_GLOBAL__N_16kernel17lstm_cell_forwardIN3c108BFloat16EflLi1EEEvNS_4cuda6detail10TensorInfoIT_T1_EESB_SB_SB_SB_SB_SB_SB_SA_SA_,comdat
	.globl	_ZN2at6native12_GLOBAL__N_16kernel17lstm_cell_forwardIN3c108BFloat16EflLi1EEEvNS_4cuda6detail10TensorInfoIT_T1_EESB_SB_SB_SB_SB_SB_SB_SA_SA_ ; -- Begin function _ZN2at6native12_GLOBAL__N_16kernel17lstm_cell_forwardIN3c108BFloat16EflLi1EEEvNS_4cuda6detail10TensorInfoIT_T1_EESB_SB_SB_SB_SB_SB_SB_SA_SA_
	.p2align	8
	.type	_ZN2at6native12_GLOBAL__N_16kernel17lstm_cell_forwardIN3c108BFloat16EflLi1EEEvNS_4cuda6detail10TensorInfoIT_T1_EESB_SB_SB_SB_SB_SB_SB_SA_SA_,@function
_ZN2at6native12_GLOBAL__N_16kernel17lstm_cell_forwardIN3c108BFloat16EflLi1EEEvNS_4cuda6detail10TensorInfoIT_T1_EESB_SB_SB_SB_SB_SB_SB_SA_SA_: ; @_ZN2at6native12_GLOBAL__N_16kernel17lstm_cell_forwardIN3c108BFloat16EflLi1EEEvNS_4cuda6detail10TensorInfoIT_T1_EESB_SB_SB_SB_SB_SB_SB_SA_SA_
; %bb.0:
	s_clause 0x1
	s_load_b32 s2, s[0:1], 0xd1c
	s_load_b128 s[4:7], s[0:1], 0xd00
	s_bfe_u32 s3, ttmp6, 0x4000c
	s_and_b32 s8, ttmp6, 15
	s_add_co_i32 s3, s3, 1
	s_getreg_b32 s9, hwreg(HW_REG_IB_STS2, 6, 4)
	s_mul_i32 s3, ttmp9, s3
	v_mov_b32_e32 v2, 0
	s_add_co_i32 s8, s8, s3
	s_delay_alu instid0(VALU_DEP_1)
	v_mov_b32_e32 v1, v2
	s_wait_kmcnt 0x0
	s_and_b32 s2, s2, 0xffff
	s_cmp_eq_u32 s9, 0
	s_cselect_b32 s3, ttmp9, s8
	s_mov_b32 s8, exec_lo
	v_mad_u32 v0, s3, s2, v0
	s_mov_b32 s3, 0
	s_delay_alu instid0(VALU_DEP_1)
	v_cmpx_gt_i64_e64 s[6:7], v[0:1]
	s_cbranch_execz .LBB14_18
; %bb.1:
	s_clause 0x3
	s_load_b64 s[38:39], s[0:1], 0x750
	s_load_b64 s[40:41], s[0:1], 0x8f0
	;; [unrolled: 1-line block ×4, first 2 shown]
	v_cvt_f32_u32_e32 v3, s4
	s_add_nc_u64 s[14:15], s[0:1], 0xd10
	s_clause 0x1
	s_load_b64 s[10:11], s[0:1], 0xb60
	s_load_b64 s[12:13], s[0:1], 0xc30
	s_load_b32 s28, s[14:15], 0x0
	s_clause 0x1
	s_load_b64 s[44:45], s[0:1], 0x820
	s_load_b64 s[46:47], s[0:1], 0x680
	v_rcp_iflag_f32_e32 v3, v3
	s_wait_xcnt 0x0
	s_clause 0x2
	s_load_b64 s[14:15], s[0:1], 0x410
	s_load_b64 s[16:17], s[0:1], 0x4e0
	;; [unrolled: 1-line block ×3, first 2 shown]
	s_mov_b32 s29, s3
	s_mul_u64 s[30:31], s[4:5], 3
	s_sub_nc_u64 s[34:35], 0, s[4:5]
	s_mov_b64 s[36:37], 0xffffffff
	v_nop
	v_mul_f32_e32 v3, 0x4f7ffffe, v3
	s_wait_kmcnt 0x0
	v_mul_u64_e32 v[4:5], s[38:39], v[0:1]
	v_mul_u64_e32 v[6:7], s[40:41], v[0:1]
	;; [unrolled: 1-line block ×3, first 2 shown]
	v_cvt_u32_f32_e32 v3, v3
	s_cmp_lg_u64 s[8:9], 0
	s_cselect_b32 s33, -1, 0
	s_sub_co_i32 s20, 0, s4
	s_mul_i32 s28, s28, s2
	v_mul_lo_u32 v10, s20, v3
	s_clause 0x4
	s_load_b64 s[48:49], s[0:1], 0x9c0
	s_load_b64 s[20:21], s[0:1], 0x0
	s_load_b64 s[22:23], s[0:1], 0xd0
	s_load_b64 s[24:25], s[0:1], 0x1a0
	s_load_b64 s[26:27], s[0:1], 0x270
	s_wait_xcnt 0x0
	s_mul_u64 s[0:1], s[28:29], s[38:39]
	s_mul_u64 s[40:41], s[28:29], s[40:41]
	;; [unrolled: 1-line block ×3, first 2 shown]
	s_lshl_b64 s[38:39], s[0:1], 1
	s_lshl_b64 s[40:41], s[40:41], 1
	;; [unrolled: 1-line block ×3, first 2 shown]
	s_mov_b32 s1, 0xbbbac73d
	v_mul_hi_u32 v10, v3, v10
	s_delay_alu instid0(VALU_DEP_1)
	v_add_nc_u32_e32 v28, v3, v10
	v_lshl_add_u64 v[4:5], v[4:5], 1, s[46:47]
	v_lshl_add_u64 v[6:7], v[6:7], 1, s[44:45]
	s_wait_kmcnt 0x0
	v_lshl_add_u64 v[8:9], v[8:9], 1, s[48:49]
	s_ashr_i32 s44, s5, 31
	s_mov_b32 s48, 0
	s_branch .LBB14_3
.LBB14_2:                               ;   in Loop: Header=BB14_3 Depth=1
	s_or_b32 exec_lo, exec_lo, s0
	v_dual_lshlrev_b32 v3, 16, v3 :: v_dual_lshlrev_b32 v20, 16, v29
	s_delay_alu instid0(VALU_DEP_2)
	v_bfi_b32 v18, 0x7fffffff, v18, v26
	v_mul_u64_e32 v[16:17], s[12:13], v[16:17]
	v_mul_u64_e32 v[12:13], s[12:13], v[12:13]
	v_cmp_o_f32_e64 s0, v26, v26
	v_add_f32_e32 v3, v3, v20
	v_mul_u64_e32 v[14:15], s[12:13], v[14:15]
	v_mul_u64_e32 v[10:11], s[12:13], v[10:11]
	v_add_nc_u64_e32 v[0:1], s[28:29], v[0:1]
	v_add_nc_u64_e32 v[4:5], s[38:39], v[4:5]
	v_add_f32_e32 v3, v3, v21
	s_delay_alu instid0(VALU_DEP_1) | instskip(NEXT) | instid1(VALU_DEP_1)
	v_add_f32_e32 v3, v19, v3
	v_mul_f32_e32 v19, 0xbfb8aa3b, v3
	s_delay_alu instid0(VALU_DEP_1) | instskip(SKIP_1) | instid1(VALU_DEP_1)
	v_fma_f32 v20, 0xbfb8aa3b, v3, -v19
	v_rndne_f32_e32 v21, v19
	v_dual_sub_f32 v19, v19, v21 :: v_dual_fmac_f32 v20, 0xb2a5705f, v3
	v_cmp_nlt_f32_e32 vcc_lo, 0x42ce8ed0, v3
	v_lshl_add_u64 v[16:17], v[16:17], 1, s[10:11]
	v_lshl_add_u64 v[12:13], v[12:13], 1, s[10:11]
	s_delay_alu instid0(VALU_DEP_4) | instskip(SKIP_3) | instid1(VALU_DEP_4)
	v_add_f32_e32 v19, v19, v20
	v_cvt_i32_f32_e32 v20, v21
	v_lshl_add_u64 v[14:15], v[14:15], 1, s[10:11]
	v_lshl_add_u64 v[10:11], v[10:11], 1, s[10:11]
	v_exp_f32_e32 v19, v19
	v_nop
	s_delay_alu instid0(TRANS32_DEP_1) | instskip(NEXT) | instid1(VALU_DEP_1)
	v_ldexp_f32 v19, v19, v20
	v_cndmask_b32_e32 v19, 0, v19, vcc_lo
	v_cmp_ngt_f32_e32 vcc_lo, 0xc2b17218, v3
	s_delay_alu instid0(VALU_DEP_2) | instskip(NEXT) | instid1(VALU_DEP_1)
	v_cndmask_b32_e32 v3, 0x7f800000, v19, vcc_lo
	v_add_f32_e32 v3, 1.0, v3
	s_delay_alu instid0(VALU_DEP_1) | instskip(SKIP_1) | instid1(VALU_DEP_2)
	v_div_scale_f32 v19, null, v3, v3, 1.0
	v_div_scale_f32 v22, vcc_lo, 1.0, v3, 1.0
	v_rcp_f32_e32 v20, v19
	v_nop
	s_delay_alu instid0(TRANS32_DEP_1) | instskip(NEXT) | instid1(VALU_DEP_1)
	v_fma_f32 v21, -v19, v20, 1.0
	v_fmac_f32_e32 v20, v21, v20
	s_delay_alu instid0(VALU_DEP_1) | instskip(NEXT) | instid1(VALU_DEP_1)
	v_mul_f32_e32 v21, v22, v20
	v_fma_f32 v27, -v19, v21, v22
	s_delay_alu instid0(VALU_DEP_1) | instskip(SKIP_1) | instid1(VALU_DEP_2)
	v_fmac_f32_e32 v21, v27, v20
	v_bfe_u32 v27, v23, 16, 1
	v_fma_f32 v19, -v19, v21, v22
	v_bfe_u32 v22, v26, 16, 1
	s_delay_alu instid0(VALU_DEP_2) | instskip(SKIP_3) | instid1(VALU_DEP_4)
	v_div_fmas_f32 v19, v19, v20, v21
	v_bfe_u32 v20, v25, 16, 1
	v_bfe_u32 v21, v24, 16, 1
	v_cmp_le_i64_e32 vcc_lo, s[6:7], v[0:1]
	v_div_fixup_f32 v3, v19, v3, 1.0
	v_add3_u32 v19, v26, v22, 0x7fff
	v_add3_u32 v20, v25, v20, 0x7fff
	;; [unrolled: 1-line block ×4, first 2 shown]
	s_delay_alu instid0(VALU_DEP_4) | instskip(NEXT) | instid1(VALU_DEP_3)
	v_dual_mul_f32 v18, v3, v18 :: v_dual_lshrrev_b32 v19, 16, v19
	v_dual_lshrrev_b32 v20, 16, v20 :: v_dual_lshrrev_b32 v21, 16, v21
	s_delay_alu instid0(VALU_DEP_3) | instskip(NEXT) | instid1(VALU_DEP_3)
	v_lshrrev_b32_e32 v22, 16, v22
	v_bfe_u32 v27, v18, 16, 1
	s_delay_alu instid0(VALU_DEP_4)
	v_cndmask_b32_e64 v19, 0x7fc0, v19, s0
	v_cmp_o_f32_e64 s0, v25, v25
	s_or_b32 s48, vcc_lo, s48
	v_add3_u32 v26, v18, v27, 0x7fff
	v_cndmask_b32_e64 v20, 0x7fc0, v20, s0
	v_cmp_o_f32_e64 s0, v24, v24
	v_bfe_u32 v24, v3, 16, 1
	s_delay_alu instid0(VALU_DEP_2) | instskip(SKIP_1) | instid1(VALU_DEP_3)
	v_cndmask_b32_e64 v21, 0x7fc0, v21, s0
	v_cmp_o_f32_e64 s0, v23, v23
	v_add3_u32 v23, v3, v24, 0x7fff
	v_lshrrev_b32_e32 v25, 16, v26
	s_delay_alu instid0(VALU_DEP_3) | instskip(SKIP_1) | instid1(VALU_DEP_4)
	v_cndmask_b32_e64 v22, 0x7fc0, v22, s0
	v_cmp_o_f32_e64 s0, v18, v18
	v_lshrrev_b32_e32 v23, 16, v23
	s_delay_alu instid0(VALU_DEP_2)
	v_cndmask_b32_e64 v18, 0x7fc0, v25, s0
	v_cmp_o_f32_e64 s0, v3, v3
	global_store_b16 v[6:7], v18, off
	global_store_b16 v[8:9], v19, off
	s_wait_xcnt 0x1
	v_add_nc_u64_e32 v[6:7], s[40:41], v[6:7]
	s_wait_xcnt 0x0
	v_add_nc_u64_e32 v[8:9], s[42:43], v[8:9]
	v_cndmask_b32_e64 v3, 0x7fc0, v23, s0
	s_clause 0x3
	global_store_b16 v[16:17], v20, off
	global_store_b16 v[14:15], v21, off
	;; [unrolled: 1-line block ×4, first 2 shown]
	s_wait_xcnt 0x0
	s_and_not1_b32 exec_lo, exec_lo, s48
	s_cbranch_execz .LBB14_18
.LBB14_3:                               ; =>This Inner Loop Header: Depth=1
	v_or_b32_e32 v3, s5, v1
                                        ; implicit-def: $vgpr18_vgpr19
	s_mov_b32 s0, exec_lo
	s_delay_alu instid0(VALU_DEP_1)
	v_cmpx_ne_u64_e32 0, v[2:3]
	s_xor_b32 s49, exec_lo, s0
	s_cbranch_execz .LBB14_5
; %bb.4:                                ;   in Loop: Header=BB14_3 Depth=1
	s_mov_b32 s45, s44
	v_dual_mov_b32 v15, v2 :: v_dual_ashrrev_i32 v10, 31, v1
	s_add_nc_u64 s[46:47], s[4:5], s[44:45]
	v_mov_b32_e32 v23, v2
	s_xor_b64 s[46:47], s[46:47], s[44:45]
	s_delay_alu instid0(VALU_DEP_2) | instskip(SKIP_3) | instid1(VALU_DEP_1)
	v_mov_b32_e32 v11, v10
	s_cvt_f32_u32 s0, s46
	s_cvt_f32_u32 s2, s47
	s_sub_nc_u64 s[52:53], 0, s[46:47]
	v_add_nc_u64_e32 v[12:13], v[0:1], v[10:11]
	s_delay_alu instid0(SALU_CYCLE_1) | instskip(SKIP_1) | instid1(SALU_CYCLE_2)
	s_fmamk_f32 s0, s2, 0x4f800000, s0
	v_mov_b32_e32 v19, v2
	v_s_rcp_f32 s0, s0
	s_delay_alu instid0(VALU_DEP_2) | instskip(NEXT) | instid1(VALU_DEP_3)
	v_xor_b32_e32 v14, v12, v10
	v_xor_b32_e32 v18, v13, v10
	s_delay_alu instid0(TRANS32_DEP_1) | instskip(NEXT) | instid1(SALU_CYCLE_3)
	s_mul_f32 s0, s0, 0x5f7ffffc
	s_mul_f32 s2, s0, 0x2f800000
	s_delay_alu instid0(SALU_CYCLE_3) | instskip(NEXT) | instid1(SALU_CYCLE_3)
	s_trunc_f32 s2, s2
	s_fmamk_f32 s0, s2, 0xcf800000, s0
	s_cvt_u32_f32 s51, s2
	s_delay_alu instid0(SALU_CYCLE_2) | instskip(NEXT) | instid1(SALU_CYCLE_3)
	s_cvt_u32_f32 s50, s0
	s_mul_u64 s[54:55], s[52:53], s[50:51]
	s_delay_alu instid0(SALU_CYCLE_1)
	s_mul_hi_u32 s57, s50, s55
	s_mul_i32 s56, s50, s55
	s_mul_hi_u32 s2, s50, s54
	s_mul_i32 s45, s51, s54
	s_add_nc_u64 s[56:57], s[2:3], s[56:57]
	s_mul_hi_u32 s0, s51, s54
	s_mul_hi_u32 s58, s51, s55
	s_add_co_u32 s2, s56, s45
	s_add_co_ci_u32 s2, s57, s0
	s_mul_i32 s54, s51, s55
	s_add_co_ci_u32 s55, s58, 0
	s_delay_alu instid0(SALU_CYCLE_1) | instskip(NEXT) | instid1(SALU_CYCLE_1)
	s_add_nc_u64 s[54:55], s[2:3], s[54:55]
	s_add_co_u32 s50, s50, s54
	s_cselect_b32 s0, -1, 0
	s_delay_alu instid0(SALU_CYCLE_1) | instskip(SKIP_1) | instid1(SALU_CYCLE_1)
	s_cmp_lg_u32 s0, 0
	s_add_co_ci_u32 s51, s51, s55
	s_mul_u64 s[52:53], s[52:53], s[50:51]
	s_delay_alu instid0(SALU_CYCLE_1)
	s_mul_hi_u32 s55, s50, s53
	s_mul_i32 s54, s50, s53
	s_mul_hi_u32 s2, s50, s52
	s_mul_i32 s45, s51, s52
	s_add_nc_u64 s[54:55], s[2:3], s[54:55]
	s_mul_hi_u32 s0, s51, s52
	s_mul_hi_u32 s56, s51, s53
	s_add_co_u32 s2, s54, s45
	s_add_co_ci_u32 s2, s55, s0
	s_mul_i32 s52, s51, s53
	s_add_co_ci_u32 s53, s56, 0
	s_delay_alu instid0(SALU_CYCLE_1) | instskip(NEXT) | instid1(SALU_CYCLE_1)
	s_add_nc_u64 s[52:53], s[2:3], s[52:53]
	s_add_co_u32 s0, s50, s52
	s_cselect_b32 s2, -1, 0
	v_mul_hi_u32 v22, v14, s0
	s_cmp_lg_u32 s2, 0
	s_add_co_ci_u32 s2, s51, s53
	s_and_b64 s[50:51], s[0:1], s[36:37]
	v_mul_u64_e32 v[16:17], s[2:3], v[14:15]
	v_mul_u64_e32 v[12:13], s[50:51], v[18:19]
	;; [unrolled: 1-line block ×3, first 2 shown]
	s_delay_alu instid0(VALU_DEP_3) | instskip(NEXT) | instid1(VALU_DEP_1)
	v_add_nc_u64_e32 v[16:17], v[22:23], v[16:17]
	v_add_co_u32 v3, vcc_lo, v16, v12
	s_delay_alu instid0(VALU_DEP_2) | instskip(NEXT) | instid1(VALU_DEP_4)
	v_add_co_ci_u32_e32 v22, vcc_lo, v17, v13, vcc_lo
	v_add_co_ci_u32_e32 v21, vcc_lo, 0, v21, vcc_lo
	s_delay_alu instid0(VALU_DEP_1) | instskip(NEXT) | instid1(VALU_DEP_1)
	v_add_nc_u64_e32 v[12:13], v[22:23], v[20:21]
	v_mul_u64_e32 v[16:17], s[46:47], v[12:13]
	s_delay_alu instid0(VALU_DEP_1) | instskip(NEXT) | instid1(VALU_DEP_2)
	v_sub_nc_u32_e32 v3, v18, v17
	v_sub_co_u32 v11, vcc_lo, v14, v16
	s_delay_alu instid0(VALU_DEP_1) | instskip(NEXT) | instid1(VALU_DEP_3)
	v_sub_co_ci_u32_e64 v18, null, v18, v17, vcc_lo
	v_subrev_co_ci_u32_e64 v3, null, s47, v3, vcc_lo
	s_delay_alu instid0(VALU_DEP_3) | instskip(SKIP_1) | instid1(VALU_DEP_3)
	v_sub_co_u32 v14, s0, v11, s46
	v_add_nc_u64_e32 v[16:17], 1, v[12:13]
	v_subrev_co_ci_u32_e64 v3, null, 0, v3, s0
	s_delay_alu instid0(VALU_DEP_3) | instskip(SKIP_1) | instid1(VALU_DEP_3)
	v_cmp_le_u32_e32 vcc_lo, s46, v14
	v_cndmask_b32_e64 v14, 0, -1, vcc_lo
	v_cmp_le_u32_e32 vcc_lo, s47, v3
	v_cndmask_b32_e64 v15, 0, -1, vcc_lo
	;; [unrolled: 2-line block ×4, first 2 shown]
	v_cmp_eq_u32_e32 vcc_lo, s47, v3
	v_cndmask_b32_e32 v3, v15, v14, vcc_lo
	v_cmp_eq_u32_e32 vcc_lo, s47, v18
	v_add_nc_u64_e32 v[14:15], 2, v[12:13]
	v_cndmask_b32_e32 v11, v19, v11, vcc_lo
	s_delay_alu instid0(VALU_DEP_4) | instskip(NEXT) | instid1(VALU_DEP_2)
	v_cmp_ne_u32_e32 vcc_lo, 0, v3
	v_cmp_ne_u32_e64 s0, 0, v11
	s_delay_alu instid0(VALU_DEP_4) | instskip(NEXT) | instid1(VALU_DEP_1)
	v_dual_cndmask_b32 v3, v17, v15, vcc_lo :: v_dual_cndmask_b32 v11, v16, v14, vcc_lo
	v_dual_cndmask_b32 v3, v13, v3, s0 :: v_dual_bitop2_b32 v10, s44, v10 bitop3:0x14
	s_delay_alu instid0(VALU_DEP_1) | instskip(NEXT) | instid1(VALU_DEP_2)
	v_dual_cndmask_b32 v12, v12, v11, s0 :: v_dual_mov_b32 v11, v10
	v_xor_b32_e32 v13, v3, v10
	s_delay_alu instid0(VALU_DEP_2) | instskip(NEXT) | instid1(VALU_DEP_1)
	v_xor_b32_e32 v12, v12, v10
	v_sub_nc_u64_e32 v[18:19], v[12:13], v[10:11]
.LBB14_5:                               ;   in Loop: Header=BB14_3 Depth=1
	s_and_not1_saveexec_b32 s0, s49
	s_cbranch_execz .LBB14_7
; %bb.6:                                ;   in Loop: Header=BB14_3 Depth=1
	v_mul_hi_u32 v3, v0, v28
	v_mov_b32_e32 v19, v2
	s_delay_alu instid0(VALU_DEP_2) | instskip(NEXT) | instid1(VALU_DEP_1)
	v_mul_lo_u32 v10, v3, s4
	v_dual_add_nc_u32 v11, 1, v3 :: v_dual_sub_nc_u32 v10, v0, v10
	s_delay_alu instid0(VALU_DEP_1) | instskip(SKIP_1) | instid1(VALU_DEP_2)
	v_subrev_nc_u32_e32 v12, s4, v10
	v_cmp_le_u32_e32 vcc_lo, s4, v10
	v_dual_cndmask_b32 v10, v10, v12 :: v_dual_cndmask_b32 v3, v3, v11
	s_delay_alu instid0(VALU_DEP_1) | instskip(NEXT) | instid1(VALU_DEP_2)
	v_cmp_le_u32_e32 vcc_lo, s4, v10
	v_add_nc_u32_e32 v11, 1, v3
	s_delay_alu instid0(VALU_DEP_1)
	v_cndmask_b32_e32 v18, v3, v11, vcc_lo
.LBB14_7:                               ;   in Loop: Header=BB14_3 Depth=1
	s_or_b32 exec_lo, exec_lo, s0
	s_delay_alu instid0(VALU_DEP_1) | instskip(SKIP_2) | instid1(VALU_DEP_1)
	v_mul_u64_e32 v[10:11], 3, v[18:19]
	v_mad_nc_u64_u32 v[16:17], s30, v18, v[0:1]
	s_and_not1_b32 vcc_lo, exec_lo, s33
	v_mad_u32 v3, s31, v18, v17
	s_delay_alu instid0(VALU_DEP_1) | instskip(NEXT) | instid1(VALU_DEP_4)
	v_mad_u32 v17, s30, v19, v3
	v_add_nc_u64_e32 v[20:21], 1, v[10:11]
	v_add_nc_u64_e32 v[22:23], 2, v[10:11]
	;; [unrolled: 1-line block ×3, first 2 shown]
	s_delay_alu instid0(VALU_DEP_3) | instskip(NEXT) | instid1(VALU_DEP_3)
	v_mad_nc_u64_u32 v[14:15], s4, v20, v[0:1]
	v_mad_nc_u64_u32 v[12:13], s4, v22, v[0:1]
	s_delay_alu instid0(VALU_DEP_3) | instskip(NEXT) | instid1(VALU_DEP_3)
	v_mad_nc_u64_u32 v[10:11], s4, v24, v[0:1]
	v_mad_u32 v15, s5, v20, v15
	s_delay_alu instid0(VALU_DEP_3) | instskip(NEXT) | instid1(VALU_DEP_3)
	v_mad_u32 v13, s5, v22, v13
	v_mad_u32 v11, s5, v24, v11
	s_delay_alu instid0(VALU_DEP_3) | instskip(NEXT) | instid1(VALU_DEP_3)
	v_mad_u32 v15, s4, v21, v15
	v_mad_u32 v13, s4, v23, v13
	s_delay_alu instid0(VALU_DEP_3)
	v_mad_u32 v11, s4, v25, v11
	v_mul_u64_e32 v[20:21], s[22:23], v[16:17]
	v_mul_u64_e32 v[22:23], s[26:27], v[16:17]
	;; [unrolled: 1-line block ×8, first 2 shown]
	v_lshl_add_u64 v[20:21], v[20:21], 1, s[20:21]
	v_lshl_add_u64 v[38:39], v[22:23], 1, s[24:25]
	;; [unrolled: 1-line block ×8, first 2 shown]
	s_clause 0x3
	global_load_u16 v27, v[20:21], off
	global_load_u16 v24, v[40:41], off
	;; [unrolled: 1-line block ×4, first 2 shown]
	s_clause 0x3
	global_load_u16 v30, v[38:39], off
	global_load_u16 v25, v[32:33], off
	;; [unrolled: 1-line block ×5, first 2 shown]
	s_cbranch_vccnz .LBB14_9
; %bb.8:                                ;   in Loop: Header=BB14_3 Depth=1
	s_wait_xcnt 0x3
	v_sub_nc_u64_e32 v[32:33], 1, v[18:19]
	v_mad_nc_u64_u32 v[20:21], s34, v18, v[0:1]
	s_wait_xcnt 0x2
	v_sub_nc_u64_e32 v[34:35], 2, v[18:19]
	s_wait_xcnt 0x1
	v_sub_nc_u64_e32 v[36:37], 3, v[18:19]
	s_delay_alu instid0(VALU_DEP_4) | instskip(NEXT) | instid1(VALU_DEP_3)
	v_mad_nc_u64_u32 v[38:39], s4, v32, v[0:1]
	v_mad_nc_u64_u32 v[40:41], s4, v34, v[0:1]
	s_delay_alu instid0(VALU_DEP_3) | instskip(SKIP_1) | instid1(VALU_DEP_4)
	v_mad_nc_u64_u32 v[42:43], s4, v36, v[0:1]
	v_mad_u32 v18, s35, v18, v21
	v_mad_u32 v31, s5, v32, v39
	s_delay_alu instid0(VALU_DEP_4) | instskip(NEXT) | instid1(VALU_DEP_4)
	v_mad_u32 v32, s5, v34, v41
	v_mad_u32 v34, s5, v36, v43
	s_delay_alu instid0(VALU_DEP_4) | instskip(NEXT) | instid1(VALU_DEP_4)
	;; [unrolled: 3-line block ×3, first 2 shown]
	v_mad_u32 v41, s4, v35, v32
	v_mad_u32 v43, s4, v37, v34
	s_delay_alu instid0(VALU_DEP_4)
	v_mul_u64_e32 v[18:19], s[14:15], v[20:21]
	v_mul_u64_e32 v[20:21], s[18:19], v[20:21]
	;; [unrolled: 1-line block ×8, first 2 shown]
	v_lshl_add_u64 v[18:19], v[18:19], 1, s[8:9]
	v_lshl_add_u64 v[20:21], v[20:21], 1, s[16:17]
	global_load_u16 v31, v[18:19], off
	global_load_u16 v44, v[20:21], off
	s_wait_xcnt 0x1
	v_lshl_add_u64 v[18:19], v[32:33], 1, s[8:9]
	v_lshl_add_u64 v[32:33], v[36:37], 1, s[16:17]
	s_wait_xcnt 0x0
	v_lshl_add_u64 v[20:21], v[34:35], 1, s[8:9]
	v_lshl_add_u64 v[34:35], v[38:39], 1, s[8:9]
	;; [unrolled: 1-line block ×4, first 2 shown]
	global_load_u16 v40, v[18:19], off
	global_load_u16 v41, v[32:33], off
	s_clause 0x1
	global_load_u16 v42, v[20:21], off
	global_load_u16 v43, v[34:35], off
	s_clause 0x1
	global_load_u16 v45, v[36:37], off
	global_load_u16 v46, v[38:39], off
	s_wait_loadcnt 0x6
	s_wait_xcnt 0x2
	v_dual_lshlrev_b32 v34, 16, v31 :: v_dual_lshlrev_b32 v32, 16, v44
	s_wait_loadcnt 0x4
	v_dual_lshlrev_b32 v33, 16, v40 :: v_dual_lshlrev_b32 v31, 16, v41
	s_wait_loadcnt 0x2
	;; [unrolled: 2-line block ×3, first 2 shown]
	v_dual_lshlrev_b32 v18, 16, v45 :: v_dual_lshlrev_b32 v19, 16, v46
	s_branch .LBB14_10
.LBB14_9:                               ;   in Loop: Header=BB14_3 Depth=1
	v_mov_b32_e32 v18, 0
	s_delay_alu instid0(VALU_DEP_1)
	v_dual_mov_b32 v19, v18 :: v_dual_mov_b32 v31, v18
	s_wait_xcnt 0x3
	v_dual_mov_b32 v32, v18 :: v_dual_mov_b32 v20, v18
	v_dual_mov_b32 v21, v18 :: v_dual_mov_b32 v33, v18
	s_wait_xcnt 0x2
	v_mov_b32_e32 v34, v18
.LBB14_10:                              ;   in Loop: Header=BB14_3 Depth=1
	s_wait_loadcnt 0x2
	v_dual_lshlrev_b32 v23, 16, v23 :: v_dual_lshlrev_b32 v22, 16, v22
	s_wait_xcnt 0x1
	s_delay_alu instid0(VALU_DEP_1) | instskip(NEXT) | instid1(VALU_DEP_1)
	v_mov_b32_e32 v36, v23
	v_pk_add_f32 v[22:23], v[36:37], v[22:23]
	s_delay_alu instid0(VALU_DEP_1) | instskip(NEXT) | instid1(VALU_DEP_1)
	v_pk_add_f32 v[22:23], v[22:23], v[20:21]
	v_pk_add_f32 v[22:23], v[18:19], v[22:23]
                                        ; implicit-def: $vgpr18
	s_delay_alu instid0(VALU_DEP_1) | instskip(SKIP_2) | instid1(SALU_CYCLE_1)
	v_cmp_ngt_f32_e64 s0, 0x3f200000, |v22|
	s_wait_xcnt 0x0
	s_and_saveexec_b32 s2, s0
	s_xor_b32 s0, exec_lo, s2
	s_cbranch_execz .LBB14_12
; %bb.11:                               ;   in Loop: Header=BB14_3 Depth=1
	v_add_f32_e64 v18, |v22|, |v22|
	s_delay_alu instid0(VALU_DEP_1) | instskip(SKIP_1) | instid1(VALU_DEP_2)
	v_mul_f32_e32 v20, 0x3fb8aa3b, v18
	v_cmp_ngt_f32_e32 vcc_lo, 0xc2ce8ed0, v18
	v_rndne_f32_e32 v23, v20
	v_fma_f32 v35, 0x3fb8aa3b, v18, -v20
	s_delay_alu instid0(VALU_DEP_1) | instskip(SKIP_1) | instid1(VALU_DEP_2)
	v_dual_sub_f32 v20, v20, v23 :: v_dual_fmac_f32 v35, 0x32a5705f, v18
	v_cvt_i32_f32_e32 v23, v23
	v_add_f32_e32 v20, v20, v35
	s_delay_alu instid0(VALU_DEP_1) | instskip(SKIP_1) | instid1(TRANS32_DEP_1)
	v_exp_f32_e32 v20, v20
	v_nop
	v_ldexp_f32 v20, v20, v23
	s_delay_alu instid0(VALU_DEP_1) | instskip(SKIP_1) | instid1(VALU_DEP_2)
	v_cndmask_b32_e32 v20, 0, v20, vcc_lo
	v_cmp_nlt_f32_e32 vcc_lo, 0x42b17218, v18
	v_cndmask_b32_e32 v18, 0x7f800000, v20, vcc_lo
	s_delay_alu instid0(VALU_DEP_1) | instskip(NEXT) | instid1(VALU_DEP_1)
	v_add_f32_e32 v18, 1.0, v18
	v_rcp_f32_e32 v18, v18
	v_nop
	s_delay_alu instid0(TRANS32_DEP_1)
	v_fma_f32 v18, v18, -2.0, 1.0
.LBB14_12:                              ;   in Loop: Header=BB14_3 Depth=1
	s_and_not1_saveexec_b32 s0, s0
	s_cbranch_execz .LBB14_14
; %bb.13:                               ;   in Loop: Header=BB14_3 Depth=1
	v_mul_f32_e32 v18, v22, v22
	s_delay_alu instid0(VALU_DEP_1) | instskip(NEXT) | instid1(VALU_DEP_1)
	v_fmaak_f32 v20, s1, v18, 0x3ca908c9
	v_fmaak_f32 v20, v18, v20, 0xbd5c1c4e
	s_delay_alu instid0(VALU_DEP_1) | instskip(NEXT) | instid1(VALU_DEP_1)
	v_fmaak_f32 v20, v18, v20, 0x3e088382
	v_fmaak_f32 v20, v18, v20, 0xbeaaaa99
	s_delay_alu instid0(VALU_DEP_1) | instskip(NEXT) | instid1(VALU_DEP_1)
	v_mul_f32_e64 v20, |v22|, v20
	v_fma_f32 v18, v18, v20, |v22|
.LBB14_14:                              ;   in Loop: Header=BB14_3 Depth=1
	s_or_b32 exec_lo, exec_lo, s0
	v_dual_lshlrev_b32 v20, 16, v27 :: v_dual_lshlrev_b32 v23, 16, v30
	v_dual_lshlrev_b32 v24, 16, v24 :: v_dual_lshlrev_b32 v25, 16, v25
	s_delay_alu instid0(VALU_DEP_2) | instskip(NEXT) | instid1(VALU_DEP_2)
	v_add_f32_e32 v20, v23, v20
	v_add_f32_e32 v23, v25, v24
	s_delay_alu instid0(VALU_DEP_1) | instskip(NEXT) | instid1(VALU_DEP_1)
	v_dual_add_f32 v23, v23, v33 :: v_dual_add_f32 v20, v20, v34
	v_dual_add_f32 v23, v31, v23 :: v_dual_add_f32 v20, v32, v20
	s_delay_alu instid0(VALU_DEP_1) | instskip(SKIP_1) | instid1(VALU_DEP_2)
	v_dual_mul_f32 v25, 0xbfb8aa3b, v23 :: v_dual_mul_f32 v24, 0xbfb8aa3b, v20
	v_cmp_nlt_f32_e32 vcc_lo, 0x42ce8ed0, v20
	v_rndne_f32_e32 v32, v25
	s_delay_alu instid0(VALU_DEP_3) | instskip(SKIP_2) | instid1(VALU_DEP_2)
	v_fma_f32 v27, 0xbfb8aa3b, v20, -v24
	v_rndne_f32_e32 v30, v24
	v_fma_f32 v31, 0xbfb8aa3b, v23, -v25
	v_dual_fmac_f32 v27, 0xb2a5705f, v20 :: v_dual_sub_f32 v24, v24, v30
	s_delay_alu instid0(VALU_DEP_1) | instskip(SKIP_2) | instid1(VALU_DEP_3)
	v_dual_sub_f32 v25, v25, v32 :: v_dual_add_f32 v24, v24, v27
	v_cvt_i32_f32_e32 v27, v30
	v_cvt_i32_f32_e32 v30, v32
	v_exp_f32_e32 v24, v24
	v_nop
	s_delay_alu instid0(TRANS32_DEP_1) | instskip(NEXT) | instid1(VALU_DEP_1)
	v_ldexp_f32 v24, v24, v27
	v_dual_fmac_f32 v31, 0xb2a5705f, v23 :: v_dual_cndmask_b32 v24, 0, v24
	s_delay_alu instid0(VALU_DEP_1) | instskip(SKIP_1) | instid1(VALU_DEP_2)
	v_add_f32_e32 v25, v25, v31
	v_cmp_nlt_f32_e32 vcc_lo, 0x42ce8ed0, v23
	v_exp_f32_e32 v25, v25
	v_nop
	s_delay_alu instid0(TRANS32_DEP_1) | instskip(NEXT) | instid1(VALU_DEP_1)
	v_ldexp_f32 v25, v25, v30
	v_cndmask_b32_e32 v27, 0, v25, vcc_lo
	v_cmp_ngt_f32_e32 vcc_lo, 0xc2b17218, v20
	v_cndmask_b32_e32 v25, 0x7f800000, v24, vcc_lo
	v_cmp_ngt_f32_e32 vcc_lo, 0xc2b17218, v23
	s_delay_alu instid0(VALU_DEP_4) | instskip(NEXT) | instid1(VALU_DEP_1)
	v_cndmask_b32_e32 v24, 0x7f800000, v27, vcc_lo
	v_pk_add_f32 v[24:25], v[24:25], 1.0 op_sel_hi:[1,0]
	s_delay_alu instid0(VALU_DEP_1) | instskip(NEXT) | instid1(VALU_DEP_2)
	v_div_scale_f32 v20, null, v25, v25, 1.0
	v_div_scale_f32 v23, null, v24, v24, 1.0
	v_div_scale_f32 v33, vcc_lo, 1.0, v25, 1.0
	s_delay_alu instid0(VALU_DEP_3) | instskip(NEXT) | instid1(VALU_DEP_2)
	v_rcp_f32_e32 v27, v20
	v_rcp_f32_e32 v30, v23
	s_delay_alu instid0(TRANS32_DEP_2) | instskip(NEXT) | instid1(TRANS32_DEP_1)
	v_fma_f32 v31, -v20, v27, 1.0
	v_fma_f32 v32, -v23, v30, 1.0
	s_delay_alu instid0(VALU_DEP_2) | instskip(SKIP_1) | instid1(VALU_DEP_2)
	v_fmac_f32_e32 v27, v31, v27
	v_div_scale_f32 v31, s0, 1.0, v24, 1.0
	v_dual_fmac_f32 v30, v32, v30 :: v_dual_mul_f32 v32, v33, v27
	s_delay_alu instid0(VALU_DEP_1) | instskip(NEXT) | instid1(VALU_DEP_1)
	v_dual_mul_f32 v34, v31, v30 :: v_dual_fma_f32 v35, -v20, v32, v33
	v_fma_f32 v36, -v23, v34, v31
	s_delay_alu instid0(VALU_DEP_1) | instskip(NEXT) | instid1(VALU_DEP_1)
	v_dual_fmac_f32 v32, v35, v27 :: v_dual_fmac_f32 v34, v36, v30
	v_dual_fma_f32 v20, -v20, v32, v33 :: v_dual_fma_f32 v23, -v23, v34, v31
	s_delay_alu instid0(VALU_DEP_1) | instskip(SKIP_1) | instid1(VALU_DEP_2)
	v_div_fmas_f32 v20, v20, v27, v32
	s_mov_b32 vcc_lo, s0
	v_div_fmas_f32 v27, v23, v30, v34
	v_bfi_b32 v23, 0x7fffffff, v18, v22
	s_delay_alu instid0(VALU_DEP_3) | instskip(SKIP_3) | instid1(VALU_DEP_3)
	v_div_fixup_f32 v25, v20, v25, 1.0
	s_wait_loadcnt 0x0
	v_lshlrev_b32_e32 v22, 16, v26
	v_div_fixup_f32 v24, v27, v24, 1.0
	v_mul_f32_e32 v18, v25, v23
	s_delay_alu instid0(VALU_DEP_1) | instskip(NEXT) | instid1(VALU_DEP_1)
	v_pk_fma_f32 v[26:27], v[24:25], v[22:23], v[18:19] op_sel_hi:[1,1,0]
                                        ; implicit-def: $vgpr18
	v_cmp_ngt_f32_e64 s0, 0x3f200000, |v26|
	s_and_saveexec_b32 s2, s0
	s_delay_alu instid0(SALU_CYCLE_1)
	s_xor_b32 s0, exec_lo, s2
	s_cbranch_execz .LBB14_16
; %bb.15:                               ;   in Loop: Header=BB14_3 Depth=1
	v_add_f32_e64 v18, |v26|, |v26|
	s_delay_alu instid0(VALU_DEP_1) | instskip(SKIP_1) | instid1(VALU_DEP_2)
	v_mul_f32_e32 v20, 0x3fb8aa3b, v18
	v_cmp_ngt_f32_e32 vcc_lo, 0xc2ce8ed0, v18
	v_rndne_f32_e32 v22, v20
	v_fma_f32 v27, 0x3fb8aa3b, v18, -v20
	s_delay_alu instid0(VALU_DEP_2) | instskip(NEXT) | instid1(VALU_DEP_2)
	v_sub_f32_e32 v20, v20, v22
	v_fmac_f32_e32 v27, 0x32a5705f, v18
	v_cvt_i32_f32_e32 v22, v22
	s_delay_alu instid0(VALU_DEP_2) | instskip(NEXT) | instid1(VALU_DEP_1)
	v_add_f32_e32 v20, v20, v27
	v_exp_f32_e32 v20, v20
	v_nop
	s_delay_alu instid0(TRANS32_DEP_1) | instskip(NEXT) | instid1(VALU_DEP_1)
	v_ldexp_f32 v20, v20, v22
	v_cndmask_b32_e32 v20, 0, v20, vcc_lo
	v_cmp_nlt_f32_e32 vcc_lo, 0x42b17218, v18
	s_delay_alu instid0(VALU_DEP_2) | instskip(NEXT) | instid1(VALU_DEP_1)
	v_cndmask_b32_e32 v18, 0x7f800000, v20, vcc_lo
	v_add_f32_e32 v18, 1.0, v18
	s_delay_alu instid0(VALU_DEP_1) | instskip(SKIP_1) | instid1(TRANS32_DEP_1)
	v_rcp_f32_e32 v18, v18
	v_nop
	v_fma_f32 v18, v18, -2.0, 1.0
.LBB14_16:                              ;   in Loop: Header=BB14_3 Depth=1
	s_and_not1_saveexec_b32 s0, s0
	s_cbranch_execz .LBB14_2
; %bb.17:                               ;   in Loop: Header=BB14_3 Depth=1
	v_mul_f32_e32 v18, v26, v26
	s_delay_alu instid0(VALU_DEP_1) | instskip(NEXT) | instid1(VALU_DEP_1)
	v_fmaak_f32 v20, s1, v18, 0x3ca908c9
	v_fmaak_f32 v20, v18, v20, 0xbd5c1c4e
	s_delay_alu instid0(VALU_DEP_1) | instskip(NEXT) | instid1(VALU_DEP_1)
	v_fmaak_f32 v20, v18, v20, 0x3e088382
	v_fmaak_f32 v20, v18, v20, 0xbeaaaa99
	s_delay_alu instid0(VALU_DEP_1) | instskip(NEXT) | instid1(VALU_DEP_1)
	v_mul_f32_e64 v20, |v26|, v20
	v_fma_f32 v18, v18, v20, |v26|
	s_branch .LBB14_2
.LBB14_18:
	s_endpgm
	.section	.rodata,"a",@progbits
	.p2align	6, 0x0
	.amdhsa_kernel _ZN2at6native12_GLOBAL__N_16kernel17lstm_cell_forwardIN3c108BFloat16EflLi1EEEvNS_4cuda6detail10TensorInfoIT_T1_EESB_SB_SB_SB_SB_SB_SB_SA_SA_
		.amdhsa_group_segment_fixed_size 0
		.amdhsa_private_segment_fixed_size 0
		.amdhsa_kernarg_size 3600
		.amdhsa_user_sgpr_count 2
		.amdhsa_user_sgpr_dispatch_ptr 0
		.amdhsa_user_sgpr_queue_ptr 0
		.amdhsa_user_sgpr_kernarg_segment_ptr 1
		.amdhsa_user_sgpr_dispatch_id 0
		.amdhsa_user_sgpr_kernarg_preload_length 0
		.amdhsa_user_sgpr_kernarg_preload_offset 0
		.amdhsa_user_sgpr_private_segment_size 0
		.amdhsa_wavefront_size32 1
		.amdhsa_uses_dynamic_stack 0
		.amdhsa_enable_private_segment 0
		.amdhsa_system_sgpr_workgroup_id_x 1
		.amdhsa_system_sgpr_workgroup_id_y 0
		.amdhsa_system_sgpr_workgroup_id_z 0
		.amdhsa_system_sgpr_workgroup_info 0
		.amdhsa_system_vgpr_workitem_id 0
		.amdhsa_next_free_vgpr 47
		.amdhsa_next_free_sgpr 59
		.amdhsa_named_barrier_count 0
		.amdhsa_reserve_vcc 1
		.amdhsa_float_round_mode_32 0
		.amdhsa_float_round_mode_16_64 0
		.amdhsa_float_denorm_mode_32 3
		.amdhsa_float_denorm_mode_16_64 3
		.amdhsa_fp16_overflow 0
		.amdhsa_memory_ordered 1
		.amdhsa_forward_progress 1
		.amdhsa_inst_pref_size 30
		.amdhsa_round_robin_scheduling 0
		.amdhsa_exception_fp_ieee_invalid_op 0
		.amdhsa_exception_fp_denorm_src 0
		.amdhsa_exception_fp_ieee_div_zero 0
		.amdhsa_exception_fp_ieee_overflow 0
		.amdhsa_exception_fp_ieee_underflow 0
		.amdhsa_exception_fp_ieee_inexact 0
		.amdhsa_exception_int_div_zero 0
	.end_amdhsa_kernel
	.section	.text._ZN2at6native12_GLOBAL__N_16kernel17lstm_cell_forwardIN3c108BFloat16EflLi1EEEvNS_4cuda6detail10TensorInfoIT_T1_EESB_SB_SB_SB_SB_SB_SB_SA_SA_,"axG",@progbits,_ZN2at6native12_GLOBAL__N_16kernel17lstm_cell_forwardIN3c108BFloat16EflLi1EEEvNS_4cuda6detail10TensorInfoIT_T1_EESB_SB_SB_SB_SB_SB_SB_SA_SA_,comdat
.Lfunc_end14:
	.size	_ZN2at6native12_GLOBAL__N_16kernel17lstm_cell_forwardIN3c108BFloat16EflLi1EEEvNS_4cuda6detail10TensorInfoIT_T1_EESB_SB_SB_SB_SB_SB_SB_SA_SA_, .Lfunc_end14-_ZN2at6native12_GLOBAL__N_16kernel17lstm_cell_forwardIN3c108BFloat16EflLi1EEEvNS_4cuda6detail10TensorInfoIT_T1_EESB_SB_SB_SB_SB_SB_SB_SA_SA_
                                        ; -- End function
	.set _ZN2at6native12_GLOBAL__N_16kernel17lstm_cell_forwardIN3c108BFloat16EflLi1EEEvNS_4cuda6detail10TensorInfoIT_T1_EESB_SB_SB_SB_SB_SB_SB_SA_SA_.num_vgpr, 47
	.set _ZN2at6native12_GLOBAL__N_16kernel17lstm_cell_forwardIN3c108BFloat16EflLi1EEEvNS_4cuda6detail10TensorInfoIT_T1_EESB_SB_SB_SB_SB_SB_SB_SA_SA_.num_agpr, 0
	.set _ZN2at6native12_GLOBAL__N_16kernel17lstm_cell_forwardIN3c108BFloat16EflLi1EEEvNS_4cuda6detail10TensorInfoIT_T1_EESB_SB_SB_SB_SB_SB_SB_SA_SA_.numbered_sgpr, 59
	.set _ZN2at6native12_GLOBAL__N_16kernel17lstm_cell_forwardIN3c108BFloat16EflLi1EEEvNS_4cuda6detail10TensorInfoIT_T1_EESB_SB_SB_SB_SB_SB_SB_SA_SA_.num_named_barrier, 0
	.set _ZN2at6native12_GLOBAL__N_16kernel17lstm_cell_forwardIN3c108BFloat16EflLi1EEEvNS_4cuda6detail10TensorInfoIT_T1_EESB_SB_SB_SB_SB_SB_SB_SA_SA_.private_seg_size, 0
	.set _ZN2at6native12_GLOBAL__N_16kernel17lstm_cell_forwardIN3c108BFloat16EflLi1EEEvNS_4cuda6detail10TensorInfoIT_T1_EESB_SB_SB_SB_SB_SB_SB_SA_SA_.uses_vcc, 1
	.set _ZN2at6native12_GLOBAL__N_16kernel17lstm_cell_forwardIN3c108BFloat16EflLi1EEEvNS_4cuda6detail10TensorInfoIT_T1_EESB_SB_SB_SB_SB_SB_SB_SA_SA_.uses_flat_scratch, 0
	.set _ZN2at6native12_GLOBAL__N_16kernel17lstm_cell_forwardIN3c108BFloat16EflLi1EEEvNS_4cuda6detail10TensorInfoIT_T1_EESB_SB_SB_SB_SB_SB_SB_SA_SA_.has_dyn_sized_stack, 0
	.set _ZN2at6native12_GLOBAL__N_16kernel17lstm_cell_forwardIN3c108BFloat16EflLi1EEEvNS_4cuda6detail10TensorInfoIT_T1_EESB_SB_SB_SB_SB_SB_SB_SA_SA_.has_recursion, 0
	.set _ZN2at6native12_GLOBAL__N_16kernel17lstm_cell_forwardIN3c108BFloat16EflLi1EEEvNS_4cuda6detail10TensorInfoIT_T1_EESB_SB_SB_SB_SB_SB_SB_SA_SA_.has_indirect_call, 0
	.section	.AMDGPU.csdata,"",@progbits
; Kernel info:
; codeLenInByte = 3720
; TotalNumSgprs: 61
; NumVgprs: 47
; ScratchSize: 0
; MemoryBound: 0
; FloatMode: 240
; IeeeMode: 1
; LDSByteSize: 0 bytes/workgroup (compile time only)
; SGPRBlocks: 0
; VGPRBlocks: 2
; NumSGPRsForWavesPerEU: 61
; NumVGPRsForWavesPerEU: 47
; NamedBarCnt: 0
; Occupancy: 16
; WaveLimiterHint : 1
; COMPUTE_PGM_RSRC2:SCRATCH_EN: 0
; COMPUTE_PGM_RSRC2:USER_SGPR: 2
; COMPUTE_PGM_RSRC2:TRAP_HANDLER: 0
; COMPUTE_PGM_RSRC2:TGID_X_EN: 1
; COMPUTE_PGM_RSRC2:TGID_Y_EN: 0
; COMPUTE_PGM_RSRC2:TGID_Z_EN: 0
; COMPUTE_PGM_RSRC2:TIDIG_COMP_CNT: 0
	.section	.text._ZN2at6native12_GLOBAL__N_16kernel17lstm_cell_forwardIN3c108BFloat16EflLi2EEEvNS_4cuda6detail10TensorInfoIT_T1_EESB_SB_SB_SB_SB_SB_SB_SA_SA_,"axG",@progbits,_ZN2at6native12_GLOBAL__N_16kernel17lstm_cell_forwardIN3c108BFloat16EflLi2EEEvNS_4cuda6detail10TensorInfoIT_T1_EESB_SB_SB_SB_SB_SB_SB_SA_SA_,comdat
	.globl	_ZN2at6native12_GLOBAL__N_16kernel17lstm_cell_forwardIN3c108BFloat16EflLi2EEEvNS_4cuda6detail10TensorInfoIT_T1_EESB_SB_SB_SB_SB_SB_SB_SA_SA_ ; -- Begin function _ZN2at6native12_GLOBAL__N_16kernel17lstm_cell_forwardIN3c108BFloat16EflLi2EEEvNS_4cuda6detail10TensorInfoIT_T1_EESB_SB_SB_SB_SB_SB_SB_SA_SA_
	.p2align	8
	.type	_ZN2at6native12_GLOBAL__N_16kernel17lstm_cell_forwardIN3c108BFloat16EflLi2EEEvNS_4cuda6detail10TensorInfoIT_T1_EESB_SB_SB_SB_SB_SB_SB_SA_SA_,@function
_ZN2at6native12_GLOBAL__N_16kernel17lstm_cell_forwardIN3c108BFloat16EflLi2EEEvNS_4cuda6detail10TensorInfoIT_T1_EESB_SB_SB_SB_SB_SB_SB_SA_SA_: ; @_ZN2at6native12_GLOBAL__N_16kernel17lstm_cell_forwardIN3c108BFloat16EflLi2EEEvNS_4cuda6detail10TensorInfoIT_T1_EESB_SB_SB_SB_SB_SB_SB_SA_SA_
; %bb.0:
	s_clause 0x1
	s_load_b32 s2, s[0:1], 0xd1c
	s_load_b128 s[4:7], s[0:1], 0xd00
	s_bfe_u32 s3, ttmp6, 0x4000c
	s_and_b32 s8, ttmp6, 15
	s_add_co_i32 s3, s3, 1
	s_getreg_b32 s9, hwreg(HW_REG_IB_STS2, 6, 4)
	s_mul_i32 s3, ttmp9, s3
	v_mov_b32_e32 v2, 0
	s_add_co_i32 s8, s8, s3
	s_delay_alu instid0(VALU_DEP_1)
	v_mov_b32_e32 v1, v2
	s_wait_kmcnt 0x0
	s_and_b32 s2, s2, 0xffff
	s_cmp_eq_u32 s9, 0
	s_cselect_b32 s3, ttmp9, s8
	s_mov_b32 s8, exec_lo
	v_mad_u32 v0, s3, s2, v0
	s_mov_b32 s3, 0
	s_delay_alu instid0(VALU_DEP_1)
	v_cmpx_gt_i64_e64 s[6:7], v[0:1]
	s_cbranch_execz .LBB15_78
; %bb.1:
	v_cvt_f32_u32_e32 v3, s4
	s_add_nc_u64 s[20:21], s[0:1], 0xd10
	s_clause 0x6
	s_load_b64 s[34:35], s[0:1], 0x0
	s_load_b64 s[36:37], s[0:1], 0x10
	s_load_b128 s[8:11], s[0:1], 0xd0
	s_load_b64 s[38:39], s[0:1], 0x1a0
	s_load_b64 s[40:41], s[0:1], 0x340
	;; [unrolled: 1-line block ×3, first 2 shown]
	s_load_b128 s[12:15], s[0:1], 0x270
	s_load_b32 s33, s[20:21], 0x0
	s_clause 0x7
	s_load_b64 s[44:45], s[0:1], 0x410
	s_load_b64 s[46:47], s[0:1], 0x4e0
	;; [unrolled: 1-line block ×5, first 2 shown]
	s_load_b128 s[16:19], s[0:1], 0x750
	s_load_b64 s[54:55], s[0:1], 0x820
	; meta instruction
	s_load_b64 s[56:57], s[0:1], 0x830
	s_wait_xcnt 0x0
	s_clause 0x6
	s_load_b128 s[20:23], s[0:1], 0x8f0
	s_load_b64 s[58:59], s[0:1], 0x9c0
	s_load_b64 s[60:61], s[0:1], 0x9d0
	s_load_b128 s[24:27], s[0:1], 0xa90
	s_load_b64 s[62:63], s[0:1], 0xb60
	s_load_b64 s[64:65], s[0:1], 0xb70
	s_load_b128 s[28:31], s[0:1], 0xc30
	s_mov_b32 s67, s3
	v_rcp_iflag_f32_e32 v3, v3
	s_wait_kmcnt 0x0
	s_cmp_lg_u64 s[40:41], 0
	s_mul_u64 s[68:69], s[4:5], 3
	s_cselect_b32 s1, -1, 0
	s_mul_i32 s66, s33, s2
	s_sub_nc_u64 s[70:71], 0, s[4:5]
	s_mov_b64 s[74:75], 0xffffffff
	v_nop
	v_mul_f32_e32 v3, 0x4f7ffffe, v3
	s_sub_nc_u64 s[72:73], 0, s[52:53]
	s_mov_b32 s33, 0xbbbac73d
	s_mov_b32 s84, 0
	s_sub_nc_u64 s[76:77], 0, s[56:57]
	v_cvt_u32_f32_e32 v34, v3
	s_sub_nc_u64 s[78:79], 0, s[60:61]
	s_branch .LBB15_3
.LBB15_2:                               ;   in Loop: Header=BB15_3 Depth=1
	s_or_b32 exec_lo, exec_lo, s0
	v_lshlrev_b32_e32 v8, 16, v38
	v_lshlrev_b32_e32 v10, 16, v42
	v_bfe_u32 v35, v30, 16, 1
	v_mul_u64_e32 v[40:41], s[64:65], v[20:21]
	v_mul_u64_e32 v[42:43], s[64:65], v[18:19]
	v_bfe_u32 v48, v29, 16, 1
	v_bfe_u32 v49, v28, 16, 1
	v_add3_u32 v35, v30, v35, 0x7fff
	v_add_f32_e32 v8, v8, v10
	v_bfe_u32 v50, v27, 16, 1
	v_mad_nc_u64_u32 v[36:37], s76, v22, v[0:1]
	v_mul_u64_e32 v[46:47], s[64:65], v[32:33]
	v_lshrrev_b32_e32 v35, 16, v35
	v_add_f32_e32 v8, v8, v11
	v_mul_u64_e32 v[44:45], s[64:65], v[16:17]
	v_mul_u64_e32 v[38:39], s[20:21], v[22:23]
	;; [unrolled: 1-line block ×4, first 2 shown]
	v_add_f32_e32 v26, v9, v8
	v_bfi_b32 v3, 0x7fffffff, v3, v30
	v_mul_u64_e32 v[16:17], s[28:29], v[16:17]
	v_mad_u32 v22, s77, v22, v37
	v_mul_u64_e32 v[20:21], s[28:29], v[20:21]
	v_mul_f32_e32 v8, 0xbfb8aa3b, v26
	s_delay_alu instid0(VALU_DEP_1) | instskip(SKIP_1) | instid1(VALU_DEP_1)
	v_fma_f32 v9, 0xbfb8aa3b, v26, -v8
	v_rndne_f32_e32 v10, v8
	v_sub_f32_e32 v8, v8, v10
	s_delay_alu instid0(VALU_DEP_3) | instskip(SKIP_3) | instid1(VALU_DEP_4)
	v_fmac_f32_e32 v9, 0xb2a5705f, v26
	v_cmp_nlt_f32_e32 vcc_lo, 0x42ce8ed0, v26
	v_sub_nc_u64_e32 v[14:15], v[14:15], v[40:41]
	v_sub_nc_u64_e32 v[12:13], v[12:13], v[42:43]
	v_add_f32_e32 v8, v8, v9
	v_cvt_i32_f32_e32 v9, v10
	v_mul_u64_e32 v[10:11], s[24:25], v[24:25]
	v_sub_nc_u64_e32 v[4:5], v[4:5], v[46:47]
	v_add_nc_u64_e32 v[14:15], v[0:1], v[14:15]
	v_exp_f32_e32 v8, v8
	v_add_nc_u64_e32 v[12:13], v[0:1], v[12:13]
	v_sub_nc_u64_e32 v[6:7], v[6:7], v[44:45]
	v_lshl_add_u64 v[18:19], v[18:19], 1, s[62:63]
	v_add_nc_u64_e32 v[4:5], v[0:1], v[4:5]
	v_mul_u64_e32 v[14:15], s[30:31], v[14:15]
	s_delay_alu instid0(TRANS32_DEP_1)
	v_ldexp_f32 v31, v8, v9
	v_mad_nc_u64_u32 v[8:9], s78, v24, v[0:1]
	v_mul_u64_e32 v[12:13], s[30:31], v[12:13]
	v_add_nc_u64_e32 v[6:7], v[0:1], v[6:7]
	v_add_nc_u64_e32 v[0:1], s[66:67], v[0:1]
	v_cndmask_b32_e32 v31, 0, v31, vcc_lo
	v_cmp_ngt_f32_e32 vcc_lo, 0xc2b17218, v26
	v_mul_u64_e32 v[4:5], s[30:31], v[4:5]
	v_lshl_add_u64 v[16:17], v[16:17], 1, s[62:63]
	v_lshl_add_u64 v[20:21], v[20:21], 1, s[62:63]
	v_mul_u64_e32 v[6:7], s[30:31], v[6:7]
	v_mad_u32 v9, s79, v24, v9
	v_add3_u32 v24, v29, v48, 0x7fff
	v_add3_u32 v48, v28, v49, 0x7fff
	;; [unrolled: 1-line block ×3, first 2 shown]
	v_cndmask_b32_e32 v26, 0x7f800000, v31, vcc_lo
	s_delay_alu instid0(VALU_DEP_4) | instskip(NEXT) | instid1(VALU_DEP_3)
	v_lshrrev_b32_e32 v24, 16, v24
	v_dual_lshrrev_b32 v40, 16, v48 :: v_dual_lshrrev_b32 v41, 16, v49
	s_delay_alu instid0(VALU_DEP_3) | instskip(SKIP_2) | instid1(VALU_DEP_3)
	v_add_f32_e32 v26, 1.0, v26
	v_lshl_add_u64 v[10:11], v[10:11], 1, s[58:59]
	v_mad_u32 v9, s78, v25, v9
	v_div_scale_f32 v31, null, v26, v26, 1.0
	v_div_scale_f32 v50, vcc_lo, 1.0, v26, 1.0
	s_delay_alu instid0(VALU_DEP_2) | instskip(SKIP_1) | instid1(VALU_DEP_4)
	v_rcp_f32_e32 v51, v31
	v_lshl_add_u64 v[14:15], v[14:15], 1, v[20:21]
	v_mul_u64_e32 v[8:9], s[26:27], v[8:9]
	v_lshl_add_u64 v[12:13], v[12:13], 1, v[18:19]
	s_delay_alu instid0(TRANS32_DEP_1) | instskip(SKIP_1) | instid1(VALU_DEP_2)
	v_fma_f32 v37, -v31, v51, 1.0
	v_lshl_add_u64 v[6:7], v[6:7], 1, v[16:17]
	v_fmac_f32_e32 v51, v37, v51
	v_mad_u32 v37, s76, v23, v22
	s_delay_alu instid0(VALU_DEP_2) | instskip(NEXT) | instid1(VALU_DEP_1)
	v_mul_f32_e32 v25, v50, v51
	v_fma_f32 v22, -v31, v25, v50
	s_delay_alu instid0(VALU_DEP_1) | instskip(NEXT) | instid1(VALU_DEP_4)
	v_fmac_f32_e32 v25, v22, v51
	v_mul_u64_e32 v[22:23], s[22:23], v[36:37]
	s_delay_alu instid0(VALU_DEP_2) | instskip(SKIP_1) | instid1(VALU_DEP_2)
	v_fma_f32 v31, -v31, v25, v50
	v_lshl_add_u64 v[8:9], v[8:9], 1, v[10:11]
	v_div_fmas_f32 v25, v31, v51, v25
	v_cmp_o_f32_e32 vcc_lo, v30, v30
	s_delay_alu instid0(VALU_DEP_2) | instskip(SKIP_2) | instid1(VALU_DEP_3)
	v_div_fixup_f32 v31, v25, v26, 1.0
	v_cndmask_b32_e32 v30, 0x7fc0, v35, vcc_lo
	v_cmp_o_f32_e32 vcc_lo, v29, v29
	v_bfe_u32 v37, v31, 16, 1
	v_cndmask_b32_e32 v29, 0x7fc0, v24, vcc_lo
	v_cmp_o_f32_e32 vcc_lo, v28, v28
	v_lshl_add_u64 v[24:25], v[38:39], 1, s[54:55]
	v_cndmask_b32_e32 v28, 0x7fc0, v40, vcc_lo
	v_cmp_o_f32_e32 vcc_lo, v27, v27
	v_lshl_add_u64 v[26:27], v[32:33], 1, s[62:63]
	v_add3_u32 v33, v31, v37, 0x7fff
	v_lshl_add_u64 v[10:11], v[22:23], 1, v[24:25]
	s_delay_alu instid0(VALU_DEP_3) | instskip(NEXT) | instid1(VALU_DEP_3)
	v_lshl_add_u64 v[4:5], v[4:5], 1, v[26:27]
	v_dual_mul_f32 v3, v31, v3 :: v_dual_lshrrev_b32 v18, 16, v33
	s_delay_alu instid0(VALU_DEP_1) | instskip(NEXT) | instid1(VALU_DEP_1)
	v_bfe_u32 v36, v3, 16, 1
	v_add3_u32 v32, v3, v36, 0x7fff
	v_cndmask_b32_e32 v35, 0x7fc0, v41, vcc_lo
	v_cmp_le_i64_e32 vcc_lo, s[6:7], v[0:1]
	s_delay_alu instid0(VALU_DEP_3) | instskip(SKIP_2) | instid1(VALU_DEP_2)
	v_lshrrev_b32_e32 v22, 16, v32
	s_or_b32 s84, vcc_lo, s84
	v_cmp_o_f32_e32 vcc_lo, v3, v3
	v_cndmask_b32_e32 v3, 0x7fc0, v22, vcc_lo
	v_cmp_o_f32_e32 vcc_lo, v31, v31
	v_cndmask_b32_e32 v16, 0x7fc0, v18, vcc_lo
	global_store_b16 v[10:11], v3, off
	global_store_b16 v[8:9], v30, off
	s_clause 0x3
	global_store_b16 v[4:5], v29, off
	global_store_b16 v[6:7], v28, off
	;; [unrolled: 1-line block ×4, first 2 shown]
	s_wait_xcnt 0x0
	s_and_not1_b32 exec_lo, exec_lo, s84
	s_cbranch_execz .LBB15_78
.LBB15_3:                               ; =>This Inner Loop Header: Depth=1
	v_dual_ashrrev_i32 v8, 31, v1 :: v_dual_bitop2_b32 v3, s5, v1 bitop3:0x54
                                        ; implicit-def: $vgpr10_vgpr11
	s_mov_b32 s0, exec_lo
	s_delay_alu instid0(VALU_DEP_1)
	v_cmpx_ne_u64_e32 0, v[2:3]
	s_xor_b32 s85, exec_lo, s0
	s_cbranch_execz .LBB15_5
; %bb.4:                                ;   in Loop: Header=BB15_3 Depth=1
	s_ashr_i32 s80, s5, 31
	v_dual_mov_b32 v9, v8 :: v_dual_mov_b32 v7, v2
	s_mov_b32 s81, s80
	v_mov_b32_e32 v13, v2
	s_add_nc_u64 s[82:83], s[4:5], s[80:81]
	s_delay_alu instid0(VALU_DEP_2)
	v_add_nc_u64_e32 v[4:5], v[0:1], v[8:9]
	s_xor_b64 s[82:83], s[82:83], s[80:81]
	v_mov_b32_e32 v17, v2
	s_cvt_f32_u32 s0, s82
	s_cvt_f32_u32 s2, s83
	s_sub_nc_u64 s[88:89], 0, s[82:83]
	s_delay_alu instid0(VALU_DEP_2) | instskip(NEXT) | instid1(SALU_CYCLE_1)
	v_xor_b32_e32 v6, v4, v8
	s_fmamk_f32 s0, s2, 0x4f800000, s0
	v_xor_b32_e32 v12, v5, v8
	s_delay_alu instid0(SALU_CYCLE_2) | instskip(NEXT) | instid1(TRANS32_DEP_1)
	v_s_rcp_f32 s0, s0
	s_mul_f32 s0, s0, 0x5f7ffffc
	s_delay_alu instid0(SALU_CYCLE_3) | instskip(NEXT) | instid1(SALU_CYCLE_3)
	s_mul_f32 s2, s0, 0x2f800000
	s_trunc_f32 s2, s2
	s_delay_alu instid0(SALU_CYCLE_3) | instskip(SKIP_1) | instid1(SALU_CYCLE_2)
	s_fmamk_f32 s0, s2, 0xcf800000, s0
	s_cvt_u32_f32 s87, s2
	s_cvt_u32_f32 s86, s0
	s_delay_alu instid0(SALU_CYCLE_3) | instskip(NEXT) | instid1(SALU_CYCLE_1)
	s_mul_u64 s[90:91], s[88:89], s[86:87]
	s_mul_hi_u32 s93, s86, s91
	s_mul_i32 s92, s86, s91
	s_mul_hi_u32 s2, s86, s90
	s_mul_i32 s81, s87, s90
	s_add_nc_u64 s[92:93], s[2:3], s[92:93]
	s_mul_hi_u32 s0, s87, s90
	s_mul_hi_u32 s94, s87, s91
	s_add_co_u32 s2, s92, s81
	s_add_co_ci_u32 s2, s93, s0
	s_mul_i32 s90, s87, s91
	s_add_co_ci_u32 s91, s94, 0
	s_delay_alu instid0(SALU_CYCLE_1) | instskip(NEXT) | instid1(SALU_CYCLE_1)
	s_add_nc_u64 s[90:91], s[2:3], s[90:91]
	s_add_co_u32 s86, s86, s90
	s_cselect_b32 s0, -1, 0
	s_delay_alu instid0(SALU_CYCLE_1) | instskip(SKIP_1) | instid1(SALU_CYCLE_1)
	s_cmp_lg_u32 s0, 0
	s_add_co_ci_u32 s87, s87, s91
	s_mul_u64 s[88:89], s[88:89], s[86:87]
	s_delay_alu instid0(SALU_CYCLE_1)
	s_mul_hi_u32 s91, s86, s89
	s_mul_i32 s90, s86, s89
	s_mul_hi_u32 s2, s86, s88
	s_mul_i32 s81, s87, s88
	s_add_nc_u64 s[90:91], s[2:3], s[90:91]
	s_mul_hi_u32 s0, s87, s88
	s_mul_hi_u32 s92, s87, s89
	s_add_co_u32 s2, s90, s81
	s_add_co_ci_u32 s2, s91, s0
	s_mul_i32 s88, s87, s89
	s_add_co_ci_u32 s89, s92, 0
	s_delay_alu instid0(SALU_CYCLE_1) | instskip(NEXT) | instid1(SALU_CYCLE_1)
	s_add_nc_u64 s[88:89], s[2:3], s[88:89]
	s_add_co_u32 s0, s86, s88
	s_cselect_b32 s2, -1, 0
	v_nop
	v_mul_hi_u32 v16, v6, s0
	s_cmp_lg_u32 s2, 0
	s_add_co_ci_u32 s2, s87, s89
	s_and_b64 s[86:87], s[0:1], s[74:75]
	v_mul_u64_e32 v[10:11], s[2:3], v[6:7]
	v_mul_u64_e32 v[4:5], s[86:87], v[12:13]
	;; [unrolled: 1-line block ×3, first 2 shown]
	s_delay_alu instid0(VALU_DEP_3) | instskip(NEXT) | instid1(VALU_DEP_1)
	v_add_nc_u64_e32 v[10:11], v[16:17], v[10:11]
	v_add_co_u32 v3, vcc_lo, v10, v4
	s_delay_alu instid0(VALU_DEP_2) | instskip(NEXT) | instid1(VALU_DEP_4)
	v_add_co_ci_u32_e32 v16, vcc_lo, v11, v5, vcc_lo
	v_add_co_ci_u32_e32 v15, vcc_lo, 0, v15, vcc_lo
	s_delay_alu instid0(VALU_DEP_1) | instskip(NEXT) | instid1(VALU_DEP_1)
	v_add_nc_u64_e32 v[4:5], v[16:17], v[14:15]
	v_mul_u64_e32 v[10:11], s[82:83], v[4:5]
	s_delay_alu instid0(VALU_DEP_1) | instskip(NEXT) | instid1(VALU_DEP_2)
	v_sub_nc_u32_e32 v3, v12, v11
	v_sub_co_u32 v6, vcc_lo, v6, v10
	s_delay_alu instid0(VALU_DEP_1) | instskip(NEXT) | instid1(VALU_DEP_3)
	v_sub_co_ci_u32_e64 v9, null, v12, v11, vcc_lo
	v_subrev_co_ci_u32_e64 v3, null, s83, v3, vcc_lo
	s_delay_alu instid0(VALU_DEP_3) | instskip(NEXT) | instid1(VALU_DEP_1)
	v_sub_co_u32 v7, s0, v6, s82
	v_subrev_co_ci_u32_e64 v3, null, 0, v3, s0
	s_delay_alu instid0(VALU_DEP_2) | instskip(SKIP_1) | instid1(VALU_DEP_3)
	v_cmp_le_u32_e32 vcc_lo, s82, v7
	v_cndmask_b32_e64 v7, 0, -1, vcc_lo
	v_cmp_le_u32_e32 vcc_lo, s83, v3
	v_cndmask_b32_e64 v10, 0, -1, vcc_lo
	;; [unrolled: 2-line block ×4, first 2 shown]
	v_cmp_eq_u32_e32 vcc_lo, s83, v3
	v_cndmask_b32_e32 v3, v10, v7, vcc_lo
	v_cmp_eq_u32_e32 vcc_lo, s83, v9
	v_add_nc_u64_e32 v[6:7], 2, v[4:5]
	v_add_nc_u64_e32 v[10:11], 1, v[4:5]
	v_cndmask_b32_e32 v9, v13, v12, vcc_lo
	v_cmp_ne_u32_e32 vcc_lo, 0, v3
	s_delay_alu instid0(VALU_DEP_2) | instskip(NEXT) | instid1(VALU_DEP_4)
	v_cmp_ne_u32_e64 s0, 0, v9
	v_dual_cndmask_b32 v3, v11, v7, vcc_lo :: v_dual_cndmask_b32 v7, v10, v6, vcc_lo
	s_delay_alu instid0(VALU_DEP_1) | instskip(NEXT) | instid1(VALU_DEP_1)
	v_dual_cndmask_b32 v3, v5, v3, s0 :: v_dual_bitop2_b32 v6, s80, v8 bitop3:0x14
	v_dual_cndmask_b32 v4, v4, v7, s0 :: v_dual_mov_b32 v7, v6
	s_delay_alu instid0(VALU_DEP_2) | instskip(NEXT) | instid1(VALU_DEP_2)
	v_xor_b32_e32 v5, v3, v6
	v_xor_b32_e32 v4, v4, v6
	s_delay_alu instid0(VALU_DEP_1)
	v_sub_nc_u64_e32 v[10:11], v[4:5], v[6:7]
.LBB15_5:                               ;   in Loop: Header=BB15_3 Depth=1
	s_and_not1_saveexec_b32 s0, s85
	s_cbranch_execz .LBB15_7
; %bb.6:                                ;   in Loop: Header=BB15_3 Depth=1
	s_sub_co_i32 s2, 0, s4
	v_mov_b32_e32 v11, v2
	v_mul_lo_u32 v3, s2, v34
	s_delay_alu instid0(VALU_DEP_1) | instskip(NEXT) | instid1(VALU_DEP_1)
	v_mul_hi_u32 v3, v34, v3
	v_add_nc_u32_e32 v3, v34, v3
	s_delay_alu instid0(VALU_DEP_1) | instskip(NEXT) | instid1(VALU_DEP_1)
	v_mul_hi_u32 v3, v0, v3
	v_mul_lo_u32 v4, v3, s4
	s_delay_alu instid0(VALU_DEP_1) | instskip(NEXT) | instid1(VALU_DEP_1)
	v_sub_nc_u32_e32 v4, v0, v4
	v_subrev_nc_u32_e32 v6, s4, v4
	v_cmp_le_u32_e32 vcc_lo, s4, v4
	s_delay_alu instid0(VALU_DEP_2) | instskip(NEXT) | instid1(VALU_DEP_1)
	v_dual_cndmask_b32 v4, v4, v6 :: v_dual_add_nc_u32 v5, 1, v3
	v_cndmask_b32_e32 v3, v3, v5, vcc_lo
	s_delay_alu instid0(VALU_DEP_2) | instskip(NEXT) | instid1(VALU_DEP_2)
	v_cmp_le_u32_e32 vcc_lo, s4, v4
	v_add_nc_u32_e32 v5, 1, v3
	s_delay_alu instid0(VALU_DEP_1)
	v_cndmask_b32_e32 v10, v3, v5, vcc_lo
.LBB15_7:                               ;   in Loop: Header=BB15_3 Depth=1
	s_or_b32 exec_lo, exec_lo, s0
	s_delay_alu instid0(VALU_DEP_1) | instskip(SKIP_1) | instid1(VALU_DEP_1)
	v_mul_u64_e32 v[4:5], s[68:69], v[10:11]
                                        ; implicit-def: $vgpr6_vgpr7
	s_mov_b32 s0, exec_lo
	v_add_nc_u64_e32 v[24:25], v[0:1], v[4:5]
	s_delay_alu instid0(VALU_DEP_1) | instskip(NEXT) | instid1(VALU_DEP_1)
	v_dual_ashrrev_i32 v16, 31, v25 :: v_dual_bitop2_b32 v3, s37, v25 bitop3:0x54
	v_cmpx_ne_u64_e32 0, v[2:3]
	s_xor_b32 s85, exec_lo, s0
	s_cbranch_execz .LBB15_9
; %bb.8:                                ;   in Loop: Header=BB15_3 Depth=1
	s_ashr_i32 s80, s37, 31
	v_dual_mov_b32 v17, v16 :: v_dual_mov_b32 v13, v2
	s_mov_b32 s81, s80
	v_mov_b32_e32 v23, v2
	s_add_nc_u64 s[82:83], s[36:37], s[80:81]
	s_delay_alu instid0(VALU_DEP_2)
	v_add_nc_u64_e32 v[6:7], v[24:25], v[16:17]
	s_xor_b64 s[82:83], s[82:83], s[80:81]
	v_mov_b32_e32 v19, v2
	s_cvt_f32_u32 s0, s82
	s_cvt_f32_u32 s2, s83
	s_sub_nc_u64 s[88:89], 0, s[82:83]
	s_delay_alu instid0(VALU_DEP_2) | instskip(NEXT) | instid1(SALU_CYCLE_1)
	v_xor_b32_e32 v12, v6, v16
	s_fmamk_f32 s0, s2, 0x4f800000, s0
	v_xor_b32_e32 v18, v7, v16
	s_delay_alu instid0(SALU_CYCLE_2) | instskip(NEXT) | instid1(TRANS32_DEP_1)
	v_s_rcp_f32 s0, s0
	s_mul_f32 s0, s0, 0x5f7ffffc
	s_delay_alu instid0(SALU_CYCLE_3) | instskip(NEXT) | instid1(SALU_CYCLE_3)
	s_mul_f32 s2, s0, 0x2f800000
	s_trunc_f32 s2, s2
	s_delay_alu instid0(SALU_CYCLE_3) | instskip(SKIP_1) | instid1(SALU_CYCLE_2)
	s_fmamk_f32 s0, s2, 0xcf800000, s0
	s_cvt_u32_f32 s87, s2
	s_cvt_u32_f32 s86, s0
	s_delay_alu instid0(SALU_CYCLE_3) | instskip(NEXT) | instid1(SALU_CYCLE_1)
	s_mul_u64 s[90:91], s[88:89], s[86:87]
	s_mul_hi_u32 s93, s86, s91
	s_mul_i32 s92, s86, s91
	s_mul_hi_u32 s2, s86, s90
	s_mul_i32 s81, s87, s90
	s_add_nc_u64 s[92:93], s[2:3], s[92:93]
	s_mul_hi_u32 s0, s87, s90
	s_mul_hi_u32 s94, s87, s91
	s_add_co_u32 s2, s92, s81
	s_add_co_ci_u32 s2, s93, s0
	s_mul_i32 s90, s87, s91
	s_add_co_ci_u32 s91, s94, 0
	s_delay_alu instid0(SALU_CYCLE_1) | instskip(NEXT) | instid1(SALU_CYCLE_1)
	s_add_nc_u64 s[90:91], s[2:3], s[90:91]
	s_add_co_u32 s86, s86, s90
	s_cselect_b32 s0, -1, 0
	s_delay_alu instid0(SALU_CYCLE_1) | instskip(SKIP_1) | instid1(SALU_CYCLE_1)
	s_cmp_lg_u32 s0, 0
	s_add_co_ci_u32 s87, s87, s91
	s_mul_u64 s[88:89], s[88:89], s[86:87]
	s_delay_alu instid0(SALU_CYCLE_1)
	s_mul_hi_u32 s91, s86, s89
	s_mul_i32 s90, s86, s89
	s_mul_hi_u32 s2, s86, s88
	s_mul_i32 s81, s87, s88
	s_add_nc_u64 s[90:91], s[2:3], s[90:91]
	s_mul_hi_u32 s0, s87, s88
	s_mul_hi_u32 s92, s87, s89
	s_add_co_u32 s2, s90, s81
	s_add_co_ci_u32 s2, s91, s0
	s_mul_i32 s88, s87, s89
	s_add_co_ci_u32 s89, s92, 0
	s_delay_alu instid0(SALU_CYCLE_1) | instskip(NEXT) | instid1(SALU_CYCLE_1)
	s_add_nc_u64 s[88:89], s[2:3], s[88:89]
	s_add_co_u32 s0, s86, s88
	s_cselect_b32 s2, -1, 0
	v_nop
	v_mul_hi_u32 v22, v12, s0
	s_cmp_lg_u32 s2, 0
	s_add_co_ci_u32 s2, s87, s89
	s_and_b64 s[86:87], s[0:1], s[74:75]
	v_mul_u64_e32 v[14:15], s[2:3], v[12:13]
	v_mul_u64_e32 v[6:7], s[86:87], v[18:19]
	;; [unrolled: 1-line block ×3, first 2 shown]
	s_delay_alu instid0(VALU_DEP_3) | instskip(NEXT) | instid1(VALU_DEP_1)
	v_add_nc_u64_e32 v[14:15], v[22:23], v[14:15]
	v_add_co_u32 v3, vcc_lo, v14, v6
	s_delay_alu instid0(VALU_DEP_2) | instskip(NEXT) | instid1(VALU_DEP_4)
	v_add_co_ci_u32_e32 v22, vcc_lo, v15, v7, vcc_lo
	v_add_co_ci_u32_e32 v21, vcc_lo, 0, v21, vcc_lo
	s_delay_alu instid0(VALU_DEP_1) | instskip(NEXT) | instid1(VALU_DEP_1)
	v_add_nc_u64_e32 v[6:7], v[22:23], v[20:21]
	v_mul_u64_e32 v[14:15], s[82:83], v[6:7]
	s_delay_alu instid0(VALU_DEP_1) | instskip(NEXT) | instid1(VALU_DEP_2)
	v_sub_nc_u32_e32 v3, v18, v15
	v_sub_co_u32 v9, vcc_lo, v12, v14
	s_delay_alu instid0(VALU_DEP_1) | instskip(NEXT) | instid1(VALU_DEP_3)
	v_sub_co_ci_u32_e64 v17, null, v18, v15, vcc_lo
	v_subrev_co_ci_u32_e64 v3, null, s83, v3, vcc_lo
	s_delay_alu instid0(VALU_DEP_3) | instskip(SKIP_1) | instid1(VALU_DEP_3)
	v_sub_co_u32 v12, s0, v9, s82
	v_add_nc_u64_e32 v[14:15], 1, v[6:7]
	v_subrev_co_ci_u32_e64 v3, null, 0, v3, s0
	s_delay_alu instid0(VALU_DEP_3) | instskip(SKIP_1) | instid1(VALU_DEP_3)
	v_cmp_le_u32_e32 vcc_lo, s82, v12
	v_cndmask_b32_e64 v12, 0, -1, vcc_lo
	v_cmp_le_u32_e32 vcc_lo, s83, v3
	v_cndmask_b32_e64 v13, 0, -1, vcc_lo
	;; [unrolled: 2-line block ×4, first 2 shown]
	v_cmp_eq_u32_e32 vcc_lo, s83, v3
	v_cndmask_b32_e32 v3, v13, v12, vcc_lo
	v_cmp_eq_u32_e32 vcc_lo, s83, v17
	v_add_nc_u64_e32 v[12:13], 2, v[6:7]
	v_cndmask_b32_e32 v9, v18, v9, vcc_lo
	s_delay_alu instid0(VALU_DEP_4) | instskip(NEXT) | instid1(VALU_DEP_2)
	v_cmp_ne_u32_e32 vcc_lo, 0, v3
	v_cmp_ne_u32_e64 s0, 0, v9
	s_delay_alu instid0(VALU_DEP_4) | instskip(NEXT) | instid1(VALU_DEP_1)
	v_dual_cndmask_b32 v3, v15, v13, vcc_lo :: v_dual_cndmask_b32 v9, v14, v12, vcc_lo
	v_dual_cndmask_b32 v3, v7, v3, s0 :: v_dual_bitop2_b32 v12, s80, v16 bitop3:0x14
	s_delay_alu instid0(VALU_DEP_1) | instskip(NEXT) | instid1(VALU_DEP_2)
	v_dual_cndmask_b32 v6, v6, v9, s0 :: v_dual_mov_b32 v13, v12
	v_xor_b32_e32 v7, v3, v12
	s_delay_alu instid0(VALU_DEP_2) | instskip(NEXT) | instid1(VALU_DEP_1)
	v_xor_b32_e32 v6, v6, v12
	v_sub_nc_u64_e32 v[6:7], v[6:7], v[12:13]
.LBB15_9:                               ;   in Loop: Header=BB15_3 Depth=1
	s_or_saveexec_b32 s0, s85
	v_cvt_f32_u32_e32 v9, s36
	s_xor_b32 exec_lo, exec_lo, s0
	s_cbranch_execz .LBB15_11
; %bb.10:                               ;   in Loop: Header=BB15_3 Depth=1
	s_delay_alu instid0(VALU_DEP_1) | instskip(SKIP_2) | instid1(TRANS32_DEP_1)
	v_rcp_iflag_f32_e32 v3, v9
	s_sub_co_i32 s2, 0, s36
	v_nop
	v_mul_f32_e32 v3, 0x4f7ffffe, v3
	s_delay_alu instid0(VALU_DEP_1) | instskip(NEXT) | instid1(VALU_DEP_1)
	v_cvt_u32_f32_e32 v3, v3
	v_mul_lo_u32 v6, s2, v3
	s_delay_alu instid0(VALU_DEP_1) | instskip(NEXT) | instid1(VALU_DEP_1)
	v_mul_hi_u32 v6, v3, v6
	v_add_nc_u32_e32 v3, v3, v6
	s_delay_alu instid0(VALU_DEP_1) | instskip(NEXT) | instid1(VALU_DEP_1)
	v_mul_hi_u32 v3, v24, v3
	v_mul_lo_u32 v6, v3, s36
	s_delay_alu instid0(VALU_DEP_1) | instskip(NEXT) | instid1(VALU_DEP_1)
	v_dual_add_nc_u32 v7, 1, v3 :: v_dual_sub_nc_u32 v6, v24, v6
	v_subrev_nc_u32_e32 v12, s36, v6
	v_cmp_le_u32_e32 vcc_lo, s36, v6
	s_delay_alu instid0(VALU_DEP_2) | instskip(NEXT) | instid1(VALU_DEP_1)
	v_dual_cndmask_b32 v6, v6, v12 :: v_dual_cndmask_b32 v3, v3, v7
	v_cmp_le_u32_e32 vcc_lo, s36, v6
	s_delay_alu instid0(VALU_DEP_2) | instskip(NEXT) | instid1(VALU_DEP_1)
	v_add_nc_u32_e32 v7, 1, v3
	v_dual_cndmask_b32 v6, v3, v7 :: v_dual_mov_b32 v7, v2
.LBB15_11:                              ;   in Loop: Header=BB15_3 Depth=1
	s_or_b32 exec_lo, exec_lo, s0
	s_delay_alu instid0(VALU_DEP_1) | instskip(SKIP_3) | instid1(VALU_DEP_3)
	v_mul_u64_e32 v[12:13], s[36:37], v[6:7]
	v_mul_u64_e32 v[6:7], s[8:9], v[6:7]
	;; [unrolled: 1-line block ×3, first 2 shown]
	s_mov_b32 s0, exec_lo
	v_sub_nc_u64_e32 v[12:13], v[4:5], v[12:13]
	s_delay_alu instid0(VALU_DEP_3) | instskip(NEXT) | instid1(VALU_DEP_2)
	v_lshl_add_u64 v[6:7], v[6:7], 1, s[34:35]
	v_add_nc_u64_e32 v[12:13], v[0:1], v[12:13]
	s_delay_alu instid0(VALU_DEP_1) | instskip(NEXT) | instid1(VALU_DEP_1)
	v_mul_u64_e32 v[12:13], s[10:11], v[12:13]
	v_lshl_add_u64 v[6:7], v[12:13], 1, v[6:7]
                                        ; implicit-def: $vgpr12_vgpr13
	global_load_u16 v35, v[6:7], off
	s_wait_xcnt 0x0
	v_mad_nc_u64_u32 v[6:7], s4, v14, s[4:5]
	s_delay_alu instid0(VALU_DEP_1) | instskip(NEXT) | instid1(VALU_DEP_1)
	v_mad_u32 v3, s5, v14, v7
	v_mad_u32 v7, s4, v15, v3
	s_delay_alu instid0(VALU_DEP_1) | instskip(NEXT) | instid1(VALU_DEP_1)
	v_add_nc_u64_e32 v[26:27], v[0:1], v[6:7]
	v_dual_ashrrev_i32 v18, 31, v27 :: v_dual_bitop2_b32 v3, s37, v27 bitop3:0x54
	s_delay_alu instid0(VALU_DEP_1)
	v_cmpx_ne_u64_e32 0, v[2:3]
	s_xor_b32 s85, exec_lo, s0
	s_cbranch_execz .LBB15_13
; %bb.12:                               ;   in Loop: Header=BB15_3 Depth=1
	s_ashr_i32 s80, s37, 31
	v_dual_mov_b32 v19, v18 :: v_dual_mov_b32 v21, v2
	s_mov_b32 s81, s80
	v_mov_b32_e32 v29, v2
	s_add_nc_u64 s[82:83], s[36:37], s[80:81]
	s_delay_alu instid0(VALU_DEP_2)
	v_add_nc_u64_e32 v[12:13], v[26:27], v[18:19]
	s_xor_b64 s[82:83], s[82:83], s[80:81]
	v_mov_b32_e32 v33, v2
	s_cvt_f32_u32 s0, s82
	s_cvt_f32_u32 s2, s83
	s_sub_nc_u64 s[88:89], 0, s[82:83]
	s_delay_alu instid0(VALU_DEP_2) | instskip(NEXT) | instid1(SALU_CYCLE_1)
	v_xor_b32_e32 v20, v12, v18
	s_fmamk_f32 s0, s2, 0x4f800000, s0
	v_xor_b32_e32 v28, v13, v18
	s_delay_alu instid0(SALU_CYCLE_2) | instskip(NEXT) | instid1(TRANS32_DEP_1)
	v_s_rcp_f32 s0, s0
	s_mul_f32 s0, s0, 0x5f7ffffc
	s_delay_alu instid0(SALU_CYCLE_3) | instskip(NEXT) | instid1(SALU_CYCLE_3)
	s_mul_f32 s2, s0, 0x2f800000
	s_trunc_f32 s2, s2
	s_delay_alu instid0(SALU_CYCLE_3) | instskip(SKIP_1) | instid1(SALU_CYCLE_2)
	s_fmamk_f32 s0, s2, 0xcf800000, s0
	s_cvt_u32_f32 s87, s2
	s_cvt_u32_f32 s86, s0
	s_delay_alu instid0(SALU_CYCLE_3) | instskip(NEXT) | instid1(SALU_CYCLE_1)
	s_mul_u64 s[90:91], s[88:89], s[86:87]
	s_mul_hi_u32 s93, s86, s91
	s_mul_i32 s92, s86, s91
	s_mul_hi_u32 s2, s86, s90
	s_mul_i32 s81, s87, s90
	s_add_nc_u64 s[92:93], s[2:3], s[92:93]
	s_mul_hi_u32 s0, s87, s90
	s_mul_hi_u32 s94, s87, s91
	s_add_co_u32 s2, s92, s81
	s_add_co_ci_u32 s2, s93, s0
	s_mul_i32 s90, s87, s91
	s_add_co_ci_u32 s91, s94, 0
	s_delay_alu instid0(SALU_CYCLE_1) | instskip(NEXT) | instid1(SALU_CYCLE_1)
	s_add_nc_u64 s[90:91], s[2:3], s[90:91]
	s_add_co_u32 s86, s86, s90
	s_cselect_b32 s0, -1, 0
	s_delay_alu instid0(SALU_CYCLE_1) | instskip(SKIP_1) | instid1(SALU_CYCLE_1)
	s_cmp_lg_u32 s0, 0
	s_add_co_ci_u32 s87, s87, s91
	s_mul_u64 s[88:89], s[88:89], s[86:87]
	s_delay_alu instid0(SALU_CYCLE_1)
	s_mul_hi_u32 s91, s86, s89
	s_mul_i32 s90, s86, s89
	s_mul_hi_u32 s2, s86, s88
	s_mul_i32 s81, s87, s88
	s_add_nc_u64 s[90:91], s[2:3], s[90:91]
	s_mul_hi_u32 s0, s87, s88
	s_mul_hi_u32 s92, s87, s89
	s_add_co_u32 s2, s90, s81
	s_add_co_ci_u32 s2, s91, s0
	s_mul_i32 s88, s87, s89
	s_add_co_ci_u32 s89, s92, 0
	s_delay_alu instid0(SALU_CYCLE_1) | instskip(NEXT) | instid1(SALU_CYCLE_1)
	s_add_nc_u64 s[88:89], s[2:3], s[88:89]
	s_add_co_u32 s0, s86, s88
	s_cselect_b32 s2, -1, 0
	v_nop
	v_mul_hi_u32 v32, v20, s0
	s_cmp_lg_u32 s2, 0
	s_add_co_ci_u32 s2, s87, s89
	s_and_b64 s[86:87], s[0:1], s[74:75]
	v_mul_u64_e32 v[22:23], s[2:3], v[20:21]
	v_mul_u64_e32 v[12:13], s[86:87], v[28:29]
	;; [unrolled: 1-line block ×3, first 2 shown]
	s_delay_alu instid0(VALU_DEP_3) | instskip(NEXT) | instid1(VALU_DEP_1)
	v_add_nc_u64_e32 v[22:23], v[32:33], v[22:23]
	v_add_co_u32 v3, vcc_lo, v22, v12
	s_delay_alu instid0(VALU_DEP_2) | instskip(NEXT) | instid1(VALU_DEP_4)
	v_add_co_ci_u32_e32 v32, vcc_lo, v23, v13, vcc_lo
	v_add_co_ci_u32_e32 v31, vcc_lo, 0, v31, vcc_lo
	s_delay_alu instid0(VALU_DEP_1) | instskip(NEXT) | instid1(VALU_DEP_1)
	v_add_nc_u64_e32 v[12:13], v[32:33], v[30:31]
	v_mul_u64_e32 v[22:23], s[82:83], v[12:13]
	s_delay_alu instid0(VALU_DEP_1) | instskip(NEXT) | instid1(VALU_DEP_2)
	v_sub_nc_u32_e32 v3, v28, v23
	v_sub_co_u32 v17, vcc_lo, v20, v22
	s_delay_alu instid0(VALU_DEP_1) | instskip(NEXT) | instid1(VALU_DEP_3)
	v_sub_co_ci_u32_e64 v28, null, v28, v23, vcc_lo
	v_subrev_co_ci_u32_e64 v3, null, s83, v3, vcc_lo
	s_delay_alu instid0(VALU_DEP_3) | instskip(SKIP_1) | instid1(VALU_DEP_3)
	v_sub_co_u32 v19, s0, v17, s82
	v_add_nc_u64_e32 v[22:23], 1, v[12:13]
	v_subrev_co_ci_u32_e64 v3, null, 0, v3, s0
	s_delay_alu instid0(VALU_DEP_3) | instskip(SKIP_1) | instid1(VALU_DEP_3)
	v_cmp_le_u32_e32 vcc_lo, s82, v19
	v_cndmask_b32_e64 v19, 0, -1, vcc_lo
	v_cmp_le_u32_e32 vcc_lo, s83, v3
	v_cndmask_b32_e64 v20, 0, -1, vcc_lo
	;; [unrolled: 2-line block ×4, first 2 shown]
	v_cmp_eq_u32_e32 vcc_lo, s83, v3
	v_cndmask_b32_e32 v3, v20, v19, vcc_lo
	v_cmp_eq_u32_e32 vcc_lo, s83, v28
	v_add_nc_u64_e32 v[20:21], 2, v[12:13]
	v_cndmask_b32_e32 v17, v29, v17, vcc_lo
	s_delay_alu instid0(VALU_DEP_4) | instskip(NEXT) | instid1(VALU_DEP_2)
	v_cmp_ne_u32_e32 vcc_lo, 0, v3
	v_cmp_ne_u32_e64 s0, 0, v17
	s_delay_alu instid0(VALU_DEP_4) | instskip(NEXT) | instid1(VALU_DEP_1)
	v_dual_cndmask_b32 v3, v23, v21, vcc_lo :: v_dual_cndmask_b32 v17, v22, v20, vcc_lo
	v_dual_cndmask_b32 v3, v13, v3, s0 :: v_dual_bitop2_b32 v20, s80, v18 bitop3:0x14
	s_delay_alu instid0(VALU_DEP_2) | instskip(NEXT) | instid1(VALU_DEP_2)
	v_cndmask_b32_e64 v12, v12, v17, s0
	v_dual_mov_b32 v21, v20 :: v_dual_bitop2_b32 v13, v3, v20 bitop3:0x14
	s_delay_alu instid0(VALU_DEP_2) | instskip(NEXT) | instid1(VALU_DEP_1)
	v_xor_b32_e32 v12, v12, v20
	v_sub_nc_u64_e32 v[12:13], v[12:13], v[20:21]
.LBB15_13:                              ;   in Loop: Header=BB15_3 Depth=1
	s_and_not1_saveexec_b32 s0, s85
	s_cbranch_execz .LBB15_15
; %bb.14:                               ;   in Loop: Header=BB15_3 Depth=1
	v_rcp_iflag_f32_e32 v3, v9
	s_sub_co_i32 s2, 0, s36
	v_nop
	s_delay_alu instid0(TRANS32_DEP_1) | instskip(NEXT) | instid1(VALU_DEP_1)
	v_mul_f32_e32 v3, 0x4f7ffffe, v3
	v_cvt_u32_f32_e32 v3, v3
	s_delay_alu instid0(VALU_DEP_1) | instskip(NEXT) | instid1(VALU_DEP_1)
	v_mul_lo_u32 v12, s2, v3
	v_mul_hi_u32 v12, v3, v12
	s_delay_alu instid0(VALU_DEP_1) | instskip(NEXT) | instid1(VALU_DEP_1)
	v_add_nc_u32_e32 v3, v3, v12
	v_mul_hi_u32 v3, v26, v3
	s_delay_alu instid0(VALU_DEP_1) | instskip(NEXT) | instid1(VALU_DEP_1)
	v_mul_lo_u32 v12, v3, s36
	v_dual_add_nc_u32 v13, 1, v3 :: v_dual_sub_nc_u32 v12, v26, v12
	s_delay_alu instid0(VALU_DEP_1) | instskip(SKIP_1) | instid1(VALU_DEP_2)
	v_subrev_nc_u32_e32 v17, s36, v12
	v_cmp_le_u32_e32 vcc_lo, s36, v12
	v_cndmask_b32_e32 v12, v12, v17, vcc_lo
	s_delay_alu instid0(VALU_DEP_4) | instskip(NEXT) | instid1(VALU_DEP_2)
	v_cndmask_b32_e32 v3, v3, v13, vcc_lo
	v_cmp_le_u32_e32 vcc_lo, s36, v12
	s_delay_alu instid0(VALU_DEP_2) | instskip(NEXT) | instid1(VALU_DEP_1)
	v_add_nc_u32_e32 v13, 1, v3
	v_dual_cndmask_b32 v12, v3, v13 :: v_dual_mov_b32 v13, v2
.LBB15_15:                              ;   in Loop: Header=BB15_3 Depth=1
	s_or_b32 exec_lo, exec_lo, s0
	s_delay_alu instid0(VALU_DEP_1) | instskip(SKIP_2) | instid1(VALU_DEP_2)
	v_mul_u64_e32 v[20:21], s[36:37], v[12:13]
	v_mul_u64_e32 v[12:13], s[8:9], v[12:13]
                                        ; implicit-def: $vgpr22_vgpr23
	s_mov_b32 s0, exec_lo
	v_sub_nc_u64_e32 v[20:21], v[6:7], v[20:21]
	s_delay_alu instid0(VALU_DEP_2) | instskip(NEXT) | instid1(VALU_DEP_2)
	v_lshl_add_u64 v[12:13], v[12:13], 1, s[34:35]
	v_add_nc_u64_e32 v[20:21], v[0:1], v[20:21]
	s_delay_alu instid0(VALU_DEP_1) | instskip(NEXT) | instid1(VALU_DEP_1)
	v_mul_u64_e32 v[20:21], s[10:11], v[20:21]
	v_lshl_add_u64 v[12:13], v[20:21], 1, v[12:13]
	global_load_u16 v36, v[12:13], off
	s_wait_xcnt 0x0
	v_add_nc_u64_e32 v[12:13], 2, v[14:15]
	s_delay_alu instid0(VALU_DEP_1) | instskip(NEXT) | instid1(VALU_DEP_1)
	v_mul_u64_e32 v[12:13], s[4:5], v[12:13]
	v_add_nc_u64_e32 v[28:29], v[0:1], v[12:13]
	s_delay_alu instid0(VALU_DEP_1) | instskip(NEXT) | instid1(VALU_DEP_1)
	v_dual_ashrrev_i32 v20, 31, v29 :: v_dual_bitop2_b32 v3, s37, v29 bitop3:0x54
	v_cmpx_ne_u64_e32 0, v[2:3]
	s_xor_b32 s85, exec_lo, s0
	s_cbranch_execz .LBB15_17
; %bb.16:                               ;   in Loop: Header=BB15_3 Depth=1
	s_ashr_i32 s80, s37, 31
	v_dual_mov_b32 v21, v20 :: v_dual_mov_b32 v31, v2
	s_mov_b32 s81, s80
	v_mov_b32_e32 v43, v2
	s_add_nc_u64 s[82:83], s[36:37], s[80:81]
	s_delay_alu instid0(VALU_DEP_2)
	v_add_nc_u64_e32 v[22:23], v[28:29], v[20:21]
	s_xor_b64 s[82:83], s[82:83], s[80:81]
	v_mov_b32_e32 v39, v2
	s_cvt_f32_u32 s0, s82
	s_cvt_f32_u32 s2, s83
	s_sub_nc_u64 s[88:89], 0, s[82:83]
	s_delay_alu instid0(VALU_DEP_2) | instskip(NEXT) | instid1(SALU_CYCLE_1)
	v_xor_b32_e32 v30, v22, v20
	s_fmamk_f32 s0, s2, 0x4f800000, s0
	v_xor_b32_e32 v38, v23, v20
	s_delay_alu instid0(SALU_CYCLE_2) | instskip(NEXT) | instid1(TRANS32_DEP_1)
	v_s_rcp_f32 s0, s0
	s_mul_f32 s0, s0, 0x5f7ffffc
	s_delay_alu instid0(SALU_CYCLE_3) | instskip(NEXT) | instid1(SALU_CYCLE_3)
	s_mul_f32 s2, s0, 0x2f800000
	s_trunc_f32 s2, s2
	s_delay_alu instid0(SALU_CYCLE_3) | instskip(SKIP_1) | instid1(SALU_CYCLE_2)
	s_fmamk_f32 s0, s2, 0xcf800000, s0
	s_cvt_u32_f32 s87, s2
	s_cvt_u32_f32 s86, s0
	s_delay_alu instid0(SALU_CYCLE_3) | instskip(NEXT) | instid1(SALU_CYCLE_1)
	s_mul_u64 s[90:91], s[88:89], s[86:87]
	s_mul_hi_u32 s93, s86, s91
	s_mul_i32 s92, s86, s91
	s_mul_hi_u32 s2, s86, s90
	s_mul_i32 s81, s87, s90
	s_add_nc_u64 s[92:93], s[2:3], s[92:93]
	s_mul_hi_u32 s0, s87, s90
	s_mul_hi_u32 s94, s87, s91
	s_add_co_u32 s2, s92, s81
	s_add_co_ci_u32 s2, s93, s0
	s_mul_i32 s90, s87, s91
	s_add_co_ci_u32 s91, s94, 0
	s_delay_alu instid0(SALU_CYCLE_1) | instskip(NEXT) | instid1(SALU_CYCLE_1)
	s_add_nc_u64 s[90:91], s[2:3], s[90:91]
	s_add_co_u32 s86, s86, s90
	s_cselect_b32 s0, -1, 0
	s_delay_alu instid0(SALU_CYCLE_1) | instskip(SKIP_1) | instid1(SALU_CYCLE_1)
	s_cmp_lg_u32 s0, 0
	s_add_co_ci_u32 s87, s87, s91
	s_mul_u64 s[88:89], s[88:89], s[86:87]
	s_delay_alu instid0(SALU_CYCLE_1)
	s_mul_hi_u32 s91, s86, s89
	s_mul_i32 s90, s86, s89
	s_mul_hi_u32 s2, s86, s88
	s_mul_i32 s81, s87, s88
	s_add_nc_u64 s[90:91], s[2:3], s[90:91]
	s_mul_hi_u32 s0, s87, s88
	s_mul_hi_u32 s92, s87, s89
	s_add_co_u32 s2, s90, s81
	s_add_co_ci_u32 s2, s91, s0
	s_mul_i32 s88, s87, s89
	s_add_co_ci_u32 s89, s92, 0
	s_delay_alu instid0(SALU_CYCLE_1) | instskip(NEXT) | instid1(SALU_CYCLE_1)
	s_add_nc_u64 s[88:89], s[2:3], s[88:89]
	s_add_co_u32 s0, s86, s88
	s_cselect_b32 s2, -1, 0
	v_nop
	v_mul_hi_u32 v42, v30, s0
	s_cmp_lg_u32 s2, 0
	s_add_co_ci_u32 s2, s87, s89
	s_and_b64 s[86:87], s[0:1], s[74:75]
	v_mul_u64_e32 v[32:33], s[2:3], v[30:31]
	v_mul_u64_e32 v[22:23], s[86:87], v[38:39]
	;; [unrolled: 1-line block ×3, first 2 shown]
	s_delay_alu instid0(VALU_DEP_3) | instskip(NEXT) | instid1(VALU_DEP_1)
	v_add_nc_u64_e32 v[32:33], v[42:43], v[32:33]
	v_add_co_u32 v3, vcc_lo, v32, v22
	s_delay_alu instid0(VALU_DEP_2) | instskip(NEXT) | instid1(VALU_DEP_4)
	v_add_co_ci_u32_e32 v42, vcc_lo, v33, v23, vcc_lo
	v_add_co_ci_u32_e32 v41, vcc_lo, 0, v41, vcc_lo
	s_delay_alu instid0(VALU_DEP_1) | instskip(NEXT) | instid1(VALU_DEP_1)
	v_add_nc_u64_e32 v[22:23], v[42:43], v[40:41]
	v_mul_u64_e32 v[32:33], s[82:83], v[22:23]
	s_delay_alu instid0(VALU_DEP_1) | instskip(NEXT) | instid1(VALU_DEP_2)
	v_sub_nc_u32_e32 v3, v38, v33
	v_sub_co_u32 v17, vcc_lo, v30, v32
	s_delay_alu instid0(VALU_DEP_1) | instskip(NEXT) | instid1(VALU_DEP_3)
	v_sub_co_ci_u32_e64 v21, null, v38, v33, vcc_lo
	v_subrev_co_ci_u32_e64 v3, null, s83, v3, vcc_lo
	s_delay_alu instid0(VALU_DEP_3) | instskip(SKIP_1) | instid1(VALU_DEP_3)
	v_sub_co_u32 v19, s0, v17, s82
	v_add_nc_u64_e32 v[32:33], 1, v[22:23]
	v_subrev_co_ci_u32_e64 v3, null, 0, v3, s0
	s_delay_alu instid0(VALU_DEP_3) | instskip(SKIP_1) | instid1(VALU_DEP_3)
	v_cmp_le_u32_e32 vcc_lo, s82, v19
	v_cndmask_b32_e64 v19, 0, -1, vcc_lo
	v_cmp_le_u32_e32 vcc_lo, s83, v3
	v_cndmask_b32_e64 v30, 0, -1, vcc_lo
	;; [unrolled: 2-line block ×4, first 2 shown]
	v_cmp_eq_u32_e32 vcc_lo, s83, v3
	v_cndmask_b32_e32 v3, v30, v19, vcc_lo
	v_cmp_eq_u32_e32 vcc_lo, s83, v21
	v_add_nc_u64_e32 v[30:31], 2, v[22:23]
	v_cndmask_b32_e32 v17, v37, v17, vcc_lo
	s_delay_alu instid0(VALU_DEP_4) | instskip(NEXT) | instid1(VALU_DEP_2)
	v_cmp_ne_u32_e32 vcc_lo, 0, v3
	v_cmp_ne_u32_e64 s0, 0, v17
	s_delay_alu instid0(VALU_DEP_4) | instskip(NEXT) | instid1(VALU_DEP_1)
	v_dual_cndmask_b32 v3, v33, v31, vcc_lo :: v_dual_cndmask_b32 v17, v32, v30, vcc_lo
	v_dual_cndmask_b32 v3, v23, v3, s0 :: v_dual_bitop2_b32 v30, s80, v20 bitop3:0x14
	s_delay_alu instid0(VALU_DEP_2) | instskip(NEXT) | instid1(VALU_DEP_2)
	v_cndmask_b32_e64 v17, v22, v17, s0
	v_dual_mov_b32 v31, v30 :: v_dual_bitop2_b32 v23, v3, v30 bitop3:0x14
	s_delay_alu instid0(VALU_DEP_2) | instskip(NEXT) | instid1(VALU_DEP_1)
	v_xor_b32_e32 v22, v17, v30
	v_sub_nc_u64_e32 v[22:23], v[22:23], v[30:31]
.LBB15_17:                              ;   in Loop: Header=BB15_3 Depth=1
	s_and_not1_saveexec_b32 s0, s85
	s_cbranch_execz .LBB15_19
; %bb.18:                               ;   in Loop: Header=BB15_3 Depth=1
	v_rcp_iflag_f32_e32 v3, v9
	s_sub_co_i32 s2, 0, s36
	v_mov_b32_e32 v23, v2
	s_delay_alu instid0(TRANS32_DEP_1) | instskip(NEXT) | instid1(VALU_DEP_1)
	v_mul_f32_e32 v3, 0x4f7ffffe, v3
	v_cvt_u32_f32_e32 v3, v3
	s_delay_alu instid0(VALU_DEP_1) | instskip(NEXT) | instid1(VALU_DEP_1)
	v_mul_lo_u32 v17, s2, v3
	v_mul_hi_u32 v17, v3, v17
	s_delay_alu instid0(VALU_DEP_1) | instskip(NEXT) | instid1(VALU_DEP_1)
	v_add_nc_u32_e32 v3, v3, v17
	v_mul_hi_u32 v3, v28, v3
	s_delay_alu instid0(VALU_DEP_1) | instskip(NEXT) | instid1(VALU_DEP_1)
	v_mul_lo_u32 v17, v3, s36
	v_sub_nc_u32_e32 v17, v28, v17
	s_delay_alu instid0(VALU_DEP_1) | instskip(SKIP_1) | instid1(VALU_DEP_2)
	v_subrev_nc_u32_e32 v21, s36, v17
	v_cmp_le_u32_e32 vcc_lo, s36, v17
	v_dual_add_nc_u32 v19, 1, v3 :: v_dual_cndmask_b32 v17, v17, v21, vcc_lo
	s_delay_alu instid0(VALU_DEP_1) | instskip(NEXT) | instid1(VALU_DEP_2)
	v_cndmask_b32_e32 v3, v3, v19, vcc_lo
	v_cmp_le_u32_e32 vcc_lo, s36, v17
	s_delay_alu instid0(VALU_DEP_2) | instskip(NEXT) | instid1(VALU_DEP_1)
	v_add_nc_u32_e32 v19, 1, v3
	v_cndmask_b32_e32 v22, v3, v19, vcc_lo
.LBB15_19:                              ;   in Loop: Header=BB15_3 Depth=1
	s_or_b32 exec_lo, exec_lo, s0
	s_delay_alu instid0(VALU_DEP_1) | instskip(SKIP_3) | instid1(VALU_DEP_1)
	v_mul_u64_e32 v[30:31], s[36:37], v[22:23]
	v_mul_u64_e32 v[22:23], s[8:9], v[22:23]
	v_add_nc_u64_e32 v[14:15], 3, v[14:15]
                                        ; implicit-def: $vgpr32_vgpr33
	s_mov_b32 s0, exec_lo
	v_mul_u64_e32 v[14:15], s[4:5], v[14:15]
	s_delay_alu instid0(VALU_DEP_4) | instskip(NEXT) | instid1(VALU_DEP_4)
	v_sub_nc_u64_e32 v[30:31], v[12:13], v[30:31]
	v_lshl_add_u64 v[22:23], v[22:23], 1, s[34:35]
	s_delay_alu instid0(VALU_DEP_2) | instskip(NEXT) | instid1(VALU_DEP_1)
	v_add_nc_u64_e32 v[30:31], v[0:1], v[30:31]
	v_mul_u64_e32 v[30:31], s[10:11], v[30:31]
	s_delay_alu instid0(VALU_DEP_1) | instskip(SKIP_4) | instid1(VALU_DEP_1)
	v_lshl_add_u64 v[22:23], v[30:31], 1, v[22:23]
	v_add_nc_u64_e32 v[30:31], v[0:1], v[14:15]
	global_load_u16 v37, v[22:23], off
	s_wait_xcnt 0x0
	v_dual_ashrrev_i32 v22, 31, v31 :: v_dual_bitop2_b32 v3, s37, v31 bitop3:0x54
	v_cmpx_ne_u64_e32 0, v[2:3]
	s_xor_b32 s85, exec_lo, s0
	s_cbranch_execz .LBB15_21
; %bb.20:                               ;   in Loop: Header=BB15_3 Depth=1
	s_ashr_i32 s80, s37, 31
	v_dual_mov_b32 v23, v22 :: v_dual_mov_b32 v39, v2
	s_mov_b32 s81, s80
	v_mov_b32_e32 v43, v2
	s_add_nc_u64 s[82:83], s[36:37], s[80:81]
	s_delay_alu instid0(VALU_DEP_2)
	v_add_nc_u64_e32 v[32:33], v[30:31], v[22:23]
	s_xor_b64 s[82:83], s[82:83], s[80:81]
	v_mov_b32_e32 v47, v2
	s_cvt_f32_u32 s0, s82
	s_cvt_f32_u32 s2, s83
	s_sub_nc_u64 s[88:89], 0, s[82:83]
	s_delay_alu instid0(VALU_DEP_2) | instskip(NEXT) | instid1(SALU_CYCLE_1)
	v_xor_b32_e32 v38, v32, v22
	s_fmamk_f32 s0, s2, 0x4f800000, s0
	v_xor_b32_e32 v42, v33, v22
	s_delay_alu instid0(SALU_CYCLE_2) | instskip(NEXT) | instid1(TRANS32_DEP_1)
	v_s_rcp_f32 s0, s0
	s_mul_f32 s0, s0, 0x5f7ffffc
	s_delay_alu instid0(SALU_CYCLE_3) | instskip(NEXT) | instid1(SALU_CYCLE_3)
	s_mul_f32 s2, s0, 0x2f800000
	s_trunc_f32 s2, s2
	s_delay_alu instid0(SALU_CYCLE_3) | instskip(SKIP_1) | instid1(SALU_CYCLE_2)
	s_fmamk_f32 s0, s2, 0xcf800000, s0
	s_cvt_u32_f32 s87, s2
	s_cvt_u32_f32 s86, s0
	s_delay_alu instid0(SALU_CYCLE_3) | instskip(NEXT) | instid1(SALU_CYCLE_1)
	s_mul_u64 s[90:91], s[88:89], s[86:87]
	s_mul_hi_u32 s93, s86, s91
	s_mul_i32 s92, s86, s91
	s_mul_hi_u32 s2, s86, s90
	s_mul_i32 s81, s87, s90
	s_add_nc_u64 s[92:93], s[2:3], s[92:93]
	s_mul_hi_u32 s0, s87, s90
	s_mul_hi_u32 s94, s87, s91
	s_add_co_u32 s2, s92, s81
	s_add_co_ci_u32 s2, s93, s0
	s_mul_i32 s90, s87, s91
	s_add_co_ci_u32 s91, s94, 0
	s_delay_alu instid0(SALU_CYCLE_1) | instskip(NEXT) | instid1(SALU_CYCLE_1)
	s_add_nc_u64 s[90:91], s[2:3], s[90:91]
	s_add_co_u32 s86, s86, s90
	s_cselect_b32 s0, -1, 0
	s_delay_alu instid0(SALU_CYCLE_1) | instskip(SKIP_1) | instid1(SALU_CYCLE_1)
	s_cmp_lg_u32 s0, 0
	s_add_co_ci_u32 s87, s87, s91
	s_mul_u64 s[88:89], s[88:89], s[86:87]
	s_delay_alu instid0(SALU_CYCLE_1)
	s_mul_hi_u32 s91, s86, s89
	s_mul_i32 s90, s86, s89
	s_mul_hi_u32 s2, s86, s88
	s_mul_i32 s81, s87, s88
	s_add_nc_u64 s[90:91], s[2:3], s[90:91]
	s_mul_hi_u32 s0, s87, s88
	s_mul_hi_u32 s92, s87, s89
	s_add_co_u32 s2, s90, s81
	s_add_co_ci_u32 s2, s91, s0
	s_mul_i32 s88, s87, s89
	s_add_co_ci_u32 s89, s92, 0
	s_delay_alu instid0(SALU_CYCLE_1) | instskip(NEXT) | instid1(SALU_CYCLE_1)
	s_add_nc_u64 s[88:89], s[2:3], s[88:89]
	s_add_co_u32 s0, s86, s88
	s_cselect_b32 s2, -1, 0
	v_nop
	v_mul_hi_u32 v46, v38, s0
	s_cmp_lg_u32 s2, 0
	s_add_co_ci_u32 s2, s87, s89
	s_and_b64 s[86:87], s[0:1], s[74:75]
	v_mul_u64_e32 v[40:41], s[2:3], v[38:39]
	v_mul_u64_e32 v[32:33], s[86:87], v[42:43]
	;; [unrolled: 1-line block ×3, first 2 shown]
	s_delay_alu instid0(VALU_DEP_3) | instskip(NEXT) | instid1(VALU_DEP_1)
	v_add_nc_u64_e32 v[40:41], v[46:47], v[40:41]
	v_add_co_u32 v3, vcc_lo, v40, v32
	s_delay_alu instid0(VALU_DEP_2) | instskip(NEXT) | instid1(VALU_DEP_4)
	v_add_co_ci_u32_e32 v46, vcc_lo, v41, v33, vcc_lo
	v_add_co_ci_u32_e32 v45, vcc_lo, 0, v45, vcc_lo
	s_delay_alu instid0(VALU_DEP_1) | instskip(NEXT) | instid1(VALU_DEP_1)
	v_add_nc_u64_e32 v[32:33], v[46:47], v[44:45]
	v_mul_u64_e32 v[40:41], s[82:83], v[32:33]
	s_delay_alu instid0(VALU_DEP_1) | instskip(SKIP_1) | instid1(VALU_DEP_3)
	v_sub_co_u32 v9, vcc_lo, v38, v40
	v_add_nc_u64_e32 v[38:39], 2, v[32:33]
	v_sub_nc_u32_e32 v3, v42, v41
	v_sub_co_ci_u32_e64 v19, null, v42, v41, vcc_lo
	s_delay_alu instid0(VALU_DEP_4) | instskip(NEXT) | instid1(VALU_DEP_3)
	v_sub_co_u32 v17, s0, v9, s82
	v_subrev_co_ci_u32_e64 v3, null, s83, v3, vcc_lo
	v_add_nc_u64_e32 v[40:41], 1, v[32:33]
	s_delay_alu instid0(VALU_DEP_3) | instskip(NEXT) | instid1(VALU_DEP_3)
	v_cmp_le_u32_e32 vcc_lo, s82, v17
	v_subrev_co_ci_u32_e64 v3, null, 0, v3, s0
	v_cndmask_b32_e64 v17, 0, -1, vcc_lo
	s_delay_alu instid0(VALU_DEP_2)
	v_cmp_le_u32_e32 vcc_lo, s83, v3
	v_cndmask_b32_e64 v21, 0, -1, vcc_lo
	v_cmp_le_u32_e32 vcc_lo, s82, v9
	v_cndmask_b32_e64 v9, 0, -1, vcc_lo
	;; [unrolled: 2-line block ×3, first 2 shown]
	v_cmp_eq_u32_e32 vcc_lo, s83, v3
	v_cndmask_b32_e32 v3, v21, v17, vcc_lo
	v_cmp_eq_u32_e32 vcc_lo, s83, v19
	s_delay_alu instid0(VALU_DEP_4) | instskip(NEXT) | instid1(VALU_DEP_3)
	v_cndmask_b32_e32 v9, v23, v9, vcc_lo
	v_cmp_ne_u32_e32 vcc_lo, 0, v3
	v_cndmask_b32_e32 v3, v41, v39, vcc_lo
	s_delay_alu instid0(VALU_DEP_3) | instskip(SKIP_1) | instid1(VALU_DEP_2)
	v_cmp_ne_u32_e64 s0, 0, v9
	v_cndmask_b32_e32 v9, v40, v38, vcc_lo
	v_dual_cndmask_b32 v3, v33, v3, s0 :: v_dual_bitop2_b32 v38, s80, v22 bitop3:0x14
	s_delay_alu instid0(VALU_DEP_1) | instskip(NEXT) | instid1(VALU_DEP_2)
	v_dual_cndmask_b32 v9, v32, v9, s0 :: v_dual_mov_b32 v39, v38
	v_xor_b32_e32 v33, v3, v38
	s_delay_alu instid0(VALU_DEP_2) | instskip(NEXT) | instid1(VALU_DEP_1)
	v_xor_b32_e32 v32, v9, v38
                                        ; implicit-def: $vgpr9
	v_sub_nc_u64_e32 v[32:33], v[32:33], v[38:39]
.LBB15_21:                              ;   in Loop: Header=BB15_3 Depth=1
	s_and_not1_saveexec_b32 s0, s85
	s_cbranch_execz .LBB15_23
; %bb.22:                               ;   in Loop: Header=BB15_3 Depth=1
	v_rcp_iflag_f32_e32 v3, v9
	s_sub_co_i32 s2, 0, s36
	v_mov_b32_e32 v33, v2
	s_delay_alu instid0(TRANS32_DEP_1) | instskip(NEXT) | instid1(VALU_DEP_1)
	v_mul_f32_e32 v3, 0x4f7ffffe, v3
	v_cvt_u32_f32_e32 v3, v3
	s_delay_alu instid0(VALU_DEP_1) | instskip(NEXT) | instid1(VALU_DEP_1)
	v_mul_lo_u32 v9, s2, v3
	v_mul_hi_u32 v9, v3, v9
	s_delay_alu instid0(VALU_DEP_1) | instskip(NEXT) | instid1(VALU_DEP_1)
	v_add_nc_u32_e32 v3, v3, v9
	v_mul_hi_u32 v3, v30, v3
	s_delay_alu instid0(VALU_DEP_1) | instskip(NEXT) | instid1(VALU_DEP_1)
	v_mul_lo_u32 v9, v3, s36
	v_dual_add_nc_u32 v17, 1, v3 :: v_dual_sub_nc_u32 v9, v30, v9
	s_delay_alu instid0(VALU_DEP_1) | instskip(SKIP_1) | instid1(VALU_DEP_2)
	v_subrev_nc_u32_e32 v19, s36, v9
	v_cmp_le_u32_e32 vcc_lo, s36, v9
	v_dual_cndmask_b32 v9, v9, v19, vcc_lo :: v_dual_cndmask_b32 v3, v3, v17, vcc_lo
	s_delay_alu instid0(VALU_DEP_1) | instskip(NEXT) | instid1(VALU_DEP_2)
	v_cmp_le_u32_e32 vcc_lo, s36, v9
	v_add_nc_u32_e32 v17, 1, v3
	s_delay_alu instid0(VALU_DEP_1)
	v_cndmask_b32_e32 v32, v3, v17, vcc_lo
.LBB15_23:                              ;   in Loop: Header=BB15_3 Depth=1
	s_or_b32 exec_lo, exec_lo, s0
	s_delay_alu instid0(VALU_DEP_1) | instskip(SKIP_3) | instid1(VALU_DEP_3)
	v_mul_u64_e32 v[38:39], s[36:37], v[32:33]
	v_mul_u64_e32 v[32:33], s[8:9], v[32:33]
	v_or_b32_e32 v3, s43, v25
	s_mov_b32 s0, exec_lo
	v_sub_nc_u64_e32 v[38:39], v[14:15], v[38:39]
	s_delay_alu instid0(VALU_DEP_3) | instskip(NEXT) | instid1(VALU_DEP_2)
	v_lshl_add_u64 v[32:33], v[32:33], 1, s[34:35]
	v_add_nc_u64_e32 v[38:39], v[0:1], v[38:39]
	s_delay_alu instid0(VALU_DEP_1) | instskip(NEXT) | instid1(VALU_DEP_1)
	v_mul_u64_e32 v[38:39], s[10:11], v[38:39]
	v_lshl_add_u64 v[32:33], v[38:39], 1, v[32:33]
	global_load_u16 v38, v[32:33], off
                                        ; implicit-def: $vgpr32_vgpr33
	s_wait_xcnt 0x0
	v_cmpx_ne_u64_e32 0, v[2:3]
	s_xor_b32 s85, exec_lo, s0
	s_cbranch_execz .LBB15_25
; %bb.24:                               ;   in Loop: Header=BB15_3 Depth=1
	s_ashr_i32 s80, s43, 31
	v_dual_mov_b32 v17, v16 :: v_dual_mov_b32 v41, v2
	s_mov_b32 s81, s80
	v_mov_b32_e32 v45, v2
	s_add_nc_u64 s[82:83], s[42:43], s[80:81]
	s_delay_alu instid0(VALU_DEP_2)
	v_add_nc_u64_e32 v[32:33], v[24:25], v[16:17]
	s_xor_b64 s[82:83], s[82:83], s[80:81]
	v_mov_b32_e32 v49, v2
	s_cvt_f32_u32 s0, s82
	s_cvt_f32_u32 s2, s83
	s_sub_nc_u64 s[88:89], 0, s[82:83]
	s_delay_alu instid0(VALU_DEP_2) | instskip(NEXT) | instid1(SALU_CYCLE_1)
	v_xor_b32_e32 v40, v32, v16
	s_fmamk_f32 s0, s2, 0x4f800000, s0
	v_xor_b32_e32 v44, v33, v16
	s_delay_alu instid0(SALU_CYCLE_2) | instskip(NEXT) | instid1(TRANS32_DEP_1)
	v_s_rcp_f32 s0, s0
	s_mul_f32 s0, s0, 0x5f7ffffc
	s_delay_alu instid0(SALU_CYCLE_3) | instskip(NEXT) | instid1(SALU_CYCLE_3)
	s_mul_f32 s2, s0, 0x2f800000
	s_trunc_f32 s2, s2
	s_delay_alu instid0(SALU_CYCLE_3) | instskip(SKIP_1) | instid1(SALU_CYCLE_2)
	s_fmamk_f32 s0, s2, 0xcf800000, s0
	s_cvt_u32_f32 s87, s2
	s_cvt_u32_f32 s86, s0
	s_delay_alu instid0(SALU_CYCLE_3) | instskip(NEXT) | instid1(SALU_CYCLE_1)
	s_mul_u64 s[90:91], s[88:89], s[86:87]
	s_mul_hi_u32 s93, s86, s91
	s_mul_i32 s92, s86, s91
	s_mul_hi_u32 s2, s86, s90
	s_mul_i32 s81, s87, s90
	s_add_nc_u64 s[92:93], s[2:3], s[92:93]
	s_mul_hi_u32 s0, s87, s90
	s_mul_hi_u32 s94, s87, s91
	s_add_co_u32 s2, s92, s81
	s_add_co_ci_u32 s2, s93, s0
	s_mul_i32 s90, s87, s91
	s_add_co_ci_u32 s91, s94, 0
	s_delay_alu instid0(SALU_CYCLE_1) | instskip(NEXT) | instid1(SALU_CYCLE_1)
	s_add_nc_u64 s[90:91], s[2:3], s[90:91]
	s_add_co_u32 s86, s86, s90
	s_cselect_b32 s0, -1, 0
	s_delay_alu instid0(SALU_CYCLE_1) | instskip(SKIP_1) | instid1(SALU_CYCLE_1)
	s_cmp_lg_u32 s0, 0
	s_add_co_ci_u32 s87, s87, s91
	s_mul_u64 s[88:89], s[88:89], s[86:87]
	s_delay_alu instid0(SALU_CYCLE_1)
	s_mul_hi_u32 s91, s86, s89
	s_mul_i32 s90, s86, s89
	s_mul_hi_u32 s2, s86, s88
	s_mul_i32 s81, s87, s88
	s_add_nc_u64 s[90:91], s[2:3], s[90:91]
	s_mul_hi_u32 s0, s87, s88
	s_mul_hi_u32 s92, s87, s89
	s_add_co_u32 s2, s90, s81
	s_add_co_ci_u32 s2, s91, s0
	s_mul_i32 s88, s87, s89
	s_add_co_ci_u32 s89, s92, 0
	s_delay_alu instid0(SALU_CYCLE_1) | instskip(NEXT) | instid1(SALU_CYCLE_1)
	s_add_nc_u64 s[88:89], s[2:3], s[88:89]
	s_add_co_u32 s0, s86, s88
	s_cselect_b32 s2, -1, 0
	v_nop
	v_mul_hi_u32 v48, v40, s0
	s_cmp_lg_u32 s2, 0
	s_add_co_ci_u32 s2, s87, s89
	s_and_b64 s[86:87], s[0:1], s[74:75]
	v_mul_u64_e32 v[42:43], s[2:3], v[40:41]
	v_mul_u64_e32 v[32:33], s[86:87], v[44:45]
	;; [unrolled: 1-line block ×3, first 2 shown]
	s_delay_alu instid0(VALU_DEP_3) | instskip(NEXT) | instid1(VALU_DEP_1)
	v_add_nc_u64_e32 v[42:43], v[48:49], v[42:43]
	v_add_co_u32 v3, vcc_lo, v42, v32
	s_delay_alu instid0(VALU_DEP_2) | instskip(NEXT) | instid1(VALU_DEP_4)
	v_add_co_ci_u32_e32 v48, vcc_lo, v43, v33, vcc_lo
	v_add_co_ci_u32_e32 v47, vcc_lo, 0, v47, vcc_lo
	s_delay_alu instid0(VALU_DEP_1) | instskip(NEXT) | instid1(VALU_DEP_1)
	v_add_nc_u64_e32 v[32:33], v[48:49], v[46:47]
	v_mul_u64_e32 v[42:43], s[82:83], v[32:33]
	s_delay_alu instid0(VALU_DEP_1) | instskip(NEXT) | instid1(VALU_DEP_2)
	v_sub_nc_u32_e32 v3, v44, v43
	v_sub_co_u32 v9, vcc_lo, v40, v42
	s_delay_alu instid0(VALU_DEP_1) | instskip(NEXT) | instid1(VALU_DEP_3)
	v_sub_co_ci_u32_e64 v19, null, v44, v43, vcc_lo
	v_subrev_co_ci_u32_e64 v3, null, s83, v3, vcc_lo
	s_delay_alu instid0(VALU_DEP_3) | instskip(SKIP_1) | instid1(VALU_DEP_3)
	v_sub_co_u32 v17, s0, v9, s82
	v_add_nc_u64_e32 v[40:41], 2, v[32:33]
	v_subrev_co_ci_u32_e64 v3, null, 0, v3, s0
	s_delay_alu instid0(VALU_DEP_3) | instskip(SKIP_2) | instid1(VALU_DEP_4)
	v_cmp_le_u32_e32 vcc_lo, s82, v17
	v_add_nc_u64_e32 v[42:43], 1, v[32:33]
	v_cndmask_b32_e64 v17, 0, -1, vcc_lo
	v_cmp_le_u32_e32 vcc_lo, s83, v3
	v_cndmask_b32_e64 v21, 0, -1, vcc_lo
	v_cmp_le_u32_e32 vcc_lo, s82, v9
	v_cndmask_b32_e64 v9, 0, -1, vcc_lo
	v_cmp_le_u32_e32 vcc_lo, s83, v19
	v_cndmask_b32_e64 v23, 0, -1, vcc_lo
	v_cmp_eq_u32_e32 vcc_lo, s83, v3
	v_cndmask_b32_e32 v3, v21, v17, vcc_lo
	v_cmp_eq_u32_e32 vcc_lo, s83, v19
	s_delay_alu instid0(VALU_DEP_4) | instskip(NEXT) | instid1(VALU_DEP_3)
	v_cndmask_b32_e32 v9, v23, v9, vcc_lo
	v_cmp_ne_u32_e32 vcc_lo, 0, v3
	s_delay_alu instid0(VALU_DEP_2) | instskip(SKIP_1) | instid1(VALU_DEP_1)
	v_cmp_ne_u32_e64 s0, 0, v9
	v_dual_cndmask_b32 v3, v43, v41, vcc_lo :: v_dual_cndmask_b32 v9, v42, v40, vcc_lo
	v_dual_cndmask_b32 v3, v33, v3, s0 :: v_dual_bitop2_b32 v40, s80, v16 bitop3:0x14
	s_delay_alu instid0(VALU_DEP_2) | instskip(NEXT) | instid1(VALU_DEP_2)
	v_cndmask_b32_e64 v9, v32, v9, s0
	v_dual_mov_b32 v41, v40 :: v_dual_bitop2_b32 v33, v3, v40 bitop3:0x14
	s_delay_alu instid0(VALU_DEP_2) | instskip(NEXT) | instid1(VALU_DEP_1)
	v_xor_b32_e32 v32, v9, v40
	v_sub_nc_u64_e32 v[32:33], v[32:33], v[40:41]
.LBB15_25:                              ;   in Loop: Header=BB15_3 Depth=1
	s_or_saveexec_b32 s0, s85
	v_cvt_f32_u32_e32 v9, s42
	s_xor_b32 exec_lo, exec_lo, s0
	s_cbranch_execz .LBB15_27
; %bb.26:                               ;   in Loop: Header=BB15_3 Depth=1
	s_delay_alu instid0(VALU_DEP_1) | instskip(SKIP_2) | instid1(TRANS32_DEP_1)
	v_rcp_iflag_f32_e32 v3, v9
	s_sub_co_i32 s2, 0, s42
	v_mov_b32_e32 v33, v2
	v_mul_f32_e32 v3, 0x4f7ffffe, v3
	s_delay_alu instid0(VALU_DEP_1) | instskip(NEXT) | instid1(VALU_DEP_1)
	v_cvt_u32_f32_e32 v3, v3
	v_mul_lo_u32 v17, s2, v3
	s_delay_alu instid0(VALU_DEP_1) | instskip(NEXT) | instid1(VALU_DEP_1)
	v_mul_hi_u32 v17, v3, v17
	v_add_nc_u32_e32 v3, v3, v17
	s_delay_alu instid0(VALU_DEP_1) | instskip(NEXT) | instid1(VALU_DEP_1)
	v_mul_hi_u32 v3, v24, v3
	v_mul_lo_u32 v17, v3, s42
	s_delay_alu instid0(VALU_DEP_1) | instskip(NEXT) | instid1(VALU_DEP_1)
	v_sub_nc_u32_e32 v17, v24, v17
	v_subrev_nc_u32_e32 v21, s42, v17
	v_cmp_le_u32_e32 vcc_lo, s42, v17
	s_delay_alu instid0(VALU_DEP_2) | instskip(NEXT) | instid1(VALU_DEP_1)
	v_dual_add_nc_u32 v19, 1, v3 :: v_dual_cndmask_b32 v17, v17, v21, vcc_lo
	v_cndmask_b32_e32 v3, v3, v19, vcc_lo
	s_delay_alu instid0(VALU_DEP_2) | instskip(NEXT) | instid1(VALU_DEP_2)
	v_cmp_le_u32_e32 vcc_lo, s42, v17
	v_add_nc_u32_e32 v19, 1, v3
	s_delay_alu instid0(VALU_DEP_1)
	v_cndmask_b32_e32 v32, v3, v19, vcc_lo
.LBB15_27:                              ;   in Loop: Header=BB15_3 Depth=1
	s_or_b32 exec_lo, exec_lo, s0
	s_delay_alu instid0(VALU_DEP_1) | instskip(SKIP_3) | instid1(VALU_DEP_3)
	v_mul_u64_e32 v[40:41], s[42:43], v[32:33]
	v_mul_u64_e32 v[32:33], s[12:13], v[32:33]
	v_or_b32_e32 v3, s43, v27
	s_mov_b32 s0, exec_lo
	v_sub_nc_u64_e32 v[40:41], v[4:5], v[40:41]
	s_delay_alu instid0(VALU_DEP_3) | instskip(NEXT) | instid1(VALU_DEP_2)
	v_lshl_add_u64 v[32:33], v[32:33], 1, s[38:39]
	v_add_nc_u64_e32 v[40:41], v[0:1], v[40:41]
	s_delay_alu instid0(VALU_DEP_1) | instskip(NEXT) | instid1(VALU_DEP_1)
	v_mul_u64_e32 v[40:41], s[14:15], v[40:41]
	v_lshl_add_u64 v[32:33], v[40:41], 1, v[32:33]
	global_load_u16 v39, v[32:33], off
                                        ; implicit-def: $vgpr32_vgpr33
	s_wait_xcnt 0x0
	v_cmpx_ne_u64_e32 0, v[2:3]
	s_xor_b32 s85, exec_lo, s0
	s_cbranch_execz .LBB15_29
; %bb.28:                               ;   in Loop: Header=BB15_3 Depth=1
	s_ashr_i32 s80, s43, 31
	v_dual_mov_b32 v19, v18 :: v_dual_mov_b32 v41, v2
	s_mov_b32 s81, s80
	v_mov_b32_e32 v45, v2
	s_add_nc_u64 s[82:83], s[42:43], s[80:81]
	s_delay_alu instid0(VALU_DEP_2)
	v_add_nc_u64_e32 v[32:33], v[26:27], v[18:19]
	s_xor_b64 s[82:83], s[82:83], s[80:81]
	v_mov_b32_e32 v49, v2
	s_cvt_f32_u32 s0, s82
	s_cvt_f32_u32 s2, s83
	s_sub_nc_u64 s[88:89], 0, s[82:83]
	s_delay_alu instid0(VALU_DEP_2) | instskip(NEXT) | instid1(SALU_CYCLE_1)
	v_xor_b32_e32 v40, v32, v18
	s_fmamk_f32 s0, s2, 0x4f800000, s0
	v_xor_b32_e32 v44, v33, v18
	s_delay_alu instid0(SALU_CYCLE_2) | instskip(NEXT) | instid1(TRANS32_DEP_1)
	v_s_rcp_f32 s0, s0
	s_mul_f32 s0, s0, 0x5f7ffffc
	s_delay_alu instid0(SALU_CYCLE_3) | instskip(NEXT) | instid1(SALU_CYCLE_3)
	s_mul_f32 s2, s0, 0x2f800000
	s_trunc_f32 s2, s2
	s_delay_alu instid0(SALU_CYCLE_3) | instskip(SKIP_1) | instid1(SALU_CYCLE_2)
	s_fmamk_f32 s0, s2, 0xcf800000, s0
	s_cvt_u32_f32 s87, s2
	s_cvt_u32_f32 s86, s0
	s_delay_alu instid0(SALU_CYCLE_3) | instskip(NEXT) | instid1(SALU_CYCLE_1)
	s_mul_u64 s[90:91], s[88:89], s[86:87]
	s_mul_hi_u32 s93, s86, s91
	s_mul_i32 s92, s86, s91
	s_mul_hi_u32 s2, s86, s90
	s_mul_i32 s81, s87, s90
	s_add_nc_u64 s[92:93], s[2:3], s[92:93]
	s_mul_hi_u32 s0, s87, s90
	s_mul_hi_u32 s94, s87, s91
	s_add_co_u32 s2, s92, s81
	s_add_co_ci_u32 s2, s93, s0
	s_mul_i32 s90, s87, s91
	s_add_co_ci_u32 s91, s94, 0
	s_delay_alu instid0(SALU_CYCLE_1) | instskip(NEXT) | instid1(SALU_CYCLE_1)
	s_add_nc_u64 s[90:91], s[2:3], s[90:91]
	s_add_co_u32 s86, s86, s90
	s_cselect_b32 s0, -1, 0
	s_delay_alu instid0(SALU_CYCLE_1) | instskip(SKIP_1) | instid1(SALU_CYCLE_1)
	s_cmp_lg_u32 s0, 0
	s_add_co_ci_u32 s87, s87, s91
	s_mul_u64 s[88:89], s[88:89], s[86:87]
	s_delay_alu instid0(SALU_CYCLE_1)
	s_mul_hi_u32 s91, s86, s89
	s_mul_i32 s90, s86, s89
	s_mul_hi_u32 s2, s86, s88
	s_mul_i32 s81, s87, s88
	s_add_nc_u64 s[90:91], s[2:3], s[90:91]
	s_mul_hi_u32 s0, s87, s88
	s_mul_hi_u32 s92, s87, s89
	s_add_co_u32 s2, s90, s81
	s_add_co_ci_u32 s2, s91, s0
	s_mul_i32 s88, s87, s89
	s_add_co_ci_u32 s89, s92, 0
	s_delay_alu instid0(SALU_CYCLE_1) | instskip(NEXT) | instid1(SALU_CYCLE_1)
	s_add_nc_u64 s[88:89], s[2:3], s[88:89]
	s_add_co_u32 s0, s86, s88
	s_cselect_b32 s2, -1, 0
	v_nop
	v_mul_hi_u32 v48, v40, s0
	s_cmp_lg_u32 s2, 0
	s_add_co_ci_u32 s2, s87, s89
	s_and_b64 s[86:87], s[0:1], s[74:75]
	v_mul_u64_e32 v[42:43], s[2:3], v[40:41]
	v_mul_u64_e32 v[32:33], s[86:87], v[44:45]
	;; [unrolled: 1-line block ×3, first 2 shown]
	s_delay_alu instid0(VALU_DEP_3) | instskip(NEXT) | instid1(VALU_DEP_1)
	v_add_nc_u64_e32 v[42:43], v[48:49], v[42:43]
	v_add_co_u32 v3, vcc_lo, v42, v32
	s_delay_alu instid0(VALU_DEP_2) | instskip(NEXT) | instid1(VALU_DEP_4)
	v_add_co_ci_u32_e32 v48, vcc_lo, v43, v33, vcc_lo
	v_add_co_ci_u32_e32 v47, vcc_lo, 0, v47, vcc_lo
	s_delay_alu instid0(VALU_DEP_1) | instskip(NEXT) | instid1(VALU_DEP_1)
	v_add_nc_u64_e32 v[32:33], v[48:49], v[46:47]
	v_mul_u64_e32 v[42:43], s[82:83], v[32:33]
	s_delay_alu instid0(VALU_DEP_1) | instskip(NEXT) | instid1(VALU_DEP_2)
	v_sub_nc_u32_e32 v3, v44, v43
	v_sub_co_u32 v17, vcc_lo, v40, v42
	s_delay_alu instid0(VALU_DEP_1) | instskip(NEXT) | instid1(VALU_DEP_3)
	v_sub_co_ci_u32_e64 v21, null, v44, v43, vcc_lo
	v_subrev_co_ci_u32_e64 v3, null, s83, v3, vcc_lo
	s_delay_alu instid0(VALU_DEP_3) | instskip(SKIP_1) | instid1(VALU_DEP_3)
	v_sub_co_u32 v19, s0, v17, s82
	v_add_nc_u64_e32 v[40:41], 2, v[32:33]
	v_subrev_co_ci_u32_e64 v3, null, 0, v3, s0
	s_delay_alu instid0(VALU_DEP_3) | instskip(SKIP_2) | instid1(VALU_DEP_4)
	v_cmp_le_u32_e32 vcc_lo, s82, v19
	v_add_nc_u64_e32 v[42:43], 1, v[32:33]
	v_cndmask_b32_e64 v19, 0, -1, vcc_lo
	v_cmp_le_u32_e32 vcc_lo, s83, v3
	v_cndmask_b32_e64 v23, 0, -1, vcc_lo
	v_cmp_le_u32_e32 vcc_lo, s82, v17
	;; [unrolled: 2-line block ×3, first 2 shown]
	v_cndmask_b32_e64 v44, 0, -1, vcc_lo
	v_cmp_eq_u32_e32 vcc_lo, s83, v3
	v_cndmask_b32_e32 v3, v23, v19, vcc_lo
	v_cmp_eq_u32_e32 vcc_lo, s83, v21
	s_delay_alu instid0(VALU_DEP_4) | instskip(NEXT) | instid1(VALU_DEP_3)
	v_cndmask_b32_e32 v17, v44, v17, vcc_lo
	v_cmp_ne_u32_e32 vcc_lo, 0, v3
	s_delay_alu instid0(VALU_DEP_2) | instskip(SKIP_1) | instid1(VALU_DEP_1)
	v_cmp_ne_u32_e64 s0, 0, v17
	v_dual_cndmask_b32 v3, v43, v41, vcc_lo :: v_dual_cndmask_b32 v17, v42, v40, vcc_lo
	v_dual_cndmask_b32 v3, v33, v3, s0 :: v_dual_bitop2_b32 v40, s80, v18 bitop3:0x14
	s_delay_alu instid0(VALU_DEP_2) | instskip(NEXT) | instid1(VALU_DEP_2)
	v_cndmask_b32_e64 v17, v32, v17, s0
	v_dual_mov_b32 v41, v40 :: v_dual_bitop2_b32 v33, v3, v40 bitop3:0x14
	s_delay_alu instid0(VALU_DEP_2) | instskip(NEXT) | instid1(VALU_DEP_1)
	v_xor_b32_e32 v32, v17, v40
	v_sub_nc_u64_e32 v[32:33], v[32:33], v[40:41]
.LBB15_29:                              ;   in Loop: Header=BB15_3 Depth=1
	s_and_not1_saveexec_b32 s0, s85
	s_cbranch_execz .LBB15_31
; %bb.30:                               ;   in Loop: Header=BB15_3 Depth=1
	v_rcp_iflag_f32_e32 v3, v9
	s_sub_co_i32 s2, 0, s42
	v_mov_b32_e32 v33, v2
	s_delay_alu instid0(TRANS32_DEP_1) | instskip(NEXT) | instid1(VALU_DEP_1)
	v_mul_f32_e32 v3, 0x4f7ffffe, v3
	v_cvt_u32_f32_e32 v3, v3
	s_delay_alu instid0(VALU_DEP_1) | instskip(NEXT) | instid1(VALU_DEP_1)
	v_mul_lo_u32 v17, s2, v3
	v_mul_hi_u32 v17, v3, v17
	s_delay_alu instid0(VALU_DEP_1) | instskip(NEXT) | instid1(VALU_DEP_1)
	v_add_nc_u32_e32 v3, v3, v17
	v_mul_hi_u32 v3, v26, v3
	s_delay_alu instid0(VALU_DEP_1) | instskip(NEXT) | instid1(VALU_DEP_1)
	v_mul_lo_u32 v17, v3, s42
	v_sub_nc_u32_e32 v17, v26, v17
	s_delay_alu instid0(VALU_DEP_1) | instskip(SKIP_1) | instid1(VALU_DEP_2)
	v_subrev_nc_u32_e32 v21, s42, v17
	v_cmp_le_u32_e32 vcc_lo, s42, v17
	v_dual_add_nc_u32 v19, 1, v3 :: v_dual_cndmask_b32 v17, v17, v21, vcc_lo
	s_delay_alu instid0(VALU_DEP_1) | instskip(NEXT) | instid1(VALU_DEP_2)
	v_cndmask_b32_e32 v3, v3, v19, vcc_lo
	v_cmp_le_u32_e32 vcc_lo, s42, v17
	s_delay_alu instid0(VALU_DEP_2) | instskip(NEXT) | instid1(VALU_DEP_1)
	v_add_nc_u32_e32 v19, 1, v3
	v_cndmask_b32_e32 v32, v3, v19, vcc_lo
.LBB15_31:                              ;   in Loop: Header=BB15_3 Depth=1
	s_or_b32 exec_lo, exec_lo, s0
	s_delay_alu instid0(VALU_DEP_1) | instskip(SKIP_3) | instid1(VALU_DEP_3)
	v_mul_u64_e32 v[40:41], s[42:43], v[32:33]
	v_mul_u64_e32 v[32:33], s[12:13], v[32:33]
	v_or_b32_e32 v3, s43, v29
	s_mov_b32 s0, exec_lo
	v_sub_nc_u64_e32 v[40:41], v[6:7], v[40:41]
	s_delay_alu instid0(VALU_DEP_3) | instskip(NEXT) | instid1(VALU_DEP_2)
	v_lshl_add_u64 v[32:33], v[32:33], 1, s[38:39]
	v_add_nc_u64_e32 v[40:41], v[0:1], v[40:41]
	s_delay_alu instid0(VALU_DEP_1) | instskip(NEXT) | instid1(VALU_DEP_1)
	v_mul_u64_e32 v[40:41], s[14:15], v[40:41]
	v_lshl_add_u64 v[32:33], v[40:41], 1, v[32:33]
	global_load_u16 v40, v[32:33], off
                                        ; implicit-def: $vgpr32_vgpr33
	s_wait_xcnt 0x0
	v_cmpx_ne_u64_e32 0, v[2:3]
	s_xor_b32 s85, exec_lo, s0
	s_cbranch_execz .LBB15_33
; %bb.32:                               ;   in Loop: Header=BB15_3 Depth=1
	s_ashr_i32 s80, s43, 31
	v_dual_mov_b32 v21, v20 :: v_dual_mov_b32 v43, v2
	s_mov_b32 s81, s80
	v_mov_b32_e32 v47, v2
	s_add_nc_u64 s[82:83], s[42:43], s[80:81]
	s_delay_alu instid0(VALU_DEP_2)
	v_add_nc_u64_e32 v[32:33], v[28:29], v[20:21]
	s_xor_b64 s[82:83], s[82:83], s[80:81]
	v_mov_b32_e32 v51, v2
	s_cvt_f32_u32 s0, s82
	s_cvt_f32_u32 s2, s83
	s_sub_nc_u64 s[88:89], 0, s[82:83]
	s_delay_alu instid0(VALU_DEP_2) | instskip(NEXT) | instid1(SALU_CYCLE_1)
	v_xor_b32_e32 v42, v32, v20
	s_fmamk_f32 s0, s2, 0x4f800000, s0
	v_xor_b32_e32 v46, v33, v20
	s_delay_alu instid0(SALU_CYCLE_2) | instskip(NEXT) | instid1(TRANS32_DEP_1)
	v_s_rcp_f32 s0, s0
	s_mul_f32 s0, s0, 0x5f7ffffc
	s_delay_alu instid0(SALU_CYCLE_3) | instskip(NEXT) | instid1(SALU_CYCLE_3)
	s_mul_f32 s2, s0, 0x2f800000
	s_trunc_f32 s2, s2
	s_delay_alu instid0(SALU_CYCLE_3) | instskip(SKIP_1) | instid1(SALU_CYCLE_2)
	s_fmamk_f32 s0, s2, 0xcf800000, s0
	s_cvt_u32_f32 s87, s2
	s_cvt_u32_f32 s86, s0
	s_delay_alu instid0(SALU_CYCLE_3) | instskip(NEXT) | instid1(SALU_CYCLE_1)
	s_mul_u64 s[90:91], s[88:89], s[86:87]
	s_mul_hi_u32 s93, s86, s91
	s_mul_i32 s92, s86, s91
	s_mul_hi_u32 s2, s86, s90
	s_mul_i32 s81, s87, s90
	s_add_nc_u64 s[92:93], s[2:3], s[92:93]
	s_mul_hi_u32 s0, s87, s90
	s_mul_hi_u32 s94, s87, s91
	s_add_co_u32 s2, s92, s81
	s_add_co_ci_u32 s2, s93, s0
	s_mul_i32 s90, s87, s91
	s_add_co_ci_u32 s91, s94, 0
	s_delay_alu instid0(SALU_CYCLE_1) | instskip(NEXT) | instid1(SALU_CYCLE_1)
	s_add_nc_u64 s[90:91], s[2:3], s[90:91]
	s_add_co_u32 s86, s86, s90
	s_cselect_b32 s0, -1, 0
	s_delay_alu instid0(SALU_CYCLE_1) | instskip(SKIP_1) | instid1(SALU_CYCLE_1)
	s_cmp_lg_u32 s0, 0
	s_add_co_ci_u32 s87, s87, s91
	s_mul_u64 s[88:89], s[88:89], s[86:87]
	s_delay_alu instid0(SALU_CYCLE_1)
	s_mul_hi_u32 s91, s86, s89
	s_mul_i32 s90, s86, s89
	s_mul_hi_u32 s2, s86, s88
	s_mul_i32 s81, s87, s88
	s_add_nc_u64 s[90:91], s[2:3], s[90:91]
	s_mul_hi_u32 s0, s87, s88
	s_mul_hi_u32 s92, s87, s89
	s_add_co_u32 s2, s90, s81
	s_add_co_ci_u32 s2, s91, s0
	s_mul_i32 s88, s87, s89
	s_add_co_ci_u32 s89, s92, 0
	s_delay_alu instid0(SALU_CYCLE_1) | instskip(NEXT) | instid1(SALU_CYCLE_1)
	s_add_nc_u64 s[88:89], s[2:3], s[88:89]
	s_add_co_u32 s0, s86, s88
	s_cselect_b32 s2, -1, 0
	v_nop
	v_mul_hi_u32 v50, v42, s0
	s_cmp_lg_u32 s2, 0
	s_add_co_ci_u32 s2, s87, s89
	s_and_b64 s[86:87], s[0:1], s[74:75]
	v_mul_u64_e32 v[44:45], s[2:3], v[42:43]
	v_mul_u64_e32 v[32:33], s[86:87], v[46:47]
	;; [unrolled: 1-line block ×3, first 2 shown]
	s_delay_alu instid0(VALU_DEP_3) | instskip(NEXT) | instid1(VALU_DEP_1)
	v_add_nc_u64_e32 v[44:45], v[50:51], v[44:45]
	v_add_co_u32 v3, vcc_lo, v44, v32
	s_delay_alu instid0(VALU_DEP_2) | instskip(NEXT) | instid1(VALU_DEP_4)
	v_add_co_ci_u32_e32 v50, vcc_lo, v45, v33, vcc_lo
	v_add_co_ci_u32_e32 v49, vcc_lo, 0, v49, vcc_lo
	s_delay_alu instid0(VALU_DEP_1) | instskip(NEXT) | instid1(VALU_DEP_1)
	v_add_nc_u64_e32 v[32:33], v[50:51], v[48:49]
	v_mul_u64_e32 v[44:45], s[82:83], v[32:33]
	s_delay_alu instid0(VALU_DEP_1) | instskip(SKIP_1) | instid1(VALU_DEP_3)
	v_sub_co_u32 v17, vcc_lo, v42, v44
	v_add_nc_u64_e32 v[42:43], 2, v[32:33]
	v_sub_nc_u32_e32 v3, v46, v45
	v_sub_co_ci_u32_e64 v21, null, v46, v45, vcc_lo
	s_delay_alu instid0(VALU_DEP_4) | instskip(NEXT) | instid1(VALU_DEP_3)
	v_sub_co_u32 v19, s0, v17, s82
	v_subrev_co_ci_u32_e64 v3, null, s83, v3, vcc_lo
	v_add_nc_u64_e32 v[44:45], 1, v[32:33]
	s_delay_alu instid0(VALU_DEP_3) | instskip(NEXT) | instid1(VALU_DEP_3)
	v_cmp_le_u32_e32 vcc_lo, s82, v19
	v_subrev_co_ci_u32_e64 v3, null, 0, v3, s0
	v_cndmask_b32_e64 v19, 0, -1, vcc_lo
	s_delay_alu instid0(VALU_DEP_2)
	v_cmp_le_u32_e32 vcc_lo, s83, v3
	v_cndmask_b32_e64 v23, 0, -1, vcc_lo
	v_cmp_le_u32_e32 vcc_lo, s82, v17
	v_cndmask_b32_e64 v17, 0, -1, vcc_lo
	;; [unrolled: 2-line block ×3, first 2 shown]
	v_cmp_eq_u32_e32 vcc_lo, s83, v3
	v_cndmask_b32_e32 v3, v23, v19, vcc_lo
	v_cmp_eq_u32_e32 vcc_lo, s83, v21
	s_delay_alu instid0(VALU_DEP_4) | instskip(NEXT) | instid1(VALU_DEP_3)
	v_cndmask_b32_e32 v17, v41, v17, vcc_lo
	v_cmp_ne_u32_e32 vcc_lo, 0, v3
	s_delay_alu instid0(VALU_DEP_2) | instskip(SKIP_1) | instid1(VALU_DEP_1)
	v_cmp_ne_u32_e64 s0, 0, v17
	v_dual_cndmask_b32 v3, v45, v43, vcc_lo :: v_dual_cndmask_b32 v17, v44, v42, vcc_lo
	v_dual_cndmask_b32 v3, v33, v3, s0 :: v_dual_bitop2_b32 v42, s80, v20 bitop3:0x14
	s_delay_alu instid0(VALU_DEP_1) | instskip(NEXT) | instid1(VALU_DEP_2)
	v_dual_cndmask_b32 v17, v32, v17, s0 :: v_dual_mov_b32 v43, v42
	v_xor_b32_e32 v33, v3, v42
	s_delay_alu instid0(VALU_DEP_2) | instskip(NEXT) | instid1(VALU_DEP_1)
	v_xor_b32_e32 v32, v17, v42
	v_sub_nc_u64_e32 v[32:33], v[32:33], v[42:43]
.LBB15_33:                              ;   in Loop: Header=BB15_3 Depth=1
	s_and_not1_saveexec_b32 s0, s85
	s_cbranch_execz .LBB15_35
; %bb.34:                               ;   in Loop: Header=BB15_3 Depth=1
	v_rcp_iflag_f32_e32 v3, v9
	s_sub_co_i32 s2, 0, s42
	v_mov_b32_e32 v33, v2
	s_delay_alu instid0(TRANS32_DEP_1) | instskip(NEXT) | instid1(VALU_DEP_1)
	v_mul_f32_e32 v3, 0x4f7ffffe, v3
	v_cvt_u32_f32_e32 v3, v3
	s_delay_alu instid0(VALU_DEP_1) | instskip(NEXT) | instid1(VALU_DEP_1)
	v_mul_lo_u32 v17, s2, v3
	v_mul_hi_u32 v17, v3, v17
	s_delay_alu instid0(VALU_DEP_1) | instskip(NEXT) | instid1(VALU_DEP_1)
	v_add_nc_u32_e32 v3, v3, v17
	v_mul_hi_u32 v3, v28, v3
	s_delay_alu instid0(VALU_DEP_1) | instskip(NEXT) | instid1(VALU_DEP_1)
	v_mul_lo_u32 v17, v3, s42
	v_sub_nc_u32_e32 v17, v28, v17
	s_delay_alu instid0(VALU_DEP_1) | instskip(SKIP_1) | instid1(VALU_DEP_2)
	v_subrev_nc_u32_e32 v21, s42, v17
	v_cmp_le_u32_e32 vcc_lo, s42, v17
	v_dual_add_nc_u32 v19, 1, v3 :: v_dual_cndmask_b32 v17, v17, v21, vcc_lo
	s_delay_alu instid0(VALU_DEP_1) | instskip(NEXT) | instid1(VALU_DEP_2)
	v_cndmask_b32_e32 v3, v3, v19, vcc_lo
	v_cmp_le_u32_e32 vcc_lo, s42, v17
	s_delay_alu instid0(VALU_DEP_2) | instskip(NEXT) | instid1(VALU_DEP_1)
	v_add_nc_u32_e32 v19, 1, v3
	v_cndmask_b32_e32 v32, v3, v19, vcc_lo
.LBB15_35:                              ;   in Loop: Header=BB15_3 Depth=1
	s_or_b32 exec_lo, exec_lo, s0
	s_delay_alu instid0(VALU_DEP_1) | instskip(SKIP_3) | instid1(VALU_DEP_3)
	v_mul_u64_e32 v[42:43], s[42:43], v[32:33]
	v_mul_u64_e32 v[32:33], s[12:13], v[32:33]
	v_or_b32_e32 v3, s43, v31
	s_mov_b32 s0, exec_lo
	v_sub_nc_u64_e32 v[42:43], v[12:13], v[42:43]
	s_delay_alu instid0(VALU_DEP_3) | instskip(NEXT) | instid1(VALU_DEP_2)
	v_lshl_add_u64 v[32:33], v[32:33], 1, s[38:39]
	v_add_nc_u64_e32 v[42:43], v[0:1], v[42:43]
	s_delay_alu instid0(VALU_DEP_1) | instskip(NEXT) | instid1(VALU_DEP_1)
	v_mul_u64_e32 v[42:43], s[14:15], v[42:43]
	v_lshl_add_u64 v[32:33], v[42:43], 1, v[32:33]
	global_load_u16 v41, v[32:33], off
                                        ; implicit-def: $vgpr32_vgpr33
	s_wait_xcnt 0x0
	v_cmpx_ne_u64_e32 0, v[2:3]
	s_xor_b32 s85, exec_lo, s0
	s_cbranch_execz .LBB15_37
; %bb.36:                               ;   in Loop: Header=BB15_3 Depth=1
	s_ashr_i32 s80, s43, 31
	v_dual_mov_b32 v23, v22 :: v_dual_mov_b32 v43, v2
	s_mov_b32 s81, s80
	v_mov_b32_e32 v47, v2
	s_add_nc_u64 s[82:83], s[42:43], s[80:81]
	s_delay_alu instid0(VALU_DEP_2)
	v_add_nc_u64_e32 v[32:33], v[30:31], v[22:23]
	s_xor_b64 s[82:83], s[82:83], s[80:81]
	v_mov_b32_e32 v51, v2
	s_cvt_f32_u32 s0, s82
	s_cvt_f32_u32 s2, s83
	s_sub_nc_u64 s[88:89], 0, s[82:83]
	s_delay_alu instid0(VALU_DEP_2) | instskip(NEXT) | instid1(SALU_CYCLE_1)
	v_xor_b32_e32 v42, v32, v22
	s_fmamk_f32 s0, s2, 0x4f800000, s0
	v_xor_b32_e32 v46, v33, v22
	s_delay_alu instid0(SALU_CYCLE_2) | instskip(NEXT) | instid1(TRANS32_DEP_1)
	v_s_rcp_f32 s0, s0
	s_mul_f32 s0, s0, 0x5f7ffffc
	s_delay_alu instid0(SALU_CYCLE_3) | instskip(NEXT) | instid1(SALU_CYCLE_3)
	s_mul_f32 s2, s0, 0x2f800000
	s_trunc_f32 s2, s2
	s_delay_alu instid0(SALU_CYCLE_3) | instskip(SKIP_1) | instid1(SALU_CYCLE_2)
	s_fmamk_f32 s0, s2, 0xcf800000, s0
	s_cvt_u32_f32 s87, s2
	s_cvt_u32_f32 s86, s0
	s_delay_alu instid0(SALU_CYCLE_3) | instskip(NEXT) | instid1(SALU_CYCLE_1)
	s_mul_u64 s[90:91], s[88:89], s[86:87]
	s_mul_hi_u32 s93, s86, s91
	s_mul_i32 s92, s86, s91
	s_mul_hi_u32 s2, s86, s90
	s_mul_i32 s81, s87, s90
	s_add_nc_u64 s[92:93], s[2:3], s[92:93]
	s_mul_hi_u32 s0, s87, s90
	s_mul_hi_u32 s94, s87, s91
	s_add_co_u32 s2, s92, s81
	s_add_co_ci_u32 s2, s93, s0
	s_mul_i32 s90, s87, s91
	s_add_co_ci_u32 s91, s94, 0
	s_delay_alu instid0(SALU_CYCLE_1) | instskip(NEXT) | instid1(SALU_CYCLE_1)
	s_add_nc_u64 s[90:91], s[2:3], s[90:91]
	s_add_co_u32 s86, s86, s90
	s_cselect_b32 s0, -1, 0
	s_delay_alu instid0(SALU_CYCLE_1) | instskip(SKIP_1) | instid1(SALU_CYCLE_1)
	s_cmp_lg_u32 s0, 0
	s_add_co_ci_u32 s87, s87, s91
	s_mul_u64 s[88:89], s[88:89], s[86:87]
	s_delay_alu instid0(SALU_CYCLE_1)
	s_mul_hi_u32 s91, s86, s89
	s_mul_i32 s90, s86, s89
	s_mul_hi_u32 s2, s86, s88
	s_mul_i32 s81, s87, s88
	s_add_nc_u64 s[90:91], s[2:3], s[90:91]
	s_mul_hi_u32 s0, s87, s88
	s_mul_hi_u32 s92, s87, s89
	s_add_co_u32 s2, s90, s81
	s_add_co_ci_u32 s2, s91, s0
	s_mul_i32 s88, s87, s89
	s_add_co_ci_u32 s89, s92, 0
	s_delay_alu instid0(SALU_CYCLE_1) | instskip(NEXT) | instid1(SALU_CYCLE_1)
	s_add_nc_u64 s[88:89], s[2:3], s[88:89]
	s_add_co_u32 s0, s86, s88
	s_cselect_b32 s2, -1, 0
	v_nop
	v_mul_hi_u32 v50, v42, s0
	s_cmp_lg_u32 s2, 0
	s_add_co_ci_u32 s2, s87, s89
	s_and_b64 s[86:87], s[0:1], s[74:75]
	v_mul_u64_e32 v[44:45], s[2:3], v[42:43]
	v_mul_u64_e32 v[32:33], s[86:87], v[46:47]
	v_mul_u64_e32 v[48:49], s[2:3], v[46:47]
	s_delay_alu instid0(VALU_DEP_3) | instskip(NEXT) | instid1(VALU_DEP_1)
	v_add_nc_u64_e32 v[44:45], v[50:51], v[44:45]
	v_add_co_u32 v3, vcc_lo, v44, v32
	s_delay_alu instid0(VALU_DEP_2) | instskip(NEXT) | instid1(VALU_DEP_4)
	v_add_co_ci_u32_e32 v50, vcc_lo, v45, v33, vcc_lo
	v_add_co_ci_u32_e32 v49, vcc_lo, 0, v49, vcc_lo
	s_delay_alu instid0(VALU_DEP_1) | instskip(NEXT) | instid1(VALU_DEP_1)
	v_add_nc_u64_e32 v[32:33], v[50:51], v[48:49]
	v_mul_u64_e32 v[44:45], s[82:83], v[32:33]
	s_delay_alu instid0(VALU_DEP_1) | instskip(SKIP_1) | instid1(VALU_DEP_3)
	v_sub_co_u32 v9, vcc_lo, v42, v44
	v_add_nc_u64_e32 v[42:43], 2, v[32:33]
	v_sub_nc_u32_e32 v3, v46, v45
	v_sub_co_ci_u32_e64 v19, null, v46, v45, vcc_lo
	s_delay_alu instid0(VALU_DEP_4) | instskip(NEXT) | instid1(VALU_DEP_3)
	v_sub_co_u32 v17, s0, v9, s82
	v_subrev_co_ci_u32_e64 v3, null, s83, v3, vcc_lo
	v_add_nc_u64_e32 v[44:45], 1, v[32:33]
	s_delay_alu instid0(VALU_DEP_3) | instskip(NEXT) | instid1(VALU_DEP_3)
	v_cmp_le_u32_e32 vcc_lo, s82, v17
	v_subrev_co_ci_u32_e64 v3, null, 0, v3, s0
	v_cndmask_b32_e64 v17, 0, -1, vcc_lo
	s_delay_alu instid0(VALU_DEP_2)
	v_cmp_le_u32_e32 vcc_lo, s83, v3
	v_cndmask_b32_e64 v21, 0, -1, vcc_lo
	v_cmp_le_u32_e32 vcc_lo, s82, v9
	v_cndmask_b32_e64 v9, 0, -1, vcc_lo
	v_cmp_le_u32_e32 vcc_lo, s83, v19
	v_cndmask_b32_e64 v23, 0, -1, vcc_lo
	v_cmp_eq_u32_e32 vcc_lo, s83, v3
	v_cndmask_b32_e32 v3, v21, v17, vcc_lo
	v_cmp_eq_u32_e32 vcc_lo, s83, v19
	s_delay_alu instid0(VALU_DEP_4) | instskip(NEXT) | instid1(VALU_DEP_3)
	v_cndmask_b32_e32 v9, v23, v9, vcc_lo
	v_cmp_ne_u32_e32 vcc_lo, 0, v3
	v_cndmask_b32_e32 v3, v45, v43, vcc_lo
	s_delay_alu instid0(VALU_DEP_3) | instskip(SKIP_1) | instid1(VALU_DEP_2)
	v_cmp_ne_u32_e64 s0, 0, v9
	v_cndmask_b32_e32 v9, v44, v42, vcc_lo
	v_dual_cndmask_b32 v3, v33, v3, s0 :: v_dual_bitop2_b32 v42, s80, v22 bitop3:0x14
	s_delay_alu instid0(VALU_DEP_1) | instskip(NEXT) | instid1(VALU_DEP_2)
	v_dual_cndmask_b32 v9, v32, v9, s0 :: v_dual_mov_b32 v43, v42
	v_xor_b32_e32 v33, v3, v42
	s_delay_alu instid0(VALU_DEP_2) | instskip(NEXT) | instid1(VALU_DEP_1)
	v_xor_b32_e32 v32, v9, v42
                                        ; implicit-def: $vgpr9
	v_sub_nc_u64_e32 v[32:33], v[32:33], v[42:43]
.LBB15_37:                              ;   in Loop: Header=BB15_3 Depth=1
	s_and_not1_saveexec_b32 s0, s85
	s_cbranch_execz .LBB15_39
; %bb.38:                               ;   in Loop: Header=BB15_3 Depth=1
	v_rcp_iflag_f32_e32 v3, v9
	s_sub_co_i32 s2, 0, s42
	v_mov_b32_e32 v33, v2
	s_delay_alu instid0(TRANS32_DEP_1) | instskip(NEXT) | instid1(VALU_DEP_1)
	v_mul_f32_e32 v3, 0x4f7ffffe, v3
	v_cvt_u32_f32_e32 v3, v3
	s_delay_alu instid0(VALU_DEP_1) | instskip(NEXT) | instid1(VALU_DEP_1)
	v_mul_lo_u32 v9, s2, v3
	v_mul_hi_u32 v9, v3, v9
	s_delay_alu instid0(VALU_DEP_1) | instskip(NEXT) | instid1(VALU_DEP_1)
	v_add_nc_u32_e32 v3, v3, v9
	v_mul_hi_u32 v3, v30, v3
	s_delay_alu instid0(VALU_DEP_1) | instskip(NEXT) | instid1(VALU_DEP_1)
	v_mul_lo_u32 v9, v3, s42
	v_dual_add_nc_u32 v17, 1, v3 :: v_dual_sub_nc_u32 v9, v30, v9
	s_delay_alu instid0(VALU_DEP_1) | instskip(SKIP_1) | instid1(VALU_DEP_2)
	v_subrev_nc_u32_e32 v19, s42, v9
	v_cmp_le_u32_e32 vcc_lo, s42, v9
	v_dual_cndmask_b32 v9, v9, v19, vcc_lo :: v_dual_cndmask_b32 v3, v3, v17, vcc_lo
	s_delay_alu instid0(VALU_DEP_1) | instskip(NEXT) | instid1(VALU_DEP_2)
	v_cmp_le_u32_e32 vcc_lo, s42, v9
	v_add_nc_u32_e32 v17, 1, v3
	s_delay_alu instid0(VALU_DEP_1)
	v_cndmask_b32_e32 v32, v3, v17, vcc_lo
.LBB15_39:                              ;   in Loop: Header=BB15_3 Depth=1
	s_or_b32 exec_lo, exec_lo, s0
	s_delay_alu instid0(VALU_DEP_1) | instskip(SKIP_3) | instid1(VALU_DEP_3)
	v_mul_u64_e32 v[42:43], s[42:43], v[32:33]
	v_mul_u64_e32 v[32:33], s[12:13], v[32:33]
	v_or_b32_e32 v3, s65, v25
	s_mov_b32 s0, exec_lo
	v_sub_nc_u64_e32 v[42:43], v[14:15], v[42:43]
	s_delay_alu instid0(VALU_DEP_3) | instskip(NEXT) | instid1(VALU_DEP_2)
	v_lshl_add_u64 v[32:33], v[32:33], 1, s[38:39]
	v_add_nc_u64_e32 v[42:43], v[0:1], v[42:43]
	s_delay_alu instid0(VALU_DEP_1) | instskip(NEXT) | instid1(VALU_DEP_1)
	v_mul_u64_e32 v[42:43], s[14:15], v[42:43]
	v_lshl_add_u64 v[32:33], v[42:43], 1, v[32:33]
	global_load_u16 v42, v[32:33], off
                                        ; implicit-def: $vgpr32_vgpr33
	s_wait_xcnt 0x0
	v_cmpx_ne_u64_e32 0, v[2:3]
	s_xor_b32 s85, exec_lo, s0
	s_cbranch_execz .LBB15_41
; %bb.40:                               ;   in Loop: Header=BB15_3 Depth=1
	s_ashr_i32 s80, s65, 31
	v_dual_mov_b32 v17, v16 :: v_dual_mov_b32 v33, v2
	s_mov_b32 s81, s80
	v_mov_b32_e32 v47, v2
	s_add_nc_u64 s[82:83], s[64:65], s[80:81]
	s_delay_alu instid0(VALU_DEP_2)
	v_add_nc_u64_e32 v[24:25], v[24:25], v[16:17]
	s_xor_b64 s[82:83], s[82:83], s[80:81]
	v_mov_b32_e32 v51, v2
	s_cvt_f32_u32 s0, s82
	s_cvt_f32_u32 s2, s83
	s_sub_nc_u64 s[88:89], 0, s[82:83]
	s_delay_alu instid0(VALU_DEP_2) | instskip(NEXT) | instid1(SALU_CYCLE_1)
	v_xor_b32_e32 v32, v24, v16
	s_fmamk_f32 s0, s2, 0x4f800000, s0
	v_xor_b32_e32 v46, v25, v16
	v_xor_b32_e32 v16, s80, v16
	s_delay_alu instid0(SALU_CYCLE_1) | instskip(NEXT) | instid1(TRANS32_DEP_1)
	v_s_rcp_f32 s0, s0
	s_mul_f32 s0, s0, 0x5f7ffffc
	s_delay_alu instid0(SALU_CYCLE_3) | instskip(NEXT) | instid1(SALU_CYCLE_3)
	s_mul_f32 s2, s0, 0x2f800000
	s_trunc_f32 s2, s2
	s_delay_alu instid0(SALU_CYCLE_3) | instskip(SKIP_1) | instid1(SALU_CYCLE_2)
	s_fmamk_f32 s0, s2, 0xcf800000, s0
	s_cvt_u32_f32 s87, s2
	s_cvt_u32_f32 s86, s0
	s_delay_alu instid0(SALU_CYCLE_3) | instskip(NEXT) | instid1(SALU_CYCLE_1)
	s_mul_u64 s[90:91], s[88:89], s[86:87]
	s_mul_hi_u32 s93, s86, s91
	s_mul_i32 s92, s86, s91
	s_mul_hi_u32 s2, s86, s90
	s_mul_i32 s81, s87, s90
	s_add_nc_u64 s[92:93], s[2:3], s[92:93]
	s_mul_hi_u32 s0, s87, s90
	s_mul_hi_u32 s94, s87, s91
	s_add_co_u32 s2, s92, s81
	s_add_co_ci_u32 s2, s93, s0
	s_mul_i32 s90, s87, s91
	s_add_co_ci_u32 s91, s94, 0
	s_delay_alu instid0(SALU_CYCLE_1) | instskip(NEXT) | instid1(SALU_CYCLE_1)
	s_add_nc_u64 s[90:91], s[2:3], s[90:91]
	s_add_co_u32 s86, s86, s90
	s_cselect_b32 s0, -1, 0
	s_delay_alu instid0(SALU_CYCLE_1) | instskip(SKIP_1) | instid1(SALU_CYCLE_1)
	s_cmp_lg_u32 s0, 0
	s_add_co_ci_u32 s87, s87, s91
	s_mul_u64 s[88:89], s[88:89], s[86:87]
	s_delay_alu instid0(SALU_CYCLE_1)
	s_mul_hi_u32 s91, s86, s89
	s_mul_i32 s90, s86, s89
	s_mul_hi_u32 s2, s86, s88
	s_mul_i32 s81, s87, s88
	s_add_nc_u64 s[90:91], s[2:3], s[90:91]
	s_mul_hi_u32 s0, s87, s88
	s_mul_hi_u32 s92, s87, s89
	s_add_co_u32 s2, s90, s81
	s_add_co_ci_u32 s2, s91, s0
	s_mul_i32 s88, s87, s89
	s_add_co_ci_u32 s89, s92, 0
	s_delay_alu instid0(SALU_CYCLE_1) | instskip(NEXT) | instid1(SALU_CYCLE_1)
	s_add_nc_u64 s[88:89], s[2:3], s[88:89]
	s_add_co_u32 s0, s86, s88
	s_cselect_b32 s2, -1, 0
	v_nop
	v_mul_hi_u32 v50, v32, s0
	s_cmp_lg_u32 s2, 0
	s_add_co_ci_u32 s2, s87, s89
	s_and_b64 s[86:87], s[0:1], s[74:75]
	v_mul_u64_e32 v[44:45], s[2:3], v[32:33]
	v_mul_u64_e32 v[24:25], s[86:87], v[46:47]
	;; [unrolled: 1-line block ×3, first 2 shown]
	s_delay_alu instid0(VALU_DEP_3) | instskip(NEXT) | instid1(VALU_DEP_1)
	v_add_nc_u64_e32 v[44:45], v[50:51], v[44:45]
	v_add_co_u32 v3, vcc_lo, v44, v24
	s_delay_alu instid0(VALU_DEP_2) | instskip(NEXT) | instid1(VALU_DEP_4)
	v_add_co_ci_u32_e32 v50, vcc_lo, v45, v25, vcc_lo
	v_add_co_ci_u32_e32 v49, vcc_lo, 0, v49, vcc_lo
	s_delay_alu instid0(VALU_DEP_1) | instskip(NEXT) | instid1(VALU_DEP_1)
	v_add_nc_u64_e32 v[24:25], v[50:51], v[48:49]
	v_mul_u64_e32 v[44:45], s[82:83], v[24:25]
	s_delay_alu instid0(VALU_DEP_1) | instskip(SKIP_1) | instid1(VALU_DEP_3)
	v_sub_co_u32 v9, vcc_lo, v32, v44
	v_add_nc_u64_e32 v[32:33], 2, v[24:25]
	v_sub_nc_u32_e32 v3, v46, v45
	v_sub_co_ci_u32_e64 v19, null, v46, v45, vcc_lo
	s_delay_alu instid0(VALU_DEP_4) | instskip(NEXT) | instid1(VALU_DEP_3)
	v_sub_co_u32 v17, s0, v9, s82
	v_subrev_co_ci_u32_e64 v3, null, s83, v3, vcc_lo
	v_add_nc_u64_e32 v[44:45], 1, v[24:25]
	s_delay_alu instid0(VALU_DEP_3) | instskip(NEXT) | instid1(VALU_DEP_3)
	v_cmp_le_u32_e32 vcc_lo, s82, v17
	v_subrev_co_ci_u32_e64 v3, null, 0, v3, s0
	v_cndmask_b32_e64 v17, 0, -1, vcc_lo
	s_delay_alu instid0(VALU_DEP_2)
	v_cmp_le_u32_e32 vcc_lo, s83, v3
	v_cndmask_b32_e64 v21, 0, -1, vcc_lo
	v_cmp_le_u32_e32 vcc_lo, s82, v9
	v_cndmask_b32_e64 v9, 0, -1, vcc_lo
	;; [unrolled: 2-line block ×3, first 2 shown]
	v_cmp_eq_u32_e32 vcc_lo, s83, v3
	v_cndmask_b32_e32 v3, v21, v17, vcc_lo
	v_cmp_eq_u32_e32 vcc_lo, s83, v19
	s_delay_alu instid0(VALU_DEP_4) | instskip(NEXT) | instid1(VALU_DEP_3)
	v_dual_mov_b32 v17, v16 :: v_dual_cndmask_b32 v9, v23, v9, vcc_lo
	v_cmp_ne_u32_e32 vcc_lo, 0, v3
	s_delay_alu instid0(VALU_DEP_2) | instskip(SKIP_1) | instid1(VALU_DEP_1)
	v_cmp_ne_u32_e64 s0, 0, v9
	v_dual_cndmask_b32 v3, v45, v33, vcc_lo :: v_dual_cndmask_b32 v9, v44, v32, vcc_lo
	v_dual_cndmask_b32 v3, v25, v3, s0 :: v_dual_cndmask_b32 v9, v24, v9, s0
	s_delay_alu instid0(VALU_DEP_1) | instskip(NEXT) | instid1(VALU_DEP_2)
	v_xor_b32_e32 v25, v3, v16
	v_xor_b32_e32 v24, v9, v16
	s_delay_alu instid0(VALU_DEP_1)
	v_sub_nc_u64_e32 v[32:33], v[24:25], v[16:17]
                                        ; implicit-def: $vgpr24_vgpr25
.LBB15_41:                              ;   in Loop: Header=BB15_3 Depth=1
	s_or_saveexec_b32 s0, s85
	v_cvt_f32_u32_e32 v9, s64
	s_xor_b32 exec_lo, exec_lo, s0
	s_cbranch_execz .LBB15_43
; %bb.42:                               ;   in Loop: Header=BB15_3 Depth=1
	s_delay_alu instid0(VALU_DEP_1) | instskip(SKIP_2) | instid1(TRANS32_DEP_1)
	v_rcp_iflag_f32_e32 v3, v9
	s_sub_co_i32 s2, 0, s64
	v_mov_b32_e32 v33, v2
	v_mul_f32_e32 v3, 0x4f7ffffe, v3
	s_delay_alu instid0(VALU_DEP_1) | instskip(NEXT) | instid1(VALU_DEP_1)
	v_cvt_u32_f32_e32 v3, v3
	v_mul_lo_u32 v16, s2, v3
	s_delay_alu instid0(VALU_DEP_1) | instskip(NEXT) | instid1(VALU_DEP_1)
	v_mul_hi_u32 v16, v3, v16
	v_add_nc_u32_e32 v3, v3, v16
	s_delay_alu instid0(VALU_DEP_1) | instskip(NEXT) | instid1(VALU_DEP_1)
	v_mul_hi_u32 v3, v24, v3
	v_mul_lo_u32 v16, v3, s64
	s_delay_alu instid0(VALU_DEP_1) | instskip(NEXT) | instid1(VALU_DEP_1)
	v_dual_add_nc_u32 v17, 1, v3 :: v_dual_sub_nc_u32 v16, v24, v16
	v_subrev_nc_u32_e32 v19, s64, v16
	v_cmp_le_u32_e32 vcc_lo, s64, v16
	s_delay_alu instid0(VALU_DEP_2) | instskip(NEXT) | instid1(VALU_DEP_1)
	v_dual_cndmask_b32 v16, v16, v19 :: v_dual_cndmask_b32 v3, v3, v17
	v_cmp_le_u32_e32 vcc_lo, s64, v16
	s_delay_alu instid0(VALU_DEP_2) | instskip(NEXT) | instid1(VALU_DEP_1)
	v_add_nc_u32_e32 v17, 1, v3
	v_cndmask_b32_e32 v32, v3, v17, vcc_lo
.LBB15_43:                              ;   in Loop: Header=BB15_3 Depth=1
	s_or_b32 exec_lo, exec_lo, s0
	v_or_b32_e32 v3, s65, v27
                                        ; implicit-def: $vgpr16_vgpr17
	s_mov_b32 s0, exec_lo
	s_delay_alu instid0(VALU_DEP_1)
	v_cmpx_ne_u64_e32 0, v[2:3]
	s_xor_b32 s85, exec_lo, s0
	s_cbranch_execz .LBB15_45
; %bb.44:                               ;   in Loop: Header=BB15_3 Depth=1
	s_ashr_i32 s80, s65, 31
	v_dual_mov_b32 v19, v18 :: v_dual_mov_b32 v25, v2
	s_mov_b32 s81, s80
	v_mov_b32_e32 v45, v2
	s_add_nc_u64 s[82:83], s[64:65], s[80:81]
	s_delay_alu instid0(VALU_DEP_2)
	v_add_nc_u64_e32 v[16:17], v[26:27], v[18:19]
	s_xor_b64 s[82:83], s[82:83], s[80:81]
	v_mov_b32_e32 v49, v2
	s_cvt_f32_u32 s0, s82
	s_cvt_f32_u32 s2, s83
	s_sub_nc_u64 s[88:89], 0, s[82:83]
	s_delay_alu instid0(VALU_DEP_2) | instskip(NEXT) | instid1(SALU_CYCLE_1)
	v_xor_b32_e32 v24, v16, v18
	s_fmamk_f32 s0, s2, 0x4f800000, s0
	v_xor_b32_e32 v44, v17, v18
	v_xor_b32_e32 v18, s80, v18
	s_delay_alu instid0(SALU_CYCLE_1) | instskip(NEXT) | instid1(TRANS32_DEP_1)
	v_s_rcp_f32 s0, s0
	s_mul_f32 s0, s0, 0x5f7ffffc
	s_delay_alu instid0(SALU_CYCLE_3) | instskip(NEXT) | instid1(SALU_CYCLE_3)
	s_mul_f32 s2, s0, 0x2f800000
	s_trunc_f32 s2, s2
	s_delay_alu instid0(SALU_CYCLE_3) | instskip(SKIP_1) | instid1(SALU_CYCLE_2)
	s_fmamk_f32 s0, s2, 0xcf800000, s0
	s_cvt_u32_f32 s87, s2
	s_cvt_u32_f32 s86, s0
	s_delay_alu instid0(SALU_CYCLE_3) | instskip(NEXT) | instid1(SALU_CYCLE_1)
	s_mul_u64 s[90:91], s[88:89], s[86:87]
	s_mul_hi_u32 s93, s86, s91
	s_mul_i32 s92, s86, s91
	s_mul_hi_u32 s2, s86, s90
	s_mul_i32 s81, s87, s90
	s_add_nc_u64 s[92:93], s[2:3], s[92:93]
	s_mul_hi_u32 s0, s87, s90
	s_mul_hi_u32 s94, s87, s91
	s_add_co_u32 s2, s92, s81
	s_add_co_ci_u32 s2, s93, s0
	s_mul_i32 s90, s87, s91
	s_add_co_ci_u32 s91, s94, 0
	s_delay_alu instid0(SALU_CYCLE_1) | instskip(NEXT) | instid1(SALU_CYCLE_1)
	s_add_nc_u64 s[90:91], s[2:3], s[90:91]
	s_add_co_u32 s86, s86, s90
	s_cselect_b32 s0, -1, 0
	s_delay_alu instid0(SALU_CYCLE_1) | instskip(SKIP_1) | instid1(SALU_CYCLE_1)
	s_cmp_lg_u32 s0, 0
	s_add_co_ci_u32 s87, s87, s91
	s_mul_u64 s[88:89], s[88:89], s[86:87]
	s_delay_alu instid0(SALU_CYCLE_1)
	s_mul_hi_u32 s91, s86, s89
	s_mul_i32 s90, s86, s89
	s_mul_hi_u32 s2, s86, s88
	s_mul_i32 s81, s87, s88
	s_add_nc_u64 s[90:91], s[2:3], s[90:91]
	s_mul_hi_u32 s0, s87, s88
	s_mul_hi_u32 s92, s87, s89
	s_add_co_u32 s2, s90, s81
	s_add_co_ci_u32 s2, s91, s0
	s_mul_i32 s88, s87, s89
	s_add_co_ci_u32 s89, s92, 0
	s_delay_alu instid0(SALU_CYCLE_1) | instskip(NEXT) | instid1(SALU_CYCLE_1)
	s_add_nc_u64 s[88:89], s[2:3], s[88:89]
	s_add_co_u32 s0, s86, s88
	s_cselect_b32 s2, -1, 0
	v_nop
	v_mul_hi_u32 v48, v24, s0
	s_cmp_lg_u32 s2, 0
	s_add_co_ci_u32 s2, s87, s89
	s_and_b64 s[86:87], s[0:1], s[74:75]
	v_mul_u64_e32 v[26:27], s[2:3], v[24:25]
	v_mul_u64_e32 v[16:17], s[86:87], v[44:45]
	;; [unrolled: 1-line block ×3, first 2 shown]
	s_delay_alu instid0(VALU_DEP_3) | instskip(NEXT) | instid1(VALU_DEP_1)
	v_add_nc_u64_e32 v[26:27], v[48:49], v[26:27]
	v_add_co_u32 v3, vcc_lo, v26, v16
	s_delay_alu instid0(VALU_DEP_2) | instskip(NEXT) | instid1(VALU_DEP_4)
	v_add_co_ci_u32_e32 v48, vcc_lo, v27, v17, vcc_lo
	v_add_co_ci_u32_e32 v47, vcc_lo, 0, v47, vcc_lo
	s_delay_alu instid0(VALU_DEP_1) | instskip(NEXT) | instid1(VALU_DEP_1)
	v_add_nc_u64_e32 v[16:17], v[48:49], v[46:47]
	v_mul_u64_e32 v[26:27], s[82:83], v[16:17]
	s_delay_alu instid0(VALU_DEP_1) | instskip(NEXT) | instid1(VALU_DEP_2)
	v_sub_nc_u32_e32 v3, v44, v27
	v_sub_co_u32 v19, vcc_lo, v24, v26
	s_delay_alu instid0(VALU_DEP_1) | instskip(NEXT) | instid1(VALU_DEP_3)
	v_sub_co_ci_u32_e64 v23, null, v44, v27, vcc_lo
	v_subrev_co_ci_u32_e64 v3, null, s83, v3, vcc_lo
	s_delay_alu instid0(VALU_DEP_3) | instskip(SKIP_1) | instid1(VALU_DEP_3)
	v_sub_co_u32 v21, s0, v19, s82
	v_add_nc_u64_e32 v[26:27], 1, v[16:17]
	v_subrev_co_ci_u32_e64 v3, null, 0, v3, s0
	s_delay_alu instid0(VALU_DEP_3) | instskip(SKIP_1) | instid1(VALU_DEP_3)
	v_cmp_le_u32_e32 vcc_lo, s82, v21
	v_cndmask_b32_e64 v21, 0, -1, vcc_lo
	v_cmp_le_u32_e32 vcc_lo, s83, v3
	v_cndmask_b32_e64 v24, 0, -1, vcc_lo
	;; [unrolled: 2-line block ×4, first 2 shown]
	v_cmp_eq_u32_e32 vcc_lo, s83, v3
	v_cndmask_b32_e32 v3, v24, v21, vcc_lo
	v_cmp_eq_u32_e32 vcc_lo, s83, v23
	v_add_nc_u64_e32 v[24:25], 2, v[16:17]
	v_cndmask_b32_e32 v19, v43, v19, vcc_lo
	s_delay_alu instid0(VALU_DEP_4) | instskip(NEXT) | instid1(VALU_DEP_2)
	v_cmp_ne_u32_e32 vcc_lo, 0, v3
	v_cmp_ne_u32_e64 s0, 0, v19
	s_delay_alu instid0(VALU_DEP_4) | instskip(NEXT) | instid1(VALU_DEP_1)
	v_dual_cndmask_b32 v3, v27, v25, vcc_lo :: v_dual_cndmask_b32 v19, v26, v24, vcc_lo
                                        ; implicit-def: $vgpr26_vgpr27
	v_cndmask_b32_e64 v3, v17, v3, s0
	s_delay_alu instid0(VALU_DEP_2) | instskip(NEXT) | instid1(VALU_DEP_2)
	v_dual_cndmask_b32 v16, v16, v19, s0 :: v_dual_mov_b32 v19, v18
	v_xor_b32_e32 v17, v3, v18
	s_delay_alu instid0(VALU_DEP_2) | instskip(NEXT) | instid1(VALU_DEP_1)
	v_xor_b32_e32 v16, v16, v18
	v_sub_nc_u64_e32 v[16:17], v[16:17], v[18:19]
.LBB15_45:                              ;   in Loop: Header=BB15_3 Depth=1
	s_and_not1_saveexec_b32 s0, s85
	s_cbranch_execz .LBB15_47
; %bb.46:                               ;   in Loop: Header=BB15_3 Depth=1
	v_rcp_iflag_f32_e32 v3, v9
	s_sub_co_i32 s2, 0, s64
	v_nop
	s_delay_alu instid0(TRANS32_DEP_1) | instskip(NEXT) | instid1(VALU_DEP_1)
	v_mul_f32_e32 v3, 0x4f7ffffe, v3
	v_cvt_u32_f32_e32 v3, v3
	s_delay_alu instid0(VALU_DEP_1) | instskip(NEXT) | instid1(VALU_DEP_1)
	v_mul_lo_u32 v16, s2, v3
	v_mul_hi_u32 v16, v3, v16
	s_delay_alu instid0(VALU_DEP_1) | instskip(NEXT) | instid1(VALU_DEP_1)
	v_add_nc_u32_e32 v3, v3, v16
	v_mul_hi_u32 v3, v26, v3
	s_delay_alu instid0(VALU_DEP_1) | instskip(NEXT) | instid1(VALU_DEP_1)
	v_mul_lo_u32 v16, v3, s64
	v_dual_add_nc_u32 v17, 1, v3 :: v_dual_sub_nc_u32 v16, v26, v16
	s_delay_alu instid0(VALU_DEP_1) | instskip(SKIP_1) | instid1(VALU_DEP_2)
	v_subrev_nc_u32_e32 v18, s64, v16
	v_cmp_le_u32_e32 vcc_lo, s64, v16
	v_dual_cndmask_b32 v16, v16, v18 :: v_dual_cndmask_b32 v3, v3, v17
	s_delay_alu instid0(VALU_DEP_1) | instskip(NEXT) | instid1(VALU_DEP_2)
	v_cmp_le_u32_e32 vcc_lo, s64, v16
	v_add_nc_u32_e32 v17, 1, v3
	s_delay_alu instid0(VALU_DEP_1)
	v_dual_cndmask_b32 v16, v3, v17 :: v_dual_mov_b32 v17, v2
.LBB15_47:                              ;   in Loop: Header=BB15_3 Depth=1
	s_or_b32 exec_lo, exec_lo, s0
	v_or_b32_e32 v3, s65, v29
                                        ; implicit-def: $vgpr18_vgpr19
	s_mov_b32 s0, exec_lo
	s_delay_alu instid0(VALU_DEP_1)
	v_cmpx_ne_u64_e32 0, v[2:3]
	s_xor_b32 s85, exec_lo, s0
	s_cbranch_execz .LBB15_49
; %bb.48:                               ;   in Loop: Header=BB15_3 Depth=1
	s_ashr_i32 s80, s65, 31
	v_dual_mov_b32 v21, v20 :: v_dual_mov_b32 v25, v2
	s_mov_b32 s81, s80
	v_mov_b32_e32 v47, v2
	s_add_nc_u64 s[82:83], s[64:65], s[80:81]
	s_delay_alu instid0(VALU_DEP_2)
	v_add_nc_u64_e32 v[18:19], v[28:29], v[20:21]
	s_xor_b64 s[82:83], s[82:83], s[80:81]
	v_mov_b32_e32 v29, v2
	s_cvt_f32_u32 s0, s82
	s_cvt_f32_u32 s2, s83
	s_sub_nc_u64 s[88:89], 0, s[82:83]
	s_delay_alu instid0(VALU_DEP_2) | instskip(NEXT) | instid1(SALU_CYCLE_1)
	v_xor_b32_e32 v28, v19, v20
	s_fmamk_f32 s0, s2, 0x4f800000, s0
	v_xor_b32_e32 v24, v18, v20
	v_xor_b32_e32 v20, s80, v20
	s_delay_alu instid0(SALU_CYCLE_1) | instskip(NEXT) | instid1(TRANS32_DEP_1)
	v_s_rcp_f32 s0, s0
	s_mul_f32 s0, s0, 0x5f7ffffc
	s_delay_alu instid0(SALU_CYCLE_3) | instskip(NEXT) | instid1(SALU_CYCLE_3)
	s_mul_f32 s2, s0, 0x2f800000
	s_trunc_f32 s2, s2
	s_delay_alu instid0(SALU_CYCLE_3) | instskip(SKIP_1) | instid1(SALU_CYCLE_2)
	s_fmamk_f32 s0, s2, 0xcf800000, s0
	s_cvt_u32_f32 s87, s2
	s_cvt_u32_f32 s86, s0
	s_delay_alu instid0(SALU_CYCLE_3) | instskip(NEXT) | instid1(SALU_CYCLE_1)
	s_mul_u64 s[90:91], s[88:89], s[86:87]
	s_mul_hi_u32 s93, s86, s91
	s_mul_i32 s92, s86, s91
	s_mul_hi_u32 s2, s86, s90
	s_mul_i32 s81, s87, s90
	s_add_nc_u64 s[92:93], s[2:3], s[92:93]
	s_mul_hi_u32 s0, s87, s90
	s_mul_hi_u32 s94, s87, s91
	s_add_co_u32 s2, s92, s81
	s_add_co_ci_u32 s2, s93, s0
	s_mul_i32 s90, s87, s91
	s_add_co_ci_u32 s91, s94, 0
	s_delay_alu instid0(SALU_CYCLE_1) | instskip(NEXT) | instid1(SALU_CYCLE_1)
	s_add_nc_u64 s[90:91], s[2:3], s[90:91]
	s_add_co_u32 s86, s86, s90
	s_cselect_b32 s0, -1, 0
	s_delay_alu instid0(SALU_CYCLE_1) | instskip(SKIP_1) | instid1(SALU_CYCLE_1)
	s_cmp_lg_u32 s0, 0
	s_add_co_ci_u32 s87, s87, s91
	s_mul_u64 s[88:89], s[88:89], s[86:87]
	s_delay_alu instid0(SALU_CYCLE_1)
	s_mul_hi_u32 s91, s86, s89
	s_mul_i32 s90, s86, s89
	s_mul_hi_u32 s2, s86, s88
	s_mul_i32 s81, s87, s88
	s_add_nc_u64 s[90:91], s[2:3], s[90:91]
	s_mul_hi_u32 s0, s87, s88
	s_mul_hi_u32 s92, s87, s89
	s_add_co_u32 s2, s90, s81
	s_add_co_ci_u32 s2, s91, s0
	s_mul_i32 s88, s87, s89
	s_add_co_ci_u32 s89, s92, 0
	s_delay_alu instid0(SALU_CYCLE_1) | instskip(NEXT) | instid1(SALU_CYCLE_1)
	s_add_nc_u64 s[88:89], s[2:3], s[88:89]
	s_add_co_u32 s0, s86, s88
	s_cselect_b32 s2, -1, 0
	v_nop
	v_mul_hi_u32 v46, v24, s0
	s_cmp_lg_u32 s2, 0
	s_add_co_ci_u32 s2, s87, s89
	s_and_b64 s[86:87], s[0:1], s[74:75]
	v_mul_u64_e32 v[26:27], s[2:3], v[24:25]
	v_mul_u64_e32 v[18:19], s[86:87], v[28:29]
	;; [unrolled: 1-line block ×3, first 2 shown]
	s_delay_alu instid0(VALU_DEP_3) | instskip(NEXT) | instid1(VALU_DEP_1)
	v_add_nc_u64_e32 v[26:27], v[46:47], v[26:27]
	v_add_co_u32 v3, vcc_lo, v26, v18
	s_delay_alu instid0(VALU_DEP_2) | instskip(NEXT) | instid1(VALU_DEP_4)
	v_add_co_ci_u32_e32 v46, vcc_lo, v27, v19, vcc_lo
	v_add_co_ci_u32_e32 v45, vcc_lo, 0, v45, vcc_lo
	s_delay_alu instid0(VALU_DEP_1) | instskip(NEXT) | instid1(VALU_DEP_1)
	v_add_nc_u64_e32 v[18:19], v[46:47], v[44:45]
	v_mul_u64_e32 v[26:27], s[82:83], v[18:19]
	s_delay_alu instid0(VALU_DEP_1) | instskip(NEXT) | instid1(VALU_DEP_2)
	v_sub_nc_u32_e32 v3, v28, v27
	v_sub_co_u32 v21, vcc_lo, v24, v26
	s_delay_alu instid0(VALU_DEP_1) | instskip(NEXT) | instid1(VALU_DEP_3)
	v_sub_co_ci_u32_e64 v28, null, v28, v27, vcc_lo
	v_subrev_co_ci_u32_e64 v3, null, s83, v3, vcc_lo
	s_delay_alu instid0(VALU_DEP_3) | instskip(SKIP_1) | instid1(VALU_DEP_3)
	v_sub_co_u32 v23, s0, v21, s82
	v_add_nc_u64_e32 v[26:27], 1, v[18:19]
	v_subrev_co_ci_u32_e64 v3, null, 0, v3, s0
	s_delay_alu instid0(VALU_DEP_3) | instskip(SKIP_1) | instid1(VALU_DEP_3)
	v_cmp_le_u32_e32 vcc_lo, s82, v23
	v_cndmask_b32_e64 v23, 0, -1, vcc_lo
	v_cmp_le_u32_e32 vcc_lo, s83, v3
	v_cndmask_b32_e64 v24, 0, -1, vcc_lo
	;; [unrolled: 2-line block ×4, first 2 shown]
	v_cmp_eq_u32_e32 vcc_lo, s83, v3
	v_cndmask_b32_e32 v3, v24, v23, vcc_lo
	v_cmp_eq_u32_e32 vcc_lo, s83, v28
	v_add_nc_u64_e32 v[24:25], 2, v[18:19]
	v_cndmask_b32_e32 v21, v29, v21, vcc_lo
	s_delay_alu instid0(VALU_DEP_4) | instskip(NEXT) | instid1(VALU_DEP_2)
	v_cmp_ne_u32_e32 vcc_lo, 0, v3
                                        ; implicit-def: $vgpr28_vgpr29
	v_cmp_ne_u32_e64 s0, 0, v21
	s_delay_alu instid0(VALU_DEP_4) | instskip(NEXT) | instid1(VALU_DEP_1)
	v_dual_cndmask_b32 v3, v27, v25, vcc_lo :: v_dual_cndmask_b32 v21, v26, v24, vcc_lo
	v_dual_cndmask_b32 v3, v19, v3, s0 :: v_dual_cndmask_b32 v18, v18, v21, s0
	s_delay_alu instid0(VALU_DEP_1) | instskip(NEXT) | instid1(VALU_DEP_2)
	v_dual_mov_b32 v21, v20 :: v_dual_bitop2_b32 v19, v3, v20 bitop3:0x14
	v_xor_b32_e32 v18, v18, v20
	s_delay_alu instid0(VALU_DEP_1)
	v_sub_nc_u64_e32 v[18:19], v[18:19], v[20:21]
.LBB15_49:                              ;   in Loop: Header=BB15_3 Depth=1
	s_and_not1_saveexec_b32 s0, s85
	s_cbranch_execz .LBB15_51
; %bb.50:                               ;   in Loop: Header=BB15_3 Depth=1
	v_rcp_iflag_f32_e32 v3, v9
	s_sub_co_i32 s2, 0, s64
	v_nop
	s_delay_alu instid0(TRANS32_DEP_1) | instskip(NEXT) | instid1(VALU_DEP_1)
	v_mul_f32_e32 v3, 0x4f7ffffe, v3
	v_cvt_u32_f32_e32 v3, v3
	s_delay_alu instid0(VALU_DEP_1) | instskip(NEXT) | instid1(VALU_DEP_1)
	v_mul_lo_u32 v18, s2, v3
	v_mul_hi_u32 v18, v3, v18
	s_delay_alu instid0(VALU_DEP_1) | instskip(NEXT) | instid1(VALU_DEP_1)
	v_add_nc_u32_e32 v3, v3, v18
	v_mul_hi_u32 v3, v28, v3
	s_delay_alu instid0(VALU_DEP_1) | instskip(NEXT) | instid1(VALU_DEP_1)
	v_mul_lo_u32 v18, v3, s64
	v_dual_add_nc_u32 v19, 1, v3 :: v_dual_sub_nc_u32 v18, v28, v18
	s_delay_alu instid0(VALU_DEP_1) | instskip(SKIP_1) | instid1(VALU_DEP_2)
	v_subrev_nc_u32_e32 v20, s64, v18
	v_cmp_le_u32_e32 vcc_lo, s64, v18
	v_dual_cndmask_b32 v18, v18, v20 :: v_dual_cndmask_b32 v3, v3, v19
	s_delay_alu instid0(VALU_DEP_1) | instskip(NEXT) | instid1(VALU_DEP_2)
	v_cmp_le_u32_e32 vcc_lo, s64, v18
	v_add_nc_u32_e32 v19, 1, v3
	s_delay_alu instid0(VALU_DEP_1)
	v_dual_cndmask_b32 v18, v3, v19 :: v_dual_mov_b32 v19, v2
.LBB15_51:                              ;   in Loop: Header=BB15_3 Depth=1
	s_or_b32 exec_lo, exec_lo, s0
	v_or_b32_e32 v3, s65, v31
                                        ; implicit-def: $vgpr20_vgpr21
	s_mov_b32 s0, exec_lo
	s_delay_alu instid0(VALU_DEP_1)
	v_cmpx_ne_u64_e32 0, v[2:3]
	s_xor_b32 s85, exec_lo, s0
	s_cbranch_execz .LBB15_53
; %bb.52:                               ;   in Loop: Header=BB15_3 Depth=1
	s_ashr_i32 s80, s65, 31
	v_dual_mov_b32 v23, v22 :: v_dual_mov_b32 v25, v2
	s_mov_b32 s81, s80
	v_mov_b32_e32 v29, v2
	s_add_nc_u64 s[82:83], s[64:65], s[80:81]
	s_delay_alu instid0(VALU_DEP_2)
	v_add_nc_u64_e32 v[20:21], v[30:31], v[22:23]
	s_xor_b64 s[82:83], s[82:83], s[80:81]
	v_mov_b32_e32 v45, v2
	s_cvt_f32_u32 s0, s82
	s_cvt_f32_u32 s2, s83
	s_sub_nc_u64 s[88:89], 0, s[82:83]
	s_delay_alu instid0(VALU_DEP_2) | instskip(NEXT) | instid1(SALU_CYCLE_1)
	v_xor_b32_e32 v24, v20, v22
	s_fmamk_f32 s0, s2, 0x4f800000, s0
	v_xor_b32_e32 v28, v21, v22
	v_xor_b32_e32 v22, s80, v22
	s_delay_alu instid0(SALU_CYCLE_1) | instskip(NEXT) | instid1(TRANS32_DEP_1)
	v_s_rcp_f32 s0, s0
	s_mul_f32 s0, s0, 0x5f7ffffc
	s_delay_alu instid0(SALU_CYCLE_3) | instskip(NEXT) | instid1(SALU_CYCLE_3)
	s_mul_f32 s2, s0, 0x2f800000
	s_trunc_f32 s2, s2
	s_delay_alu instid0(SALU_CYCLE_3) | instskip(SKIP_1) | instid1(SALU_CYCLE_2)
	s_fmamk_f32 s0, s2, 0xcf800000, s0
	s_cvt_u32_f32 s87, s2
	s_cvt_u32_f32 s86, s0
	s_delay_alu instid0(SALU_CYCLE_3) | instskip(NEXT) | instid1(SALU_CYCLE_1)
	s_mul_u64 s[90:91], s[88:89], s[86:87]
	s_mul_hi_u32 s93, s86, s91
	s_mul_i32 s92, s86, s91
	s_mul_hi_u32 s2, s86, s90
	s_mul_i32 s81, s87, s90
	s_add_nc_u64 s[92:93], s[2:3], s[92:93]
	s_mul_hi_u32 s0, s87, s90
	s_mul_hi_u32 s94, s87, s91
	s_add_co_u32 s2, s92, s81
	s_add_co_ci_u32 s2, s93, s0
	s_mul_i32 s90, s87, s91
	s_add_co_ci_u32 s91, s94, 0
	s_delay_alu instid0(SALU_CYCLE_1) | instskip(NEXT) | instid1(SALU_CYCLE_1)
	s_add_nc_u64 s[90:91], s[2:3], s[90:91]
	s_add_co_u32 s86, s86, s90
	s_cselect_b32 s0, -1, 0
	s_delay_alu instid0(SALU_CYCLE_1) | instskip(SKIP_1) | instid1(SALU_CYCLE_1)
	s_cmp_lg_u32 s0, 0
	s_add_co_ci_u32 s87, s87, s91
	s_mul_u64 s[88:89], s[88:89], s[86:87]
	s_delay_alu instid0(SALU_CYCLE_1)
	s_mul_hi_u32 s91, s86, s89
	s_mul_i32 s90, s86, s89
	s_mul_hi_u32 s2, s86, s88
	s_mul_i32 s81, s87, s88
	s_add_nc_u64 s[90:91], s[2:3], s[90:91]
	s_mul_hi_u32 s0, s87, s88
	s_mul_hi_u32 s92, s87, s89
	s_add_co_u32 s2, s90, s81
	s_add_co_ci_u32 s2, s91, s0
	s_mul_i32 s88, s87, s89
	s_add_co_ci_u32 s89, s92, 0
	s_delay_alu instid0(SALU_CYCLE_1) | instskip(NEXT) | instid1(SALU_CYCLE_1)
	s_add_nc_u64 s[88:89], s[2:3], s[88:89]
	s_add_co_u32 s0, s86, s88
	s_cselect_b32 s2, -1, 0
	v_nop
	v_mul_hi_u32 v44, v24, s0
	s_cmp_lg_u32 s2, 0
	s_add_co_ci_u32 s2, s87, s89
	s_and_b64 s[86:87], s[0:1], s[74:75]
	v_mul_u64_e32 v[26:27], s[2:3], v[24:25]
	v_mul_u64_e32 v[20:21], s[86:87], v[28:29]
	;; [unrolled: 1-line block ×3, first 2 shown]
	s_delay_alu instid0(VALU_DEP_3) | instskip(NEXT) | instid1(VALU_DEP_1)
	v_add_nc_u64_e32 v[26:27], v[44:45], v[26:27]
	v_add_co_u32 v3, vcc_lo, v26, v20
	s_delay_alu instid0(VALU_DEP_2) | instskip(NEXT) | instid1(VALU_DEP_4)
	v_add_co_ci_u32_e32 v44, vcc_lo, v27, v21, vcc_lo
	v_add_co_ci_u32_e32 v31, vcc_lo, 0, v31, vcc_lo
	s_delay_alu instid0(VALU_DEP_1) | instskip(NEXT) | instid1(VALU_DEP_1)
	v_add_nc_u64_e32 v[20:21], v[44:45], v[30:31]
                                        ; implicit-def: $vgpr30_vgpr31
	v_mul_u64_e32 v[26:27], s[82:83], v[20:21]
	s_delay_alu instid0(VALU_DEP_1) | instskip(NEXT) | instid1(VALU_DEP_2)
	v_sub_nc_u32_e32 v3, v28, v27
	v_sub_co_u32 v9, vcc_lo, v24, v26
	s_delay_alu instid0(VALU_DEP_1) | instskip(NEXT) | instid1(VALU_DEP_3)
	v_sub_co_ci_u32_e64 v28, null, v28, v27, vcc_lo
	v_subrev_co_ci_u32_e64 v3, null, s83, v3, vcc_lo
	s_delay_alu instid0(VALU_DEP_3) | instskip(SKIP_1) | instid1(VALU_DEP_3)
	v_sub_co_u32 v23, s0, v9, s82
	v_add_nc_u64_e32 v[26:27], 1, v[20:21]
	v_subrev_co_ci_u32_e64 v3, null, 0, v3, s0
	s_delay_alu instid0(VALU_DEP_3) | instskip(SKIP_1) | instid1(VALU_DEP_3)
	v_cmp_le_u32_e32 vcc_lo, s82, v23
	v_cndmask_b32_e64 v23, 0, -1, vcc_lo
	v_cmp_le_u32_e32 vcc_lo, s83, v3
	v_cndmask_b32_e64 v24, 0, -1, vcc_lo
	;; [unrolled: 2-line block ×4, first 2 shown]
	v_cmp_eq_u32_e32 vcc_lo, s83, v3
	v_cndmask_b32_e32 v3, v24, v23, vcc_lo
	v_cmp_eq_u32_e32 vcc_lo, s83, v28
	v_add_nc_u64_e32 v[24:25], 2, v[20:21]
	v_cndmask_b32_e32 v9, v29, v9, vcc_lo
	s_delay_alu instid0(VALU_DEP_4) | instskip(NEXT) | instid1(VALU_DEP_2)
	v_cmp_ne_u32_e32 vcc_lo, 0, v3
	v_cmp_ne_u32_e64 s0, 0, v9
	s_delay_alu instid0(VALU_DEP_4) | instskip(NEXT) | instid1(VALU_DEP_1)
	v_dual_cndmask_b32 v3, v27, v25, vcc_lo :: v_dual_cndmask_b32 v9, v26, v24, vcc_lo
	v_dual_cndmask_b32 v3, v21, v3, s0 :: v_dual_cndmask_b32 v9, v20, v9, s0
	s_delay_alu instid0(VALU_DEP_1) | instskip(NEXT) | instid1(VALU_DEP_2)
	v_dual_mov_b32 v23, v22 :: v_dual_bitop2_b32 v21, v3, v22 bitop3:0x14
	v_xor_b32_e32 v20, v9, v22
                                        ; implicit-def: $vgpr9
	s_delay_alu instid0(VALU_DEP_1)
	v_sub_nc_u64_e32 v[20:21], v[20:21], v[22:23]
.LBB15_53:                              ;   in Loop: Header=BB15_3 Depth=1
	s_and_not1_saveexec_b32 s0, s85
	s_cbranch_execz .LBB15_55
; %bb.54:                               ;   in Loop: Header=BB15_3 Depth=1
	v_rcp_iflag_f32_e32 v3, v9
	s_sub_co_i32 s2, 0, s64
	v_nop
	s_delay_alu instid0(TRANS32_DEP_1) | instskip(NEXT) | instid1(VALU_DEP_1)
	v_mul_f32_e32 v3, 0x4f7ffffe, v3
	v_cvt_u32_f32_e32 v3, v3
	s_delay_alu instid0(VALU_DEP_1) | instskip(NEXT) | instid1(VALU_DEP_1)
	v_mul_lo_u32 v9, s2, v3
	v_mul_hi_u32 v9, v3, v9
	s_delay_alu instid0(VALU_DEP_1) | instskip(NEXT) | instid1(VALU_DEP_1)
	v_add_nc_u32_e32 v3, v3, v9
	v_mul_hi_u32 v3, v30, v3
	s_delay_alu instid0(VALU_DEP_1) | instskip(NEXT) | instid1(VALU_DEP_1)
	v_mul_lo_u32 v9, v3, s64
	v_sub_nc_u32_e32 v9, v30, v9
	s_delay_alu instid0(VALU_DEP_1) | instskip(SKIP_1) | instid1(VALU_DEP_2)
	v_subrev_nc_u32_e32 v21, s64, v9
	v_cmp_le_u32_e32 vcc_lo, s64, v9
	v_dual_cndmask_b32 v9, v9, v21 :: v_dual_add_nc_u32 v20, 1, v3
	s_delay_alu instid0(VALU_DEP_1) | instskip(NEXT) | instid1(VALU_DEP_2)
	v_dual_cndmask_b32 v3, v3, v20, vcc_lo :: v_dual_mov_b32 v21, v2
	v_cmp_le_u32_e32 vcc_lo, s64, v9
	s_delay_alu instid0(VALU_DEP_2) | instskip(NEXT) | instid1(VALU_DEP_1)
	v_add_nc_u32_e32 v20, 1, v3
	v_cndmask_b32_e32 v20, v3, v20, vcc_lo
.LBB15_55:                              ;   in Loop: Header=BB15_3 Depth=1
	s_or_b32 exec_lo, exec_lo, s0
	v_or_b32_e32 v3, s53, v1
                                        ; implicit-def: $vgpr22_vgpr23
	s_mov_b32 s0, exec_lo
	s_delay_alu instid0(VALU_DEP_1)
	v_cmpx_ne_u64_e32 0, v[2:3]
	s_xor_b32 s85, exec_lo, s0
	s_cbranch_execz .LBB15_57
; %bb.56:                               ;   in Loop: Header=BB15_3 Depth=1
	s_ashr_i32 s80, s53, 31
	v_dual_mov_b32 v9, v8 :: v_dual_mov_b32 v25, v2
	s_mov_b32 s81, s80
	v_mov_b32_e32 v45, v2
	s_add_nc_u64 s[82:83], s[52:53], s[80:81]
	s_delay_alu instid0(VALU_DEP_2)
	v_add_nc_u64_e32 v[22:23], v[0:1], v[8:9]
	s_xor_b64 s[82:83], s[82:83], s[80:81]
	v_mov_b32_e32 v29, v2
	s_cvt_f32_u32 s0, s82
	s_cvt_f32_u32 s2, s83
	s_sub_nc_u64 s[88:89], 0, s[82:83]
	s_delay_alu instid0(VALU_DEP_2) | instskip(NEXT) | instid1(SALU_CYCLE_1)
	v_xor_b32_e32 v28, v23, v8
	s_fmamk_f32 s0, s2, 0x4f800000, s0
	v_xor_b32_e32 v24, v22, v8
	s_delay_alu instid0(SALU_CYCLE_2) | instskip(NEXT) | instid1(TRANS32_DEP_1)
	v_s_rcp_f32 s0, s0
	s_mul_f32 s0, s0, 0x5f7ffffc
	s_delay_alu instid0(SALU_CYCLE_3) | instskip(NEXT) | instid1(SALU_CYCLE_3)
	s_mul_f32 s2, s0, 0x2f800000
	s_trunc_f32 s2, s2
	s_delay_alu instid0(SALU_CYCLE_3) | instskip(SKIP_1) | instid1(SALU_CYCLE_2)
	s_fmamk_f32 s0, s2, 0xcf800000, s0
	s_cvt_u32_f32 s87, s2
	s_cvt_u32_f32 s86, s0
	s_delay_alu instid0(SALU_CYCLE_3) | instskip(NEXT) | instid1(SALU_CYCLE_1)
	s_mul_u64 s[90:91], s[88:89], s[86:87]
	s_mul_hi_u32 s93, s86, s91
	s_mul_i32 s92, s86, s91
	s_mul_hi_u32 s2, s86, s90
	s_mul_i32 s81, s87, s90
	s_add_nc_u64 s[92:93], s[2:3], s[92:93]
	s_mul_hi_u32 s0, s87, s90
	s_mul_hi_u32 s94, s87, s91
	s_add_co_u32 s2, s92, s81
	s_add_co_ci_u32 s2, s93, s0
	s_mul_i32 s90, s87, s91
	s_add_co_ci_u32 s91, s94, 0
	s_delay_alu instid0(SALU_CYCLE_1) | instskip(NEXT) | instid1(SALU_CYCLE_1)
	s_add_nc_u64 s[90:91], s[2:3], s[90:91]
	s_add_co_u32 s86, s86, s90
	s_cselect_b32 s0, -1, 0
	s_delay_alu instid0(SALU_CYCLE_1) | instskip(SKIP_1) | instid1(SALU_CYCLE_1)
	s_cmp_lg_u32 s0, 0
	s_add_co_ci_u32 s87, s87, s91
	s_mul_u64 s[88:89], s[88:89], s[86:87]
	s_delay_alu instid0(SALU_CYCLE_1)
	s_mul_hi_u32 s91, s86, s89
	s_mul_i32 s90, s86, s89
	s_mul_hi_u32 s2, s86, s88
	s_mul_i32 s81, s87, s88
	s_add_nc_u64 s[90:91], s[2:3], s[90:91]
	s_mul_hi_u32 s0, s87, s88
	s_mul_hi_u32 s92, s87, s89
	s_add_co_u32 s2, s90, s81
	s_add_co_ci_u32 s2, s91, s0
	s_mul_i32 s88, s87, s89
	s_add_co_ci_u32 s89, s92, 0
	s_delay_alu instid0(SALU_CYCLE_1) | instskip(NEXT) | instid1(SALU_CYCLE_1)
	s_add_nc_u64 s[88:89], s[2:3], s[88:89]
	s_add_co_u32 s0, s86, s88
	s_cselect_b32 s2, -1, 0
	v_nop
	v_mul_hi_u32 v44, v24, s0
	s_cmp_lg_u32 s2, 0
	s_add_co_ci_u32 s2, s87, s89
	s_and_b64 s[86:87], s[0:1], s[74:75]
	v_mul_u64_e32 v[26:27], s[2:3], v[24:25]
	v_mul_u64_e32 v[22:23], s[86:87], v[28:29]
	;; [unrolled: 1-line block ×3, first 2 shown]
	s_delay_alu instid0(VALU_DEP_3) | instskip(NEXT) | instid1(VALU_DEP_1)
	v_add_nc_u64_e32 v[26:27], v[44:45], v[26:27]
	v_add_co_u32 v3, vcc_lo, v26, v22
	s_delay_alu instid0(VALU_DEP_2) | instskip(NEXT) | instid1(VALU_DEP_4)
	v_add_co_ci_u32_e32 v44, vcc_lo, v27, v23, vcc_lo
	v_add_co_ci_u32_e32 v31, vcc_lo, 0, v31, vcc_lo
	s_delay_alu instid0(VALU_DEP_1) | instskip(NEXT) | instid1(VALU_DEP_1)
	v_add_nc_u64_e32 v[22:23], v[44:45], v[30:31]
	v_mul_u64_e32 v[26:27], s[82:83], v[22:23]
	s_delay_alu instid0(VALU_DEP_1) | instskip(NEXT) | instid1(VALU_DEP_2)
	v_sub_nc_u32_e32 v3, v28, v27
	v_sub_co_u32 v9, vcc_lo, v24, v26
	s_delay_alu instid0(VALU_DEP_1) | instskip(NEXT) | instid1(VALU_DEP_3)
	v_sub_co_ci_u32_e64 v28, null, v28, v27, vcc_lo
	v_subrev_co_ci_u32_e64 v3, null, s83, v3, vcc_lo
	s_delay_alu instid0(VALU_DEP_3) | instskip(SKIP_1) | instid1(VALU_DEP_3)
	v_sub_co_u32 v24, s0, v9, s82
	v_add_nc_u64_e32 v[26:27], 1, v[22:23]
	v_subrev_co_ci_u32_e64 v3, null, 0, v3, s0
	s_delay_alu instid0(VALU_DEP_3) | instskip(SKIP_1) | instid1(VALU_DEP_3)
	v_cmp_le_u32_e32 vcc_lo, s82, v24
	v_cndmask_b32_e64 v24, 0, -1, vcc_lo
	v_cmp_le_u32_e32 vcc_lo, s83, v3
	v_cndmask_b32_e64 v25, 0, -1, vcc_lo
	;; [unrolled: 2-line block ×4, first 2 shown]
	v_cmp_eq_u32_e32 vcc_lo, s83, v3
	v_cndmask_b32_e32 v3, v25, v24, vcc_lo
	v_cmp_eq_u32_e32 vcc_lo, s83, v28
	v_add_nc_u64_e32 v[24:25], 2, v[22:23]
	v_cndmask_b32_e32 v9, v29, v9, vcc_lo
	s_delay_alu instid0(VALU_DEP_4) | instskip(NEXT) | instid1(VALU_DEP_2)
	v_cmp_ne_u32_e32 vcc_lo, 0, v3
	v_cmp_ne_u32_e64 s0, 0, v9
	s_delay_alu instid0(VALU_DEP_4) | instskip(NEXT) | instid1(VALU_DEP_1)
	v_dual_cndmask_b32 v3, v27, v25, vcc_lo :: v_dual_cndmask_b32 v9, v26, v24, vcc_lo
	v_dual_cndmask_b32 v3, v23, v3, s0 :: v_dual_bitop2_b32 v24, s80, v8 bitop3:0x14
	s_delay_alu instid0(VALU_DEP_1) | instskip(NEXT) | instid1(VALU_DEP_2)
	v_dual_cndmask_b32 v9, v22, v9, s0 :: v_dual_mov_b32 v25, v24
	v_xor_b32_e32 v23, v3, v24
	s_delay_alu instid0(VALU_DEP_2) | instskip(NEXT) | instid1(VALU_DEP_1)
	v_xor_b32_e32 v22, v9, v24
	v_sub_nc_u64_e32 v[22:23], v[22:23], v[24:25]
.LBB15_57:                              ;   in Loop: Header=BB15_3 Depth=1
	s_and_not1_saveexec_b32 s0, s85
	s_cbranch_execz .LBB15_59
; %bb.58:                               ;   in Loop: Header=BB15_3 Depth=1
	v_cvt_f32_u32_e32 v3, s52
	s_sub_co_i32 s2, 0, s52
	s_delay_alu instid0(VALU_DEP_1) | instskip(SKIP_1) | instid1(TRANS32_DEP_1)
	v_rcp_iflag_f32_e32 v3, v3
	v_nop
	v_mul_f32_e32 v3, 0x4f7ffffe, v3
	s_delay_alu instid0(VALU_DEP_1) | instskip(NEXT) | instid1(VALU_DEP_1)
	v_cvt_u32_f32_e32 v3, v3
	v_mul_lo_u32 v9, s2, v3
	s_delay_alu instid0(VALU_DEP_1) | instskip(NEXT) | instid1(VALU_DEP_1)
	v_mul_hi_u32 v9, v3, v9
	v_add_nc_u32_e32 v3, v3, v9
	s_delay_alu instid0(VALU_DEP_1) | instskip(NEXT) | instid1(VALU_DEP_1)
	v_mul_hi_u32 v3, v0, v3
	v_mul_lo_u32 v9, v3, s52
	s_delay_alu instid0(VALU_DEP_1) | instskip(NEXT) | instid1(VALU_DEP_1)
	v_dual_add_nc_u32 v22, 1, v3 :: v_dual_sub_nc_u32 v9, v0, v9
	v_subrev_nc_u32_e32 v23, s52, v9
	v_cmp_le_u32_e32 vcc_lo, s52, v9
	s_delay_alu instid0(VALU_DEP_2) | instskip(NEXT) | instid1(VALU_DEP_4)
	v_dual_cndmask_b32 v9, v9, v23, vcc_lo :: v_dual_mov_b32 v23, v2
	v_cndmask_b32_e32 v3, v3, v22, vcc_lo
	s_delay_alu instid0(VALU_DEP_2) | instskip(NEXT) | instid1(VALU_DEP_2)
	v_cmp_le_u32_e32 vcc_lo, s52, v9
	v_add_nc_u32_e32 v22, 1, v3
	s_delay_alu instid0(VALU_DEP_1)
	v_cndmask_b32_e32 v22, v3, v22, vcc_lo
.LBB15_59:                              ;   in Loop: Header=BB15_3 Depth=1
	s_or_b32 exec_lo, exec_lo, s0
	s_delay_alu instid0(VALU_DEP_1) | instskip(SKIP_1) | instid1(VALU_DEP_1)
	v_mad_nc_u64_u32 v[24:25], s72, v22, v[0:1]
	s_mov_b32 s0, exec_lo
	v_mad_u32 v3, s73, v22, v25
	s_delay_alu instid0(VALU_DEP_1) | instskip(SKIP_2) | instid1(VALU_DEP_3)
	v_mad_u32 v25, s72, v23, v3
	v_mul_u64_e32 v[22:23], s[16:17], v[22:23]
	v_or_b32_e32 v3, s57, v1
	v_mul_u64_e32 v[24:25], s[18:19], v[24:25]
	s_delay_alu instid0(VALU_DEP_3) | instskip(NEXT) | instid1(VALU_DEP_1)
	v_lshl_add_u64 v[22:23], v[22:23], 1, s[50:51]
	v_lshl_add_u64 v[22:23], v[24:25], 1, v[22:23]
	global_load_u16 v30, v[22:23], off
                                        ; implicit-def: $vgpr22_vgpr23
	s_wait_xcnt 0x0
	v_cmpx_ne_u64_e32 0, v[2:3]
	s_xor_b32 s85, exec_lo, s0
	s_cbranch_execz .LBB15_61
; %bb.60:                               ;   in Loop: Header=BB15_3 Depth=1
	s_ashr_i32 s80, s57, 31
	v_dual_mov_b32 v9, v8 :: v_dual_mov_b32 v25, v2
	s_mov_b32 s81, s80
	v_mov_b32_e32 v47, v2
	s_add_nc_u64 s[82:83], s[56:57], s[80:81]
	s_delay_alu instid0(VALU_DEP_2)
	v_add_nc_u64_e32 v[22:23], v[0:1], v[8:9]
	s_xor_b64 s[82:83], s[82:83], s[80:81]
	v_mov_b32_e32 v29, v2
	s_cvt_f32_u32 s0, s82
	s_cvt_f32_u32 s2, s83
	s_sub_nc_u64 s[88:89], 0, s[82:83]
	s_delay_alu instid0(VALU_DEP_2) | instskip(NEXT) | instid1(SALU_CYCLE_1)
	v_xor_b32_e32 v28, v23, v8
	s_fmamk_f32 s0, s2, 0x4f800000, s0
	v_xor_b32_e32 v24, v22, v8
	s_delay_alu instid0(SALU_CYCLE_2) | instskip(NEXT) | instid1(TRANS32_DEP_1)
	v_s_rcp_f32 s0, s0
	s_mul_f32 s0, s0, 0x5f7ffffc
	s_delay_alu instid0(SALU_CYCLE_3) | instskip(NEXT) | instid1(SALU_CYCLE_3)
	s_mul_f32 s2, s0, 0x2f800000
	s_trunc_f32 s2, s2
	s_delay_alu instid0(SALU_CYCLE_3) | instskip(SKIP_1) | instid1(SALU_CYCLE_2)
	s_fmamk_f32 s0, s2, 0xcf800000, s0
	s_cvt_u32_f32 s87, s2
	s_cvt_u32_f32 s86, s0
	s_delay_alu instid0(SALU_CYCLE_3) | instskip(NEXT) | instid1(SALU_CYCLE_1)
	s_mul_u64 s[90:91], s[88:89], s[86:87]
	s_mul_hi_u32 s93, s86, s91
	s_mul_i32 s92, s86, s91
	s_mul_hi_u32 s2, s86, s90
	s_mul_i32 s81, s87, s90
	s_add_nc_u64 s[92:93], s[2:3], s[92:93]
	s_mul_hi_u32 s0, s87, s90
	s_mul_hi_u32 s94, s87, s91
	s_add_co_u32 s2, s92, s81
	s_add_co_ci_u32 s2, s93, s0
	s_mul_i32 s90, s87, s91
	s_add_co_ci_u32 s91, s94, 0
	s_delay_alu instid0(SALU_CYCLE_1) | instskip(NEXT) | instid1(SALU_CYCLE_1)
	s_add_nc_u64 s[90:91], s[2:3], s[90:91]
	s_add_co_u32 s86, s86, s90
	s_cselect_b32 s0, -1, 0
	s_delay_alu instid0(SALU_CYCLE_1) | instskip(SKIP_1) | instid1(SALU_CYCLE_1)
	s_cmp_lg_u32 s0, 0
	s_add_co_ci_u32 s87, s87, s91
	s_mul_u64 s[88:89], s[88:89], s[86:87]
	s_delay_alu instid0(SALU_CYCLE_1)
	s_mul_hi_u32 s91, s86, s89
	s_mul_i32 s90, s86, s89
	s_mul_hi_u32 s2, s86, s88
	s_mul_i32 s81, s87, s88
	s_add_nc_u64 s[90:91], s[2:3], s[90:91]
	s_mul_hi_u32 s0, s87, s88
	s_mul_hi_u32 s92, s87, s89
	s_add_co_u32 s2, s90, s81
	s_add_co_ci_u32 s2, s91, s0
	s_mul_i32 s88, s87, s89
	s_add_co_ci_u32 s89, s92, 0
	s_delay_alu instid0(SALU_CYCLE_1) | instskip(NEXT) | instid1(SALU_CYCLE_1)
	s_add_nc_u64 s[88:89], s[2:3], s[88:89]
	s_add_co_u32 s0, s86, s88
	s_cselect_b32 s2, -1, 0
	v_nop
	v_mul_hi_u32 v46, v24, s0
	s_cmp_lg_u32 s2, 0
	s_add_co_ci_u32 s2, s87, s89
	s_and_b64 s[86:87], s[0:1], s[74:75]
	v_mul_u64_e32 v[26:27], s[2:3], v[24:25]
	v_mul_u64_e32 v[22:23], s[86:87], v[28:29]
	;; [unrolled: 1-line block ×3, first 2 shown]
	s_delay_alu instid0(VALU_DEP_3) | instskip(NEXT) | instid1(VALU_DEP_1)
	v_add_nc_u64_e32 v[26:27], v[46:47], v[26:27]
	v_add_co_u32 v3, vcc_lo, v26, v22
	s_delay_alu instid0(VALU_DEP_2) | instskip(NEXT) | instid1(VALU_DEP_4)
	v_add_co_ci_u32_e32 v46, vcc_lo, v27, v23, vcc_lo
	v_add_co_ci_u32_e32 v45, vcc_lo, 0, v45, vcc_lo
	s_delay_alu instid0(VALU_DEP_1) | instskip(NEXT) | instid1(VALU_DEP_1)
	v_add_nc_u64_e32 v[22:23], v[46:47], v[44:45]
	v_mul_u64_e32 v[26:27], s[82:83], v[22:23]
	s_delay_alu instid0(VALU_DEP_1) | instskip(NEXT) | instid1(VALU_DEP_2)
	v_sub_nc_u32_e32 v3, v28, v27
	v_sub_co_u32 v9, vcc_lo, v24, v26
	s_delay_alu instid0(VALU_DEP_1) | instskip(NEXT) | instid1(VALU_DEP_3)
	v_sub_co_ci_u32_e64 v28, null, v28, v27, vcc_lo
	v_subrev_co_ci_u32_e64 v3, null, s83, v3, vcc_lo
	s_delay_alu instid0(VALU_DEP_3) | instskip(SKIP_1) | instid1(VALU_DEP_3)
	v_sub_co_u32 v24, s0, v9, s82
	v_add_nc_u64_e32 v[26:27], 1, v[22:23]
	v_subrev_co_ci_u32_e64 v3, null, 0, v3, s0
	s_delay_alu instid0(VALU_DEP_3) | instskip(SKIP_1) | instid1(VALU_DEP_3)
	v_cmp_le_u32_e32 vcc_lo, s82, v24
	v_cndmask_b32_e64 v24, 0, -1, vcc_lo
	v_cmp_le_u32_e32 vcc_lo, s83, v3
	v_cndmask_b32_e64 v25, 0, -1, vcc_lo
	;; [unrolled: 2-line block ×4, first 2 shown]
	v_cmp_eq_u32_e32 vcc_lo, s83, v3
	v_cndmask_b32_e32 v3, v25, v24, vcc_lo
	v_cmp_eq_u32_e32 vcc_lo, s83, v28
	v_add_nc_u64_e32 v[24:25], 2, v[22:23]
	v_cndmask_b32_e32 v9, v29, v9, vcc_lo
	s_delay_alu instid0(VALU_DEP_4) | instskip(NEXT) | instid1(VALU_DEP_2)
	v_cmp_ne_u32_e32 vcc_lo, 0, v3
	v_cmp_ne_u32_e64 s0, 0, v9
	s_delay_alu instid0(VALU_DEP_4) | instskip(NEXT) | instid1(VALU_DEP_1)
	v_dual_cndmask_b32 v3, v27, v25, vcc_lo :: v_dual_cndmask_b32 v9, v26, v24, vcc_lo
	v_dual_cndmask_b32 v3, v23, v3, s0 :: v_dual_bitop2_b32 v24, s80, v8 bitop3:0x14
	s_delay_alu instid0(VALU_DEP_1) | instskip(NEXT) | instid1(VALU_DEP_2)
	v_dual_cndmask_b32 v9, v22, v9, s0 :: v_dual_mov_b32 v25, v24
	v_xor_b32_e32 v23, v3, v24
	s_delay_alu instid0(VALU_DEP_2) | instskip(NEXT) | instid1(VALU_DEP_1)
	v_xor_b32_e32 v22, v9, v24
	v_sub_nc_u64_e32 v[22:23], v[22:23], v[24:25]
.LBB15_61:                              ;   in Loop: Header=BB15_3 Depth=1
	s_and_not1_saveexec_b32 s0, s85
	s_cbranch_execz .LBB15_63
; %bb.62:                               ;   in Loop: Header=BB15_3 Depth=1
	v_cvt_f32_u32_e32 v3, s56
	s_sub_co_i32 s2, 0, s56
	s_delay_alu instid0(VALU_DEP_1) | instskip(SKIP_1) | instid1(TRANS32_DEP_1)
	v_rcp_iflag_f32_e32 v3, v3
	v_nop
	v_mul_f32_e32 v3, 0x4f7ffffe, v3
	s_delay_alu instid0(VALU_DEP_1) | instskip(NEXT) | instid1(VALU_DEP_1)
	v_cvt_u32_f32_e32 v3, v3
	v_mul_lo_u32 v9, s2, v3
	s_delay_alu instid0(VALU_DEP_1) | instskip(NEXT) | instid1(VALU_DEP_1)
	v_mul_hi_u32 v9, v3, v9
	v_add_nc_u32_e32 v3, v3, v9
	s_delay_alu instid0(VALU_DEP_1) | instskip(NEXT) | instid1(VALU_DEP_1)
	v_mul_hi_u32 v3, v0, v3
	v_mul_lo_u32 v9, v3, s56
	s_delay_alu instid0(VALU_DEP_1) | instskip(NEXT) | instid1(VALU_DEP_1)
	v_dual_add_nc_u32 v22, 1, v3 :: v_dual_sub_nc_u32 v9, v0, v9
	v_subrev_nc_u32_e32 v23, s56, v9
	v_cmp_le_u32_e32 vcc_lo, s56, v9
	s_delay_alu instid0(VALU_DEP_2) | instskip(NEXT) | instid1(VALU_DEP_4)
	v_dual_cndmask_b32 v9, v9, v23, vcc_lo :: v_dual_mov_b32 v23, v2
	v_cndmask_b32_e32 v3, v3, v22, vcc_lo
	s_delay_alu instid0(VALU_DEP_2) | instskip(NEXT) | instid1(VALU_DEP_2)
	v_cmp_le_u32_e32 vcc_lo, s56, v9
	v_add_nc_u32_e32 v22, 1, v3
	s_delay_alu instid0(VALU_DEP_1)
	v_cndmask_b32_e32 v22, v3, v22, vcc_lo
.LBB15_63:                              ;   in Loop: Header=BB15_3 Depth=1
	s_or_b32 exec_lo, exec_lo, s0
	v_or_b32_e32 v3, s61, v1
                                        ; implicit-def: $vgpr24_vgpr25
	s_mov_b32 s0, exec_lo
	s_delay_alu instid0(VALU_DEP_1)
	v_cmpx_ne_u64_e32 0, v[2:3]
	s_xor_b32 s85, exec_lo, s0
	s_cbranch_execnz .LBB15_67
; %bb.64:                               ;   in Loop: Header=BB15_3 Depth=1
	s_and_not1_saveexec_b32 s0, s85
	s_cbranch_execnz .LBB15_68
.LBB15_65:                              ;   in Loop: Header=BB15_3 Depth=1
	s_or_b32 exec_lo, exec_lo, s0
	s_delay_alu instid0(SALU_CYCLE_1)
	s_and_not1_b32 vcc_lo, exec_lo, s1
	s_cbranch_vccnz .LBB15_69
.LBB15_66:                              ;   in Loop: Header=BB15_3 Depth=1
	v_sub_nc_u64_e32 v[26:27], 1, v[10:11]
	v_mad_nc_u64_u32 v[8:9], s70, v10, v[0:1]
	v_sub_nc_u64_e32 v[28:29], 2, v[10:11]
	v_sub_nc_u64_e32 v[44:45], 3, v[10:11]
	s_delay_alu instid0(VALU_DEP_4) | instskip(NEXT) | instid1(VALU_DEP_3)
	v_mad_nc_u64_u32 v[46:47], s4, v26, v[0:1]
	v_mad_nc_u64_u32 v[48:49], s4, v28, v[0:1]
	s_delay_alu instid0(VALU_DEP_3) | instskip(SKIP_1) | instid1(VALU_DEP_4)
	v_mad_nc_u64_u32 v[50:51], s4, v44, v[0:1]
	v_mad_u32 v3, s71, v10, v9
	v_mad_u32 v10, s5, v26, v47
	s_delay_alu instid0(VALU_DEP_4) | instskip(NEXT) | instid1(VALU_DEP_4)
	v_mad_u32 v26, s5, v28, v49
	v_mad_u32 v28, s5, v44, v51
	s_delay_alu instid0(VALU_DEP_4) | instskip(NEXT) | instid1(VALU_DEP_4)
	;; [unrolled: 3-line block ×3, first 2 shown]
	v_mad_u32 v49, s4, v29, v26
	v_mad_u32 v51, s4, v45, v28
	s_delay_alu instid0(VALU_DEP_4)
	v_mul_u64_e32 v[10:11], s[44:45], v[8:9]
	v_mul_u64_e32 v[8:9], s[48:49], v[8:9]
	;; [unrolled: 1-line block ×8, first 2 shown]
	v_lshl_add_u64 v[10:11], v[10:11], 1, s[40:41]
	v_lshl_add_u64 v[8:9], v[8:9], 1, s[46:47]
	global_load_u16 v3, v[10:11], off
	global_load_u16 v31, v[8:9], off
	s_wait_xcnt 0x0
	v_lshl_add_u64 v[8:9], v[26:27], 1, s[40:41]
	v_lshl_add_u64 v[26:27], v[44:45], 1, s[46:47]
	;; [unrolled: 1-line block ×6, first 2 shown]
	global_load_u16 v8, v[8:9], off
	global_load_u16 v9, v[26:27], off
	s_clause 0x1
	global_load_u16 v10, v[10:11], off
	global_load_u16 v11, v[28:29], off
	s_clause 0x1
	global_load_u16 v26, v[44:45], off
	global_load_u16 v27, v[46:47], off
	s_wait_loadcnt 0x7
	v_lshlrev_b32_e32 v43, 16, v3
	s_wait_loadcnt 0x5
	s_wait_xcnt 0x2
	v_dual_lshlrev_b32 v29, 16, v31 :: v_dual_lshlrev_b32 v31, 16, v8
	s_wait_loadcnt 0x3
	v_dual_lshlrev_b32 v28, 16, v9 :: v_dual_lshlrev_b32 v10, 16, v10
	s_wait_loadcnt 0x1
	;; [unrolled: 2-line block ×3, first 2 shown]
	v_lshlrev_b32_e32 v9, 16, v27
	s_branch .LBB15_70
.LBB15_67:                              ;   in Loop: Header=BB15_3 Depth=1
	s_ashr_i32 s80, s61, 31
	v_dual_mov_b32 v9, v8 :: v_dual_mov_b32 v27, v2
	s_mov_b32 s81, s80
	v_mov_b32_e32 v45, v2
	s_add_nc_u64 s[82:83], s[60:61], s[80:81]
	s_delay_alu instid0(VALU_DEP_2)
	v_add_nc_u64_e32 v[24:25], v[0:1], v[8:9]
	s_xor_b64 s[82:83], s[82:83], s[80:81]
	v_mov_b32_e32 v49, v2
	s_cvt_f32_u32 s0, s82
	s_cvt_f32_u32 s2, s83
	s_sub_nc_u64 s[88:89], 0, s[82:83]
	s_delay_alu instid0(VALU_DEP_2) | instskip(NEXT) | instid1(SALU_CYCLE_1)
	v_xor_b32_e32 v26, v24, v8
	s_fmamk_f32 s0, s2, 0x4f800000, s0
	v_xor_b32_e32 v44, v25, v8
	v_xor_b32_e32 v8, s80, v8
	s_delay_alu instid0(SALU_CYCLE_1) | instskip(NEXT) | instid1(TRANS32_DEP_1)
	v_s_rcp_f32 s0, s0
	s_mul_f32 s0, s0, 0x5f7ffffc
	s_delay_alu instid0(SALU_CYCLE_3) | instskip(NEXT) | instid1(SALU_CYCLE_3)
	s_mul_f32 s2, s0, 0x2f800000
	s_trunc_f32 s2, s2
	s_delay_alu instid0(SALU_CYCLE_3) | instskip(SKIP_1) | instid1(SALU_CYCLE_2)
	s_fmamk_f32 s0, s2, 0xcf800000, s0
	s_cvt_u32_f32 s87, s2
	s_cvt_u32_f32 s86, s0
	s_delay_alu instid0(SALU_CYCLE_3) | instskip(NEXT) | instid1(SALU_CYCLE_1)
	s_mul_u64 s[90:91], s[88:89], s[86:87]
	s_mul_hi_u32 s93, s86, s91
	s_mul_i32 s92, s86, s91
	s_mul_hi_u32 s2, s86, s90
	s_mul_i32 s81, s87, s90
	s_add_nc_u64 s[92:93], s[2:3], s[92:93]
	s_mul_hi_u32 s0, s87, s90
	s_mul_hi_u32 s94, s87, s91
	s_add_co_u32 s2, s92, s81
	s_add_co_ci_u32 s2, s93, s0
	s_mul_i32 s90, s87, s91
	s_add_co_ci_u32 s91, s94, 0
	s_delay_alu instid0(SALU_CYCLE_1) | instskip(NEXT) | instid1(SALU_CYCLE_1)
	s_add_nc_u64 s[90:91], s[2:3], s[90:91]
	s_add_co_u32 s86, s86, s90
	s_cselect_b32 s0, -1, 0
	s_delay_alu instid0(SALU_CYCLE_1) | instskip(SKIP_1) | instid1(SALU_CYCLE_1)
	s_cmp_lg_u32 s0, 0
	s_add_co_ci_u32 s87, s87, s91
	s_mul_u64 s[88:89], s[88:89], s[86:87]
	s_delay_alu instid0(SALU_CYCLE_1)
	s_mul_hi_u32 s91, s86, s89
	s_mul_i32 s90, s86, s89
	s_mul_hi_u32 s2, s86, s88
	s_mul_i32 s81, s87, s88
	s_add_nc_u64 s[90:91], s[2:3], s[90:91]
	s_mul_hi_u32 s0, s87, s88
	s_mul_hi_u32 s92, s87, s89
	s_add_co_u32 s2, s90, s81
	s_add_co_ci_u32 s2, s91, s0
	s_mul_i32 s88, s87, s89
	s_add_co_ci_u32 s89, s92, 0
	s_delay_alu instid0(SALU_CYCLE_1) | instskip(NEXT) | instid1(SALU_CYCLE_1)
	s_add_nc_u64 s[88:89], s[2:3], s[88:89]
	s_add_co_u32 s0, s86, s88
	s_cselect_b32 s2, -1, 0
	v_nop
	v_mul_hi_u32 v48, v26, s0
	s_cmp_lg_u32 s2, 0
	s_add_co_ci_u32 s2, s87, s89
	s_and_b64 s[86:87], s[0:1], s[74:75]
	v_mul_u64_e32 v[28:29], s[2:3], v[26:27]
	v_mul_u64_e32 v[24:25], s[86:87], v[44:45]
	;; [unrolled: 1-line block ×3, first 2 shown]
	s_delay_alu instid0(VALU_DEP_3) | instskip(NEXT) | instid1(VALU_DEP_1)
	v_add_nc_u64_e32 v[28:29], v[48:49], v[28:29]
	v_add_co_u32 v3, vcc_lo, v28, v24
	s_delay_alu instid0(VALU_DEP_2) | instskip(NEXT) | instid1(VALU_DEP_4)
	v_add_co_ci_u32_e32 v48, vcc_lo, v29, v25, vcc_lo
	v_add_co_ci_u32_e32 v47, vcc_lo, 0, v47, vcc_lo
	s_delay_alu instid0(VALU_DEP_1) | instskip(NEXT) | instid1(VALU_DEP_1)
	v_add_nc_u64_e32 v[24:25], v[48:49], v[46:47]
	v_mul_u64_e32 v[28:29], s[82:83], v[24:25]
	s_delay_alu instid0(VALU_DEP_1) | instskip(NEXT) | instid1(VALU_DEP_2)
	v_sub_nc_u32_e32 v3, v44, v29
	v_sub_co_u32 v9, vcc_lo, v26, v28
	s_delay_alu instid0(VALU_DEP_1) | instskip(NEXT) | instid1(VALU_DEP_3)
	v_sub_co_ci_u32_e64 v31, null, v44, v29, vcc_lo
	v_subrev_co_ci_u32_e64 v3, null, s83, v3, vcc_lo
	s_delay_alu instid0(VALU_DEP_3) | instskip(SKIP_1) | instid1(VALU_DEP_3)
	v_sub_co_u32 v26, s0, v9, s82
	v_add_nc_u64_e32 v[28:29], 1, v[24:25]
	v_subrev_co_ci_u32_e64 v3, null, 0, v3, s0
	s_delay_alu instid0(VALU_DEP_3) | instskip(SKIP_1) | instid1(VALU_DEP_3)
	v_cmp_le_u32_e32 vcc_lo, s82, v26
	v_cndmask_b32_e64 v26, 0, -1, vcc_lo
	v_cmp_le_u32_e32 vcc_lo, s83, v3
	v_cndmask_b32_e64 v27, 0, -1, vcc_lo
	;; [unrolled: 2-line block ×4, first 2 shown]
	v_cmp_eq_u32_e32 vcc_lo, s83, v3
	v_cndmask_b32_e32 v3, v27, v26, vcc_lo
	v_cmp_eq_u32_e32 vcc_lo, s83, v31
	v_add_nc_u64_e32 v[26:27], 2, v[24:25]
	v_cndmask_b32_e32 v9, v43, v9, vcc_lo
	s_delay_alu instid0(VALU_DEP_4) | instskip(NEXT) | instid1(VALU_DEP_3)
	v_cmp_ne_u32_e32 vcc_lo, 0, v3
	v_cndmask_b32_e32 v3, v29, v27, vcc_lo
	s_delay_alu instid0(VALU_DEP_3) | instskip(NEXT) | instid1(VALU_DEP_1)
	v_cmp_ne_u32_e64 s0, 0, v9
	v_dual_cndmask_b32 v9, v28, v26, vcc_lo :: v_dual_cndmask_b32 v3, v25, v3, s0
	s_delay_alu instid0(VALU_DEP_1) | instskip(NEXT) | instid1(VALU_DEP_2)
	v_cndmask_b32_e64 v24, v24, v9, s0
	v_dual_mov_b32 v9, v8 :: v_dual_bitop2_b32 v25, v3, v8 bitop3:0x14
	s_delay_alu instid0(VALU_DEP_2) | instskip(NEXT) | instid1(VALU_DEP_1)
	v_xor_b32_e32 v24, v24, v8
	v_sub_nc_u64_e32 v[24:25], v[24:25], v[8:9]
	s_and_not1_saveexec_b32 s0, s85
	s_cbranch_execz .LBB15_65
.LBB15_68:                              ;   in Loop: Header=BB15_3 Depth=1
	v_cvt_f32_u32_e32 v3, s60
	s_sub_co_i32 s2, 0, s60
	v_mov_b32_e32 v25, v2
	s_delay_alu instid0(VALU_DEP_2) | instskip(SKIP_1) | instid1(TRANS32_DEP_1)
	v_rcp_iflag_f32_e32 v3, v3
	v_nop
	v_mul_f32_e32 v3, 0x4f7ffffe, v3
	s_delay_alu instid0(VALU_DEP_1) | instskip(NEXT) | instid1(VALU_DEP_1)
	v_cvt_u32_f32_e32 v3, v3
	v_mul_lo_u32 v8, s2, v3
	s_delay_alu instid0(VALU_DEP_1) | instskip(NEXT) | instid1(VALU_DEP_1)
	v_mul_hi_u32 v8, v3, v8
	v_add_nc_u32_e32 v3, v3, v8
	s_delay_alu instid0(VALU_DEP_1) | instskip(NEXT) | instid1(VALU_DEP_1)
	v_mul_hi_u32 v3, v0, v3
	v_mul_lo_u32 v8, v3, s60
	s_delay_alu instid0(VALU_DEP_1) | instskip(NEXT) | instid1(VALU_DEP_1)
	v_sub_nc_u32_e32 v8, v0, v8
	v_subrev_nc_u32_e32 v24, s60, v8
	v_cmp_le_u32_e32 vcc_lo, s60, v8
	s_delay_alu instid0(VALU_DEP_2) | instskip(NEXT) | instid1(VALU_DEP_1)
	v_dual_cndmask_b32 v8, v8, v24 :: v_dual_add_nc_u32 v9, 1, v3
	v_cndmask_b32_e32 v3, v3, v9, vcc_lo
	s_delay_alu instid0(VALU_DEP_2) | instskip(NEXT) | instid1(VALU_DEP_2)
	v_cmp_le_u32_e32 vcc_lo, s60, v8
	v_add_nc_u32_e32 v9, 1, v3
	s_delay_alu instid0(VALU_DEP_1) | instskip(SKIP_1) | instid1(SALU_CYCLE_1)
	v_cndmask_b32_e32 v24, v3, v9, vcc_lo
	s_or_b32 exec_lo, exec_lo, s0
	s_and_not1_b32 vcc_lo, exec_lo, s1
	s_cbranch_vccz .LBB15_66
.LBB15_69:                              ;   in Loop: Header=BB15_3 Depth=1
	v_mov_b32_e32 v8, 0
	s_delay_alu instid0(VALU_DEP_1)
	v_dual_mov_b32 v9, v8 :: v_dual_mov_b32 v28, v8
	v_dual_mov_b32 v29, v8 :: v_dual_mov_b32 v10, v8
	;; [unrolled: 1-line block ×3, first 2 shown]
	v_mov_b32_e32 v43, v8
.LBB15_70:                              ;   in Loop: Header=BB15_3 Depth=1
	s_wait_loadcnt 0x2
	v_lshlrev_b32_e32 v27, 16, v41
	v_lshlrev_b32_e32 v26, 16, v37
                                        ; implicit-def: $vgpr3
	s_wait_xcnt 0x1
	s_delay_alu instid0(VALU_DEP_2) | instskip(NEXT) | instid1(VALU_DEP_1)
	v_mov_b32_e32 v44, v27
	v_pk_add_f32 v[26:27], v[44:45], v[26:27]
	s_delay_alu instid0(VALU_DEP_1) | instskip(NEXT) | instid1(VALU_DEP_1)
	v_pk_add_f32 v[26:27], v[26:27], v[10:11]
	v_pk_add_f32 v[26:27], v[8:9], v[26:27]
	s_delay_alu instid0(VALU_DEP_1) | instskip(SKIP_2) | instid1(SALU_CYCLE_1)
	v_cmp_ngt_f32_e64 s0, 0x3f200000, |v26|
	s_wait_xcnt 0x0
	s_and_saveexec_b32 s2, s0
	s_xor_b32 s0, exec_lo, s2
	s_cbranch_execz .LBB15_72
; %bb.71:                               ;   in Loop: Header=BB15_3 Depth=1
	v_add_f32_e64 v3, |v26|, |v26|
	s_delay_alu instid0(VALU_DEP_1) | instskip(SKIP_1) | instid1(VALU_DEP_2)
	v_mul_f32_e32 v8, 0x3fb8aa3b, v3
	v_cmp_ngt_f32_e32 vcc_lo, 0xc2ce8ed0, v3
	v_rndne_f32_e32 v10, v8
	v_fma_f32 v27, 0x3fb8aa3b, v3, -v8
	s_delay_alu instid0(VALU_DEP_1) | instskip(SKIP_1) | instid1(VALU_DEP_2)
	v_dual_sub_f32 v8, v8, v10 :: v_dual_fmac_f32 v27, 0x32a5705f, v3
	v_cvt_i32_f32_e32 v10, v10
	v_add_f32_e32 v8, v8, v27
	s_delay_alu instid0(VALU_DEP_1) | instskip(SKIP_1) | instid1(TRANS32_DEP_1)
	v_exp_f32_e32 v8, v8
	v_nop
	v_ldexp_f32 v8, v8, v10
	s_delay_alu instid0(VALU_DEP_1) | instskip(SKIP_1) | instid1(VALU_DEP_2)
	v_cndmask_b32_e32 v8, 0, v8, vcc_lo
	v_cmp_nlt_f32_e32 vcc_lo, 0x42b17218, v3
	v_cndmask_b32_e32 v3, 0x7f800000, v8, vcc_lo
	s_delay_alu instid0(VALU_DEP_1) | instskip(NEXT) | instid1(VALU_DEP_1)
	v_add_f32_e32 v3, 1.0, v3
	v_rcp_f32_e32 v3, v3
	v_nop
	s_delay_alu instid0(TRANS32_DEP_1)
	v_fma_f32 v3, v3, -2.0, 1.0
.LBB15_72:                              ;   in Loop: Header=BB15_3 Depth=1
	s_and_not1_saveexec_b32 s0, s0
	s_cbranch_execz .LBB15_74
; %bb.73:                               ;   in Loop: Header=BB15_3 Depth=1
	v_mul_f32_e32 v3, v26, v26
	s_delay_alu instid0(VALU_DEP_1) | instskip(NEXT) | instid1(VALU_DEP_1)
	v_fmaak_f32 v8, s33, v3, 0x3ca908c9
	v_fmaak_f32 v8, v3, v8, 0xbd5c1c4e
	s_delay_alu instid0(VALU_DEP_1) | instskip(NEXT) | instid1(VALU_DEP_1)
	v_fmaak_f32 v8, v3, v8, 0x3e088382
	v_fmaak_f32 v8, v3, v8, 0xbeaaaa99
	s_delay_alu instid0(VALU_DEP_1) | instskip(NEXT) | instid1(VALU_DEP_1)
	v_mul_f32_e64 v8, |v26|, v8
	v_fma_f32 v3, v3, v8, |v26|
.LBB15_74:                              ;   in Loop: Header=BB15_3 Depth=1
	s_or_b32 exec_lo, exec_lo, s0
	v_dual_lshlrev_b32 v8, 16, v35 :: v_dual_lshlrev_b32 v27, 16, v36
	v_dual_lshlrev_b32 v10, 16, v39 :: v_dual_lshlrev_b32 v35, 16, v40
	s_delay_alu instid0(VALU_DEP_1) | instskip(NEXT) | instid1(VALU_DEP_1)
	v_dual_add_f32 v8, v10, v8 :: v_dual_add_f32 v10, v35, v27
	v_add_f32_e32 v10, v10, v31
	s_delay_alu instid0(VALU_DEP_1) | instskip(NEXT) | instid1(VALU_DEP_1)
	v_add_f32_e32 v10, v28, v10
	v_mul_f32_e32 v28, 0xbfb8aa3b, v10
	s_delay_alu instid0(VALU_DEP_1) | instskip(NEXT) | instid1(VALU_DEP_1)
	v_fma_f32 v35, 0xbfb8aa3b, v10, -v28
	v_dual_add_f32 v8, v8, v43 :: v_dual_fmac_f32 v35, 0xb2a5705f, v10
	s_delay_alu instid0(VALU_DEP_1) | instskip(NEXT) | instid1(VALU_DEP_1)
	v_add_f32_e32 v8, v29, v8
	v_mul_f32_e32 v27, 0xbfb8aa3b, v8
	v_cmp_nlt_f32_e32 vcc_lo, 0x42ce8ed0, v8
	s_delay_alu instid0(VALU_DEP_2) | instskip(SKIP_1) | instid1(VALU_DEP_2)
	v_rndne_f32_e32 v31, v27
	v_fma_f32 v29, 0xbfb8aa3b, v8, -v27
	v_sub_f32_e32 v27, v27, v31
	v_rndne_f32_e32 v36, v28
	s_delay_alu instid0(VALU_DEP_1) | instskip(NEXT) | instid1(VALU_DEP_1)
	v_sub_f32_e32 v28, v28, v36
	v_dual_fmac_f32 v29, 0xb2a5705f, v8 :: v_dual_add_f32 v28, v28, v35
	s_delay_alu instid0(VALU_DEP_1) | instskip(SKIP_2) | instid1(VALU_DEP_4)
	v_add_f32_e32 v27, v27, v29
	v_cvt_i32_f32_e32 v29, v31
	v_cvt_i32_f32_e32 v31, v36
	v_exp_f32_e32 v28, v28
	s_delay_alu instid0(VALU_DEP_3) | instskip(NEXT) | instid1(TRANS32_DEP_2)
	v_exp_f32_e32 v27, v27
	v_ldexp_f32 v28, v28, v31
	s_delay_alu instid0(TRANS32_DEP_1) | instskip(NEXT) | instid1(VALU_DEP_1)
	v_ldexp_f32 v27, v27, v29
	v_cndmask_b32_e32 v27, 0, v27, vcc_lo
	v_cmp_nlt_f32_e32 vcc_lo, 0x42ce8ed0, v10
	s_delay_alu instid0(VALU_DEP_4) | instskip(SKIP_1) | instid1(VALU_DEP_4)
	v_cndmask_b32_e32 v28, 0, v28, vcc_lo
	v_cmp_ngt_f32_e32 vcc_lo, 0xc2b17218, v8
	v_cndmask_b32_e32 v29, 0x7f800000, v27, vcc_lo
	v_cmp_ngt_f32_e32 vcc_lo, 0xc2b17218, v10
	s_delay_alu instid0(VALU_DEP_4) | instskip(NEXT) | instid1(VALU_DEP_1)
	v_cndmask_b32_e32 v28, 0x7f800000, v28, vcc_lo
	v_pk_add_f32 v[28:29], v[28:29], 1.0 op_sel_hi:[1,0]
	s_delay_alu instid0(VALU_DEP_1) | instskip(NEXT) | instid1(VALU_DEP_2)
	v_div_scale_f32 v8, null, v29, v29, 1.0
	v_div_scale_f32 v10, null, v28, v28, 1.0
	v_div_scale_f32 v37, vcc_lo, 1.0, v29, 1.0
	s_delay_alu instid0(VALU_DEP_3) | instskip(NEXT) | instid1(VALU_DEP_2)
	v_rcp_f32_e32 v27, v8
	v_rcp_f32_e32 v31, v10
	s_delay_alu instid0(TRANS32_DEP_2) | instskip(NEXT) | instid1(TRANS32_DEP_1)
	v_fma_f32 v35, -v8, v27, 1.0
	v_fma_f32 v36, -v10, v31, 1.0
	s_delay_alu instid0(VALU_DEP_2) | instskip(NEXT) | instid1(VALU_DEP_2)
	v_fmac_f32_e32 v27, v35, v27
	v_fmac_f32_e32 v31, v36, v31
	v_div_scale_f32 v35, s0, 1.0, v28, 1.0
	s_delay_alu instid0(VALU_DEP_3) | instskip(NEXT) | instid1(VALU_DEP_1)
	v_mul_f32_e32 v36, v37, v27
	v_fma_f32 v40, -v8, v36, v37
	s_delay_alu instid0(VALU_DEP_1) | instskip(NEXT) | instid1(VALU_DEP_1)
	v_fmac_f32_e32 v36, v40, v27
	v_fma_f32 v8, -v8, v36, v37
	s_delay_alu instid0(VALU_DEP_1)
	v_div_fmas_f32 v8, v8, v27, v36
	v_bfi_b32 v27, 0x7fffffff, v3, v26
	s_wait_loadcnt 0x0
	v_dual_mul_f32 v39, v35, v31 :: v_dual_lshlrev_b32 v26, 16, v30
	s_mov_b32 vcc_lo, s0
	v_div_fixup_f32 v29, v8, v29, 1.0
                                        ; implicit-def: $vgpr3
	s_delay_alu instid0(VALU_DEP_2) | instskip(NEXT) | instid1(VALU_DEP_2)
	v_fma_f32 v41, -v10, v39, v35
	v_mul_f32_e32 v8, v29, v27
	s_delay_alu instid0(VALU_DEP_2) | instskip(NEXT) | instid1(VALU_DEP_1)
	v_fmac_f32_e32 v39, v41, v31
	v_fma_f32 v10, -v10, v39, v35
	s_delay_alu instid0(VALU_DEP_1) | instskip(NEXT) | instid1(VALU_DEP_1)
	v_div_fmas_f32 v10, v10, v31, v39
	v_div_fixup_f32 v28, v10, v28, 1.0
	s_delay_alu instid0(VALU_DEP_1) | instskip(NEXT) | instid1(VALU_DEP_1)
	v_pk_fma_f32 v[30:31], v[28:29], v[26:27], v[8:9] op_sel_hi:[1,1,0]
	v_cmp_ngt_f32_e64 s0, 0x3f200000, |v30|
	s_and_saveexec_b32 s2, s0
	s_delay_alu instid0(SALU_CYCLE_1)
	s_xor_b32 s0, exec_lo, s2
	s_cbranch_execz .LBB15_76
; %bb.75:                               ;   in Loop: Header=BB15_3 Depth=1
	v_add_f32_e64 v3, |v30|, |v30|
	s_delay_alu instid0(VALU_DEP_1) | instskip(SKIP_1) | instid1(VALU_DEP_2)
	v_mul_f32_e32 v8, 0x3fb8aa3b, v3
	v_cmp_ngt_f32_e32 vcc_lo, 0xc2ce8ed0, v3
	v_rndne_f32_e32 v10, v8
	v_fma_f32 v26, 0x3fb8aa3b, v3, -v8
	s_delay_alu instid0(VALU_DEP_2) | instskip(NEXT) | instid1(VALU_DEP_2)
	v_sub_f32_e32 v8, v8, v10
	v_fmac_f32_e32 v26, 0x32a5705f, v3
	v_cvt_i32_f32_e32 v10, v10
	s_delay_alu instid0(VALU_DEP_2) | instskip(NEXT) | instid1(VALU_DEP_1)
	v_add_f32_e32 v8, v8, v26
	v_exp_f32_e32 v8, v8
	v_nop
	s_delay_alu instid0(TRANS32_DEP_1) | instskip(NEXT) | instid1(VALU_DEP_1)
	v_ldexp_f32 v8, v8, v10
	v_cndmask_b32_e32 v8, 0, v8, vcc_lo
	v_cmp_nlt_f32_e32 vcc_lo, 0x42b17218, v3
	s_delay_alu instid0(VALU_DEP_2) | instskip(NEXT) | instid1(VALU_DEP_1)
	v_cndmask_b32_e32 v3, 0x7f800000, v8, vcc_lo
	v_add_f32_e32 v3, 1.0, v3
	s_delay_alu instid0(VALU_DEP_1) | instskip(SKIP_1) | instid1(TRANS32_DEP_1)
	v_rcp_f32_e32 v3, v3
	v_nop
	v_fma_f32 v3, v3, -2.0, 1.0
.LBB15_76:                              ;   in Loop: Header=BB15_3 Depth=1
	s_and_not1_saveexec_b32 s0, s0
	s_cbranch_execz .LBB15_2
; %bb.77:                               ;   in Loop: Header=BB15_3 Depth=1
	v_mul_f32_e32 v3, v30, v30
	s_delay_alu instid0(VALU_DEP_1) | instskip(NEXT) | instid1(VALU_DEP_1)
	v_fmaak_f32 v8, s33, v3, 0x3ca908c9
	v_fmaak_f32 v8, v3, v8, 0xbd5c1c4e
	s_delay_alu instid0(VALU_DEP_1) | instskip(NEXT) | instid1(VALU_DEP_1)
	v_fmaak_f32 v8, v3, v8, 0x3e088382
	v_fmaak_f32 v8, v3, v8, 0xbeaaaa99
	s_delay_alu instid0(VALU_DEP_1) | instskip(NEXT) | instid1(VALU_DEP_1)
	v_mul_f32_e64 v8, |v30|, v8
	v_fma_f32 v3, v3, v8, |v30|
	s_branch .LBB15_2
.LBB15_78:
	s_endpgm
	.section	.rodata,"a",@progbits
	.p2align	6, 0x0
	.amdhsa_kernel _ZN2at6native12_GLOBAL__N_16kernel17lstm_cell_forwardIN3c108BFloat16EflLi2EEEvNS_4cuda6detail10TensorInfoIT_T1_EESB_SB_SB_SB_SB_SB_SB_SA_SA_
		.amdhsa_group_segment_fixed_size 0
		.amdhsa_private_segment_fixed_size 0
		.amdhsa_kernarg_size 3600
		.amdhsa_user_sgpr_count 2
		.amdhsa_user_sgpr_dispatch_ptr 0
		.amdhsa_user_sgpr_queue_ptr 0
		.amdhsa_user_sgpr_kernarg_segment_ptr 1
		.amdhsa_user_sgpr_dispatch_id 0
		.amdhsa_user_sgpr_kernarg_preload_length 0
		.amdhsa_user_sgpr_kernarg_preload_offset 0
		.amdhsa_user_sgpr_private_segment_size 0
		.amdhsa_wavefront_size32 1
		.amdhsa_uses_dynamic_stack 0
		.amdhsa_enable_private_segment 0
		.amdhsa_system_sgpr_workgroup_id_x 1
		.amdhsa_system_sgpr_workgroup_id_y 0
		.amdhsa_system_sgpr_workgroup_id_z 0
		.amdhsa_system_sgpr_workgroup_info 0
		.amdhsa_system_vgpr_workitem_id 0
		.amdhsa_next_free_vgpr 52
		.amdhsa_next_free_sgpr 95
		.amdhsa_named_barrier_count 0
		.amdhsa_reserve_vcc 1
		.amdhsa_float_round_mode_32 0
		.amdhsa_float_round_mode_16_64 0
		.amdhsa_float_denorm_mode_32 3
		.amdhsa_float_denorm_mode_16_64 3
		.amdhsa_fp16_overflow 0
		.amdhsa_memory_ordered 1
		.amdhsa_forward_progress 1
		.amdhsa_inst_pref_size 119
		.amdhsa_round_robin_scheduling 0
		.amdhsa_exception_fp_ieee_invalid_op 0
		.amdhsa_exception_fp_denorm_src 0
		.amdhsa_exception_fp_ieee_div_zero 0
		.amdhsa_exception_fp_ieee_overflow 0
		.amdhsa_exception_fp_ieee_underflow 0
		.amdhsa_exception_fp_ieee_inexact 0
		.amdhsa_exception_int_div_zero 0
	.end_amdhsa_kernel
	.section	.text._ZN2at6native12_GLOBAL__N_16kernel17lstm_cell_forwardIN3c108BFloat16EflLi2EEEvNS_4cuda6detail10TensorInfoIT_T1_EESB_SB_SB_SB_SB_SB_SB_SA_SA_,"axG",@progbits,_ZN2at6native12_GLOBAL__N_16kernel17lstm_cell_forwardIN3c108BFloat16EflLi2EEEvNS_4cuda6detail10TensorInfoIT_T1_EESB_SB_SB_SB_SB_SB_SB_SA_SA_,comdat
.Lfunc_end15:
	.size	_ZN2at6native12_GLOBAL__N_16kernel17lstm_cell_forwardIN3c108BFloat16EflLi2EEEvNS_4cuda6detail10TensorInfoIT_T1_EESB_SB_SB_SB_SB_SB_SB_SA_SA_, .Lfunc_end15-_ZN2at6native12_GLOBAL__N_16kernel17lstm_cell_forwardIN3c108BFloat16EflLi2EEEvNS_4cuda6detail10TensorInfoIT_T1_EESB_SB_SB_SB_SB_SB_SB_SA_SA_
                                        ; -- End function
	.set _ZN2at6native12_GLOBAL__N_16kernel17lstm_cell_forwardIN3c108BFloat16EflLi2EEEvNS_4cuda6detail10TensorInfoIT_T1_EESB_SB_SB_SB_SB_SB_SB_SA_SA_.num_vgpr, 52
	.set _ZN2at6native12_GLOBAL__N_16kernel17lstm_cell_forwardIN3c108BFloat16EflLi2EEEvNS_4cuda6detail10TensorInfoIT_T1_EESB_SB_SB_SB_SB_SB_SB_SA_SA_.num_agpr, 0
	.set _ZN2at6native12_GLOBAL__N_16kernel17lstm_cell_forwardIN3c108BFloat16EflLi2EEEvNS_4cuda6detail10TensorInfoIT_T1_EESB_SB_SB_SB_SB_SB_SB_SA_SA_.numbered_sgpr, 95
	.set _ZN2at6native12_GLOBAL__N_16kernel17lstm_cell_forwardIN3c108BFloat16EflLi2EEEvNS_4cuda6detail10TensorInfoIT_T1_EESB_SB_SB_SB_SB_SB_SB_SA_SA_.num_named_barrier, 0
	.set _ZN2at6native12_GLOBAL__N_16kernel17lstm_cell_forwardIN3c108BFloat16EflLi2EEEvNS_4cuda6detail10TensorInfoIT_T1_EESB_SB_SB_SB_SB_SB_SB_SA_SA_.private_seg_size, 0
	.set _ZN2at6native12_GLOBAL__N_16kernel17lstm_cell_forwardIN3c108BFloat16EflLi2EEEvNS_4cuda6detail10TensorInfoIT_T1_EESB_SB_SB_SB_SB_SB_SB_SA_SA_.uses_vcc, 1
	.set _ZN2at6native12_GLOBAL__N_16kernel17lstm_cell_forwardIN3c108BFloat16EflLi2EEEvNS_4cuda6detail10TensorInfoIT_T1_EESB_SB_SB_SB_SB_SB_SB_SA_SA_.uses_flat_scratch, 0
	.set _ZN2at6native12_GLOBAL__N_16kernel17lstm_cell_forwardIN3c108BFloat16EflLi2EEEvNS_4cuda6detail10TensorInfoIT_T1_EESB_SB_SB_SB_SB_SB_SB_SA_SA_.has_dyn_sized_stack, 0
	.set _ZN2at6native12_GLOBAL__N_16kernel17lstm_cell_forwardIN3c108BFloat16EflLi2EEEvNS_4cuda6detail10TensorInfoIT_T1_EESB_SB_SB_SB_SB_SB_SB_SA_SA_.has_recursion, 0
	.set _ZN2at6native12_GLOBAL__N_16kernel17lstm_cell_forwardIN3c108BFloat16EflLi2EEEvNS_4cuda6detail10TensorInfoIT_T1_EESB_SB_SB_SB_SB_SB_SB_SA_SA_.has_indirect_call, 0
	.section	.AMDGPU.csdata,"",@progbits
; Kernel info:
; codeLenInByte = 15160
; TotalNumSgprs: 97
; NumVgprs: 52
; ScratchSize: 0
; MemoryBound: 0
; FloatMode: 240
; IeeeMode: 1
; LDSByteSize: 0 bytes/workgroup (compile time only)
; SGPRBlocks: 0
; VGPRBlocks: 3
; NumSGPRsForWavesPerEU: 97
; NumVGPRsForWavesPerEU: 52
; NamedBarCnt: 0
; Occupancy: 16
; WaveLimiterHint : 1
; COMPUTE_PGM_RSRC2:SCRATCH_EN: 0
; COMPUTE_PGM_RSRC2:USER_SGPR: 2
; COMPUTE_PGM_RSRC2:TRAP_HANDLER: 0
; COMPUTE_PGM_RSRC2:TGID_X_EN: 1
; COMPUTE_PGM_RSRC2:TGID_Y_EN: 0
; COMPUTE_PGM_RSRC2:TGID_Z_EN: 0
; COMPUTE_PGM_RSRC2:TIDIG_COMP_CNT: 0
	.section	.text._ZN2at6native12_GLOBAL__N_16kernel18lstm_cell_backwardIddiLi1EEEvNS_4cuda6detail10TensorInfoIT_T1_EES9_S9_S9_S9_S9_S9_S8_S8_,"axG",@progbits,_ZN2at6native12_GLOBAL__N_16kernel18lstm_cell_backwardIddiLi1EEEvNS_4cuda6detail10TensorInfoIT_T1_EES9_S9_S9_S9_S9_S9_S8_S8_,comdat
	.globl	_ZN2at6native12_GLOBAL__N_16kernel18lstm_cell_backwardIddiLi1EEEvNS_4cuda6detail10TensorInfoIT_T1_EES9_S9_S9_S9_S9_S9_S8_S8_ ; -- Begin function _ZN2at6native12_GLOBAL__N_16kernel18lstm_cell_backwardIddiLi1EEEvNS_4cuda6detail10TensorInfoIT_T1_EES9_S9_S9_S9_S9_S9_S8_S8_
	.p2align	8
	.type	_ZN2at6native12_GLOBAL__N_16kernel18lstm_cell_backwardIddiLi1EEEvNS_4cuda6detail10TensorInfoIT_T1_EES9_S9_S9_S9_S9_S9_S8_S8_,@function
_ZN2at6native12_GLOBAL__N_16kernel18lstm_cell_backwardIddiLi1EEEvNS_4cuda6detail10TensorInfoIT_T1_EES9_S9_S9_S9_S9_S9_S8_S8_: ; @_ZN2at6native12_GLOBAL__N_16kernel18lstm_cell_backwardIddiLi1EEEvNS_4cuda6detail10TensorInfoIT_T1_EES9_S9_S9_S9_S9_S9_S8_S8_
; %bb.0:
	s_clause 0x1
	s_load_b32 s4, s[0:1], 0x5fc
	s_load_b64 s[2:3], s[0:1], 0x5e8
	s_bfe_u32 s5, ttmp6, 0x4000c
	s_and_b32 s6, ttmp6, 15
	s_add_co_i32 s5, s5, 1
	s_getreg_b32 s7, hwreg(HW_REG_IB_STS2, 6, 4)
	s_mul_i32 s5, ttmp9, s5
	s_delay_alu instid0(SALU_CYCLE_1)
	s_add_co_i32 s6, s6, s5
	s_wait_kmcnt 0x0
	s_and_b32 s4, s4, 0xffff
	s_cmp_eq_u32 s7, 0
	s_cselect_b32 s5, ttmp9, s6
	s_mov_b32 s6, exec_lo
	v_mad_u32 v20, s5, s4, v0
	s_mov_b32 s5, 0
	s_delay_alu instid0(VALU_DEP_1)
	v_cmpx_gt_i32_e64 s3, v20
	s_cbranch_execz .LBB16_7
; %bb.1:
	s_clause 0x1
	s_load_b64 s[6:7], s[0:1], 0x360
	s_load_b64 s[8:9], s[0:1], 0x438
	s_add_nc_u64 s[16:17], s[0:1], 0x5f0
	s_clause 0x7
	s_load_b64 s[10:11], s[0:1], 0x1b0
	s_load_b32 s30, s[0:1], 0x21c
	s_load_b64 s[12:13], s[0:1], 0x288
	s_load_b32 s31, s[0:1], 0x2f4
	s_load_b32 s34, s[0:1], 0x3cc
	;; [unrolled: 1-line block ×3, first 2 shown]
	s_load_b64 s[14:15], s[0:1], 0x510
	s_load_b32 s33, s[0:1], 0x57c
	s_load_b32 s28, s[16:17], 0x0
	s_wait_xcnt 0x0
	s_clause 0x3
	s_load_b64 s[16:17], s[0:1], 0x0
	s_load_b32 s23, s[0:1], 0x6c
	s_load_b64 s[18:19], s[0:1], 0xd8
	s_load_b32 s24, s[0:1], 0x144
	v_mov_b64_e32 v[2:3], 0x3e928af3fca7ab0c
	v_mov_b32_e32 v1, 0
	s_mul_i32 s27, s2, 3
	s_wait_xcnt 0x0
	s_mov_b64 s[0:1], 0x3ff71547652b82fe
                                        ; implicit-def: $vgpr4_vgpr5
                                        ; implicit-def: $vgpr4_vgpr5
	;; [unrolled: 1-line block ×8, first 2 shown]
	s_wait_kmcnt 0x0
	v_mul_lo_u32 v21, v20, s30
	v_mul_lo_u32 v22, v20, s31
	s_cmp_lg_u64 s[6:7], 0
	v_mul_lo_u32 v24, v20, s34
	s_cselect_b32 s22, -1, 0
	s_cmp_lg_u64 s[8:9], 0
	s_mul_i32 s28, s28, s4
	s_cselect_b32 s25, -1, 0
	s_abs_i32 s26, s2
	v_mul_lo_u32 v23, v20, s33
	s_cvt_f32_u32 s20, s26
	v_mul_lo_u32 v25, v20, s35
	s_sub_co_i32 s36, 0, s26
	s_mul_i32 s30, s28, s30
	v_rcp_iflag_f32_e32 v0, s20
	s_mov_b64 s[20:21], 0xbfe62e42fefa3000
	s_mul_i32 s31, s28, s31
	s_mul_i32 s33, s28, s33
	;; [unrolled: 1-line block ×4, first 2 shown]
	v_nop
	v_readfirstlane_b32 s29, v0
	s_mul_f32 s4, s29, 0x4f7ffffe
	s_ashr_i32 s29, s2, 31
	s_delay_alu instid0(SALU_CYCLE_2) | instskip(NEXT) | instid1(SALU_CYCLE_3)
	s_cvt_u32_f32 s4, s4
	s_mul_i32 s36, s36, s4
	s_delay_alu instid0(SALU_CYCLE_1) | instskip(NEXT) | instid1(SALU_CYCLE_1)
	s_mul_hi_u32 s36, s4, s36
	s_add_co_i32 s4, s4, s36
	s_mov_b32 s36, s5
	s_branch .LBB16_3
.LBB16_2:                               ;   in Loop: Header=BB16_3 Depth=1
	s_wait_loadcnt 0x0
	v_mul_f64_e64 v[30:31], |v[18:19]|, s[0:1]
	v_cmp_nlt_f64_e64 vcc_lo, 0x40331000, |v[18:19]|
	v_mul_lo_u32 v0, v0, s24
	v_dual_add_nc_u32 v20, s28, v20 :: v_dual_add_nc_u32 v21, s30, v21
	s_wait_xcnt 0x0
	v_dual_add_nc_u32 v24, s34, v24 :: v_dual_add_nc_u32 v25, s35, v25
	v_add_nc_u32_e32 v22, s31, v22
	v_rndne_f64_e32 v[30:31], v[30:31]
	s_delay_alu instid0(VALU_DEP_1) | instskip(SKIP_2) | instid1(VALU_DEP_3)
	v_fma_f64 v[32:33], v[30:31], s[20:21], |v[18:19]|
	v_mul_f64_e32 v[34:35], 0xbd53de6af278e000, v[30:31]
	v_cvt_i32_f64_e32 v29, v[30:31]
	v_add_f64_e32 v[36:37], 0, v[32:33]
	s_delay_alu instid0(VALU_DEP_1) | instskip(SKIP_1) | instid1(VALU_DEP_2)
	v_add_f64_e32 v[38:39], v[36:37], v[34:35]
	v_add_f64_e64 v[32:33], v[32:33], -v[36:37]
	v_add_f64_e64 v[36:37], v[36:37], -v[38:39]
	s_delay_alu instid0(VALU_DEP_2) | instskip(NEXT) | instid1(VALU_DEP_2)
	v_add_f64_e32 v[32:33], 0, v[32:33]
	v_add_f64_e32 v[34:35], v[36:37], v[34:35]
	s_delay_alu instid0(VALU_DEP_1) | instskip(SKIP_1) | instid1(VALU_DEP_2)
	v_add_f64_e32 v[32:33], v[32:33], v[34:35]
	v_mul_f64_e32 v[34:35], 0xbac9cc01f97b57a0, v[30:31]
	v_add_f64_e32 v[36:37], v[38:39], v[32:33]
	s_delay_alu instid0(VALU_DEP_1) | instskip(SKIP_1) | instid1(VALU_DEP_2)
	v_add_f64_e32 v[40:41], v[36:37], v[34:35]
	v_add_f64_e64 v[38:39], v[38:39], -v[36:37]
	v_add_f64_e64 v[36:37], v[36:37], -v[40:41]
	s_delay_alu instid0(VALU_DEP_2) | instskip(NEXT) | instid1(VALU_DEP_2)
	v_add_f64_e32 v[32:33], v[32:33], v[38:39]
	v_add_f64_e32 v[34:35], v[36:37], v[34:35]
	s_delay_alu instid0(VALU_DEP_1) | instskip(NEXT) | instid1(VALU_DEP_1)
	v_add_f64_e32 v[32:33], v[32:33], v[34:35]
	v_add_f64_e32 v[34:35], v[40:41], v[32:33]
	s_delay_alu instid0(VALU_DEP_1) | instskip(SKIP_1) | instid1(VALU_DEP_2)
	v_add_f64_e64 v[36:37], v[40:41], -v[34:35]
	v_mul_f64_e32 v[38:39], v[34:35], v[34:35]
	v_add_f64_e32 v[32:33], v[32:33], v[36:37]
	s_delay_alu instid0(VALU_DEP_2) | instskip(NEXT) | instid1(VALU_DEP_2)
	v_fma_f64 v[36:37], v[34:35], v[34:35], -v[38:39]
	v_add_f64_e32 v[40:41], v[32:33], v[32:33]
	s_delay_alu instid0(VALU_DEP_1) | instskip(SKIP_1) | instid1(VALU_DEP_1)
	v_fmac_f64_e32 v[36:37], v[34:35], v[40:41]
	v_fmamk_f64 v[40:41], v[34:35], 0x3e5ade156a5dcb37, v[2:3]
	v_fmaak_f64 v[40:41], v[34:35], v[40:41], 0x3ec71dee623fde64
	s_delay_alu instid0(VALU_DEP_1) | instskip(NEXT) | instid1(VALU_DEP_1)
	v_fmaak_f64 v[40:41], v[34:35], v[40:41], 0x3efa01997c89e6b0
	v_fmaak_f64 v[40:41], v[34:35], v[40:41], 0x3f2a01a014761f6e
	s_delay_alu instid0(VALU_DEP_1) | instskip(SKIP_1) | instid1(VALU_DEP_2)
	v_fmaak_f64 v[40:41], v[34:35], v[40:41], 0x3f56c16c1852b7b0
	v_add_f64_e32 v[42:43], v[38:39], v[36:37]
	v_fmaak_f64 v[40:41], v[34:35], v[40:41], 0x3f81111111122322
	s_delay_alu instid0(VALU_DEP_1) | instskip(NEXT) | instid1(VALU_DEP_1)
	v_fmaak_f64 v[40:41], v[34:35], v[40:41], 0x3fa55555555502a1
	v_fmaak_f64 v[40:41], v[34:35], v[40:41], 0x3fc5555555555511
	s_delay_alu instid0(VALU_DEP_1) | instskip(SKIP_1) | instid1(VALU_DEP_2)
	v_fmaak_f64 v[40:41], v[34:35], v[40:41], 0x3fe000000000000b
	v_add_f64_e64 v[38:39], v[42:43], -v[38:39]
	v_mul_f64_e32 v[44:45], v[42:43], v[40:41]
	s_delay_alu instid0(VALU_DEP_2) | instskip(NEXT) | instid1(VALU_DEP_2)
	v_add_f64_e64 v[36:37], v[36:37], -v[38:39]
	v_fma_f64 v[38:39], v[42:43], v[40:41], -v[44:45]
	s_delay_alu instid0(VALU_DEP_1) | instskip(NEXT) | instid1(VALU_DEP_1)
	v_fmac_f64_e32 v[38:39], v[36:37], v[40:41]
	v_add_f64_e32 v[36:37], v[44:45], v[38:39]
	s_delay_alu instid0(VALU_DEP_1) | instskip(SKIP_1) | instid1(VALU_DEP_2)
	v_add_f64_e32 v[40:41], v[34:35], v[36:37]
	v_add_f64_e64 v[42:43], v[36:37], -v[44:45]
	v_add_f64_e64 v[34:35], v[40:41], -v[34:35]
	s_delay_alu instid0(VALU_DEP_2) | instskip(NEXT) | instid1(VALU_DEP_2)
	v_add_f64_e64 v[38:39], v[38:39], -v[42:43]
	v_add_f64_e64 v[34:35], v[36:37], -v[34:35]
	s_delay_alu instid0(VALU_DEP_2) | instskip(NEXT) | instid1(VALU_DEP_1)
	v_add_f64_e32 v[32:33], v[32:33], v[38:39]
	v_add_f64_e32 v[32:33], v[32:33], v[34:35]
	s_delay_alu instid0(VALU_DEP_1) | instskip(NEXT) | instid1(VALU_DEP_1)
	v_add_f64_e32 v[34:35], v[40:41], v[32:33]
	v_add_f64_e32 v[36:37], 1.0, v[34:35]
	v_add_f64_e64 v[38:39], v[34:35], -v[40:41]
	s_delay_alu instid0(VALU_DEP_2) | instskip(NEXT) | instid1(VALU_DEP_2)
	v_add_f64_e32 v[40:41], -1.0, v[36:37]
	v_add_f64_e64 v[32:33], v[32:33], -v[38:39]
	s_delay_alu instid0(VALU_DEP_2) | instskip(NEXT) | instid1(VALU_DEP_1)
	v_add_f64_e64 v[34:35], v[34:35], -v[40:41]
	v_add_f64_e32 v[32:33], v[32:33], v[34:35]
	s_delay_alu instid0(VALU_DEP_1) | instskip(NEXT) | instid1(VALU_DEP_1)
	v_add_f64_e32 v[30:31], v[36:37], v[32:33]
	v_ldexp_f64 v[34:35], v[30:31], v29
	v_add_f64_e64 v[30:31], v[30:31], -v[36:37]
	s_delay_alu instid0(VALU_DEP_2) | instskip(NEXT) | instid1(VALU_DEP_1)
	v_rcp_f64_e32 v[38:39], v[34:35]
	v_add_f64_e64 v[30:31], v[32:33], -v[30:31]
	s_delay_alu instid0(VALU_DEP_1) | instskip(NEXT) | instid1(TRANS32_DEP_1)
	v_ldexp_f64 v[30:31], v[30:31], v29
	v_fma_f64 v[40:41], -v[34:35], v[38:39], 1.0
	s_delay_alu instid0(VALU_DEP_1) | instskip(NEXT) | instid1(VALU_DEP_1)
	v_fmac_f64_e32 v[38:39], v[40:41], v[38:39]
	v_fma_f64 v[40:41], -v[34:35], v[38:39], 1.0
	s_delay_alu instid0(VALU_DEP_1) | instskip(NEXT) | instid1(VALU_DEP_1)
	v_fmac_f64_e32 v[38:39], v[40:41], v[38:39]
	v_mul_f64_e32 v[32:33], v[34:35], v[38:39]
	s_delay_alu instid0(VALU_DEP_1) | instskip(NEXT) | instid1(VALU_DEP_1)
	v_fma_f64 v[36:37], v[38:39], v[34:35], -v[32:33]
	v_fmac_f64_e32 v[36:37], v[38:39], v[30:31]
	s_delay_alu instid0(VALU_DEP_1) | instskip(NEXT) | instid1(VALU_DEP_1)
	v_add_f64_e32 v[40:41], v[32:33], v[36:37]
	v_add_f64_e64 v[42:43], -v[40:41], 1.0
	v_add_f64_e64 v[32:33], v[40:41], -v[32:33]
	s_delay_alu instid0(VALU_DEP_2) | instskip(NEXT) | instid1(VALU_DEP_2)
	v_add_f64_e64 v[44:45], -v[42:43], 1.0
	v_add_f64_e64 v[32:33], v[32:33], -v[36:37]
	s_delay_alu instid0(VALU_DEP_2) | instskip(NEXT) | instid1(VALU_DEP_1)
	v_add_f64_e64 v[36:37], v[44:45], -v[40:41]
	v_add_f64_e32 v[32:33], v[32:33], v[36:37]
	s_delay_alu instid0(VALU_DEP_1) | instskip(NEXT) | instid1(VALU_DEP_1)
	v_add_f64_e32 v[36:37], v[42:43], v[32:33]
	v_mul_f64_e32 v[40:41], v[38:39], v[36:37]
	v_add_f64_e64 v[42:43], v[42:43], -v[36:37]
	s_delay_alu instid0(VALU_DEP_2) | instskip(NEXT) | instid1(VALU_DEP_2)
	v_mul_f64_e32 v[44:45], v[34:35], v[40:41]
	v_add_f64_e32 v[32:33], v[32:33], v[42:43]
	s_delay_alu instid0(VALU_DEP_2) | instskip(NEXT) | instid1(VALU_DEP_1)
	v_fma_f64 v[46:47], v[40:41], v[34:35], -v[44:45]
	v_fmac_f64_e32 v[46:47], v[40:41], v[30:31]
	s_delay_alu instid0(VALU_DEP_1) | instskip(NEXT) | instid1(VALU_DEP_1)
	v_add_f64_e32 v[48:49], v[44:45], v[46:47]
	v_add_f64_e64 v[50:51], v[36:37], -v[48:49]
	v_add_f64_e64 v[42:43], v[48:49], -v[44:45]
	s_delay_alu instid0(VALU_DEP_2) | instskip(NEXT) | instid1(VALU_DEP_2)
	v_add_f64_e64 v[36:37], v[36:37], -v[50:51]
	v_add_f64_e64 v[42:43], v[42:43], -v[46:47]
	s_delay_alu instid0(VALU_DEP_2) | instskip(NEXT) | instid1(VALU_DEP_1)
	v_add_f64_e64 v[36:37], v[36:37], -v[48:49]
	v_add_f64_e32 v[32:33], v[32:33], v[36:37]
	v_add_f64_e32 v[36:37], v[38:39], v[40:41]
	s_delay_alu instid0(VALU_DEP_2) | instskip(NEXT) | instid1(VALU_DEP_2)
	v_add_f64_e32 v[32:33], v[42:43], v[32:33]
	v_add_f64_e64 v[42:43], v[36:37], -v[38:39]
	s_delay_alu instid0(VALU_DEP_2) | instskip(NEXT) | instid1(VALU_DEP_2)
	v_add_f64_e32 v[32:33], v[50:51], v[32:33]
	v_add_f64_e64 v[40:41], v[40:41], -v[42:43]
	s_delay_alu instid0(VALU_DEP_2) | instskip(NEXT) | instid1(VALU_DEP_1)
	v_mul_f64_e32 v[32:33], v[38:39], v[32:33]
	v_add_f64_e32 v[32:33], v[40:41], v[32:33]
	s_delay_alu instid0(VALU_DEP_1) | instskip(NEXT) | instid1(VALU_DEP_1)
	v_add_f64_e32 v[38:39], v[36:37], v[32:33]
	v_add_f64_e32 v[40:41], v[34:35], v[38:39]
	v_add_f64_e64 v[36:37], v[38:39], -v[36:37]
	v_add_f64_e64 v[44:45], v[34:35], -v[38:39]
	s_delay_alu instid0(VALU_DEP_3) | instskip(NEXT) | instid1(VALU_DEP_3)
	v_add_f64_e64 v[42:43], v[40:41], -v[34:35]
	v_add_f64_e64 v[32:33], v[32:33], -v[36:37]
	s_delay_alu instid0(VALU_DEP_3) | instskip(NEXT) | instid1(VALU_DEP_3)
	;; [unrolled: 3-line block ×3, first 2 shown]
	v_add_f64_e32 v[42:43], v[30:31], v[32:33]
	v_add_f64_e64 v[34:35], v[34:35], -v[38:39]
	s_delay_alu instid0(VALU_DEP_2) | instskip(NEXT) | instid1(VALU_DEP_2)
	v_add_f64_e32 v[36:37], v[42:43], v[36:37]
	v_add_f64_e32 v[30:31], v[30:31], v[34:35]
	s_delay_alu instid0(VALU_DEP_2) | instskip(NEXT) | instid1(VALU_DEP_2)
	v_add_f64_e32 v[42:43], v[40:41], v[36:37]
	v_add_f64_e64 v[30:31], v[30:31], -v[32:33]
	s_delay_alu instid0(VALU_DEP_2) | instskip(NEXT) | instid1(VALU_DEP_1)
	v_rcp_f64_e32 v[46:47], v[42:43]
	v_add_f64_e32 v[34:35], v[44:45], v[30:31]
	s_delay_alu instid0(TRANS32_DEP_1) | instskip(NEXT) | instid1(VALU_DEP_1)
	v_fma_f64 v[38:39], -v[42:43], v[46:47], 1.0
	v_fmac_f64_e32 v[46:47], v[38:39], v[46:47]
	v_add_f64_e64 v[38:39], v[42:43], -v[40:41]
	s_delay_alu instid0(VALU_DEP_2) | instskip(NEXT) | instid1(VALU_DEP_2)
	v_fma_f64 v[32:33], -v[42:43], v[46:47], 1.0
	v_add_f64_e64 v[36:37], v[36:37], -v[38:39]
	s_delay_alu instid0(VALU_DEP_2) | instskip(NEXT) | instid1(VALU_DEP_1)
	v_fmac_f64_e32 v[46:47], v[32:33], v[46:47]
	v_mul_f64_e32 v[32:33], v[34:35], v[46:47]
	s_delay_alu instid0(VALU_DEP_1) | instskip(NEXT) | instid1(VALU_DEP_1)
	v_mul_f64_e32 v[40:41], v[42:43], v[32:33]
	v_fma_f64 v[38:39], v[32:33], v[42:43], -v[40:41]
	s_delay_alu instid0(VALU_DEP_1) | instskip(NEXT) | instid1(VALU_DEP_1)
	v_fmac_f64_e32 v[38:39], v[32:33], v[36:37]
	v_add_f64_e32 v[36:37], v[40:41], v[38:39]
	s_delay_alu instid0(VALU_DEP_1) | instskip(SKIP_1) | instid1(VALU_DEP_2)
	v_add_f64_e64 v[42:43], v[34:35], -v[36:37]
	v_add_f64_e64 v[40:41], v[36:37], -v[40:41]
	;; [unrolled: 1-line block ×4, first 2 shown]
	s_delay_alu instid0(VALU_DEP_3) | instskip(NEXT) | instid1(VALU_DEP_3)
	v_add_f64_e64 v[38:39], v[38:39], -v[40:41]
	v_add_f64_e64 v[36:37], v[48:49], -v[36:37]
	s_delay_alu instid0(VALU_DEP_3) | instskip(NEXT) | instid1(VALU_DEP_2)
	v_add_f64_e64 v[30:31], v[30:31], -v[34:35]
	v_add_f64_e64 v[34:35], v[36:37], -v[38:39]
	v_add_f64_e64 v[36:37], -v[8:9], 1.0
	s_delay_alu instid0(VALU_DEP_2) | instskip(NEXT) | instid1(VALU_DEP_1)
	v_add_f64_e32 v[30:31], v[30:31], v[34:35]
	v_add_f64_e32 v[30:31], v[42:43], v[30:31]
	s_delay_alu instid0(VALU_DEP_1) | instskip(NEXT) | instid1(VALU_DEP_1)
	v_mul_f64_e32 v[30:31], v[46:47], v[30:31]
	v_add_f64_e32 v[30:31], v[32:33], v[30:31]
	s_delay_alu instid0(VALU_DEP_1) | instskip(NEXT) | instid1(VALU_DEP_2)
	v_cndmask_b32_e32 v29, 0x3ff00000, v31, vcc_lo
	v_cndmask_b32_e32 v30, 0, v30, vcc_lo
	v_cmp_gt_f64_e64 vcc_lo, 0x3e400000, |v[18:19]|
	v_and_b32_e32 v31, 0x7fffffff, v19
	s_delay_alu instid0(VALU_DEP_1) | instskip(SKIP_2) | instid1(VALU_DEP_3)
	v_dual_cndmask_b32 v29, v29, v31 :: v_dual_cndmask_b32 v18, v30, v18
	v_mul_f64_e32 v[30:31], v[8:9], v[16:17]
	v_cmp_le_i32_e32 vcc_lo, s3, v20
	v_bfi_b32 v19, 0x7fffffff, v29, v19
	s_or_b32 s36, vcc_lo, s36
	s_delay_alu instid0(VALU_DEP_1) | instskip(SKIP_1) | instid1(VALU_DEP_2)
	v_fma_f64 v[32:33], -v[18:19], v[18:19], 1.0
	v_mul_f64_e32 v[16:17], v[18:19], v[16:17]
	v_fmac_f64_e32 v[10:11], v[32:33], v[30:31]
	v_add_f64_e64 v[30:31], -v[6:7], 1.0
	v_add_f64_e64 v[32:33], -v[4:5], 1.0
	s_delay_alu instid0(VALU_DEP_4) | instskip(NEXT) | instid1(VALU_DEP_4)
	v_mul_f64_e32 v[16:17], v[36:37], v[16:17]
	v_mul_f64_e32 v[34:35], v[12:13], v[10:11]
	;; [unrolled: 1-line block ×3, first 2 shown]
	v_fma_f64 v[12:13], -v[12:13], v[12:13], 1.0
	s_delay_alu instid0(VALU_DEP_4) | instskip(SKIP_4) | instid1(VALU_DEP_3)
	v_mul_f64_e32 v[8:9], v[8:9], v[16:17]
	v_mul_lo_u32 v16, v26, s24
	v_mul_f64_e32 v[18:19], v[30:31], v[34:35]
	v_mul_f64_e32 v[14:15], v[32:33], v[14:15]
	;; [unrolled: 1-line block ×4, first 2 shown]
	s_delay_alu instid0(VALU_DEP_3) | instskip(NEXT) | instid1(VALU_DEP_3)
	v_mul_f64_e32 v[14:15], v[4:5], v[14:15]
	v_mul_f64_e32 v[12:13], v[12:13], v[30:31]
	;; [unrolled: 1-line block ×3, first 2 shown]
	v_mul_lo_u32 v10, v27, s24
	v_mul_lo_u32 v11, v28, s24
	s_clause 0x3
	global_store_b64 v10, v[6:7], s[18:19] scale_offset
	global_store_b64 v11, v[14:15], s[18:19] scale_offset
	;; [unrolled: 1-line block ×5, first 2 shown]
	s_wait_xcnt 0x0
	v_add_nc_u32_e32 v23, s33, v23
	s_and_not1_b32 exec_lo, exec_lo, s36
	s_cbranch_execz .LBB16_7
.LBB16_3:                               ; =>This Inner Loop Header: Depth=1
	v_sub_nc_u32_e32 v0, 0, v20
	s_delay_alu instid0(VALU_DEP_1) | instskip(NEXT) | instid1(VALU_DEP_1)
	v_max_i32_e32 v0, v20, v0
	v_mul_u64_e32 v[4:5], s[4:5], v[0:1]
	s_delay_alu instid0(VALU_DEP_1) | instskip(NEXT) | instid1(VALU_DEP_1)
	v_mul_lo_u32 v4, v5, s26
	v_dual_sub_nc_u32 v0, v0, v4 :: v_dual_add_nc_u32 v4, 1, v5
	s_delay_alu instid0(VALU_DEP_1) | instskip(NEXT) | instid1(VALU_DEP_2)
	v_cmp_le_u32_e32 vcc_lo, s26, v0
	v_cndmask_b32_e32 v4, v5, v4, vcc_lo
	v_subrev_nc_u32_e32 v6, s26, v0
	s_delay_alu instid0(VALU_DEP_1) | instskip(NEXT) | instid1(VALU_DEP_1)
	v_dual_cndmask_b32 v0, v0, v6 :: v_dual_ashrrev_i32 v5, 31, v20
	v_dual_add_nc_u32 v6, 1, v4 :: v_dual_bitop2_b32 v5, s29, v5 bitop3:0x14
	s_delay_alu instid0(VALU_DEP_2) | instskip(NEXT) | instid1(VALU_DEP_2)
	v_cmp_le_u32_e32 vcc_lo, s26, v0
	v_cndmask_b32_e32 v0, v4, v6, vcc_lo
	s_delay_alu instid0(VALU_DEP_3) | instskip(SKIP_1) | instid1(VALU_DEP_2)
	v_mul_i32_i24_e32 v4, 3, v5
	s_and_not1_b32 vcc_lo, exec_lo, s22
	v_xor_b32_e32 v0, v0, v5
	s_delay_alu instid0(VALU_DEP_1) | instskip(NEXT) | instid1(VALU_DEP_1)
	v_lshl_add_u32 v6, v0, 1, v0
	v_sub_nc_u32_e32 v4, v6, v4
	s_delay_alu instid0(VALU_DEP_1) | instskip(SKIP_2) | instid1(VALU_DEP_3)
	v_dual_add_nc_u32 v6, 2, v4 :: v_dual_sub_nc_u32 v0, v0, v5
	v_mul_lo_u32 v5, s2, v4
	v_add_nc_u32_e32 v4, 3, v4
	v_mad_u32 v27, s27, v0, v20
	s_delay_alu instid0(VALU_DEP_4) | instskip(NEXT) | instid1(VALU_DEP_3)
	v_mad_u32 v0, s2, v6, v20
	v_mad_u32 v26, s2, v4, v20
	v_add3_u32 v28, v5, s2, v20
	s_delay_alu instid0(VALU_DEP_4) | instskip(NEXT) | instid1(VALU_DEP_2)
	v_mul_lo_u32 v10, v27, s23
	v_mul_lo_u32 v11, v28, s23
	;; [unrolled: 1-line block ×4, first 2 shown]
	global_load_b64 v[14:15], v21, s[10:11] scale_offset
	s_clause 0x3
	global_load_b64 v[6:7], v10, s[16:17] scale_offset
	global_load_b64 v[4:5], v11, s[16:17] scale_offset
	;; [unrolled: 1-line block ×5, first 2 shown]
	s_wait_xcnt 0x3
	v_mov_b64_e32 v[10:11], 0
	s_wait_xcnt 0x1
	v_mov_b64_e32 v[16:17], 0
	s_cbranch_vccnz .LBB16_5
; %bb.4:                                ;   in Loop: Header=BB16_3 Depth=1
	global_load_b64 v[16:17], v24, s[6:7] scale_offset
.LBB16_5:                               ;   in Loop: Header=BB16_3 Depth=1
	s_and_not1_b32 vcc_lo, exec_lo, s25
	s_cbranch_vccnz .LBB16_2
; %bb.6:                                ;   in Loop: Header=BB16_3 Depth=1
	global_load_b64 v[10:11], v25, s[8:9] scale_offset
	s_branch .LBB16_2
.LBB16_7:
	s_endpgm
	.section	.rodata,"a",@progbits
	.p2align	6, 0x0
	.amdhsa_kernel _ZN2at6native12_GLOBAL__N_16kernel18lstm_cell_backwardIddiLi1EEEvNS_4cuda6detail10TensorInfoIT_T1_EES9_S9_S9_S9_S9_S9_S8_S8_
		.amdhsa_group_segment_fixed_size 0
		.amdhsa_private_segment_fixed_size 0
		.amdhsa_kernarg_size 1776
		.amdhsa_user_sgpr_count 2
		.amdhsa_user_sgpr_dispatch_ptr 0
		.amdhsa_user_sgpr_queue_ptr 0
		.amdhsa_user_sgpr_kernarg_segment_ptr 1
		.amdhsa_user_sgpr_dispatch_id 0
		.amdhsa_user_sgpr_kernarg_preload_length 0
		.amdhsa_user_sgpr_kernarg_preload_offset 0
		.amdhsa_user_sgpr_private_segment_size 0
		.amdhsa_wavefront_size32 1
		.amdhsa_uses_dynamic_stack 0
		.amdhsa_enable_private_segment 0
		.amdhsa_system_sgpr_workgroup_id_x 1
		.amdhsa_system_sgpr_workgroup_id_y 0
		.amdhsa_system_sgpr_workgroup_id_z 0
		.amdhsa_system_sgpr_workgroup_info 0
		.amdhsa_system_vgpr_workitem_id 0
		.amdhsa_next_free_vgpr 52
		.amdhsa_next_free_sgpr 37
		.amdhsa_named_barrier_count 0
		.amdhsa_reserve_vcc 1
		.amdhsa_float_round_mode_32 0
		.amdhsa_float_round_mode_16_64 0
		.amdhsa_float_denorm_mode_32 3
		.amdhsa_float_denorm_mode_16_64 3
		.amdhsa_fp16_overflow 0
		.amdhsa_memory_ordered 1
		.amdhsa_forward_progress 1
		.amdhsa_inst_pref_size 18
		.amdhsa_round_robin_scheduling 0
		.amdhsa_exception_fp_ieee_invalid_op 0
		.amdhsa_exception_fp_denorm_src 0
		.amdhsa_exception_fp_ieee_div_zero 0
		.amdhsa_exception_fp_ieee_overflow 0
		.amdhsa_exception_fp_ieee_underflow 0
		.amdhsa_exception_fp_ieee_inexact 0
		.amdhsa_exception_int_div_zero 0
	.end_amdhsa_kernel
	.section	.text._ZN2at6native12_GLOBAL__N_16kernel18lstm_cell_backwardIddiLi1EEEvNS_4cuda6detail10TensorInfoIT_T1_EES9_S9_S9_S9_S9_S9_S8_S8_,"axG",@progbits,_ZN2at6native12_GLOBAL__N_16kernel18lstm_cell_backwardIddiLi1EEEvNS_4cuda6detail10TensorInfoIT_T1_EES9_S9_S9_S9_S9_S9_S8_S8_,comdat
.Lfunc_end16:
	.size	_ZN2at6native12_GLOBAL__N_16kernel18lstm_cell_backwardIddiLi1EEEvNS_4cuda6detail10TensorInfoIT_T1_EES9_S9_S9_S9_S9_S9_S8_S8_, .Lfunc_end16-_ZN2at6native12_GLOBAL__N_16kernel18lstm_cell_backwardIddiLi1EEEvNS_4cuda6detail10TensorInfoIT_T1_EES9_S9_S9_S9_S9_S9_S8_S8_
                                        ; -- End function
	.set _ZN2at6native12_GLOBAL__N_16kernel18lstm_cell_backwardIddiLi1EEEvNS_4cuda6detail10TensorInfoIT_T1_EES9_S9_S9_S9_S9_S9_S8_S8_.num_vgpr, 52
	.set _ZN2at6native12_GLOBAL__N_16kernel18lstm_cell_backwardIddiLi1EEEvNS_4cuda6detail10TensorInfoIT_T1_EES9_S9_S9_S9_S9_S9_S8_S8_.num_agpr, 0
	.set _ZN2at6native12_GLOBAL__N_16kernel18lstm_cell_backwardIddiLi1EEEvNS_4cuda6detail10TensorInfoIT_T1_EES9_S9_S9_S9_S9_S9_S8_S8_.numbered_sgpr, 37
	.set _ZN2at6native12_GLOBAL__N_16kernel18lstm_cell_backwardIddiLi1EEEvNS_4cuda6detail10TensorInfoIT_T1_EES9_S9_S9_S9_S9_S9_S8_S8_.num_named_barrier, 0
	.set _ZN2at6native12_GLOBAL__N_16kernel18lstm_cell_backwardIddiLi1EEEvNS_4cuda6detail10TensorInfoIT_T1_EES9_S9_S9_S9_S9_S9_S8_S8_.private_seg_size, 0
	.set _ZN2at6native12_GLOBAL__N_16kernel18lstm_cell_backwardIddiLi1EEEvNS_4cuda6detail10TensorInfoIT_T1_EES9_S9_S9_S9_S9_S9_S8_S8_.uses_vcc, 1
	.set _ZN2at6native12_GLOBAL__N_16kernel18lstm_cell_backwardIddiLi1EEEvNS_4cuda6detail10TensorInfoIT_T1_EES9_S9_S9_S9_S9_S9_S8_S8_.uses_flat_scratch, 0
	.set _ZN2at6native12_GLOBAL__N_16kernel18lstm_cell_backwardIddiLi1EEEvNS_4cuda6detail10TensorInfoIT_T1_EES9_S9_S9_S9_S9_S9_S8_S8_.has_dyn_sized_stack, 0
	.set _ZN2at6native12_GLOBAL__N_16kernel18lstm_cell_backwardIddiLi1EEEvNS_4cuda6detail10TensorInfoIT_T1_EES9_S9_S9_S9_S9_S9_S8_S8_.has_recursion, 0
	.set _ZN2at6native12_GLOBAL__N_16kernel18lstm_cell_backwardIddiLi1EEEvNS_4cuda6detail10TensorInfoIT_T1_EES9_S9_S9_S9_S9_S9_S8_S8_.has_indirect_call, 0
	.section	.AMDGPU.csdata,"",@progbits
; Kernel info:
; codeLenInByte = 2252
; TotalNumSgprs: 39
; NumVgprs: 52
; ScratchSize: 0
; MemoryBound: 0
; FloatMode: 240
; IeeeMode: 1
; LDSByteSize: 0 bytes/workgroup (compile time only)
; SGPRBlocks: 0
; VGPRBlocks: 3
; NumSGPRsForWavesPerEU: 39
; NumVGPRsForWavesPerEU: 52
; NamedBarCnt: 0
; Occupancy: 16
; WaveLimiterHint : 1
; COMPUTE_PGM_RSRC2:SCRATCH_EN: 0
; COMPUTE_PGM_RSRC2:USER_SGPR: 2
; COMPUTE_PGM_RSRC2:TRAP_HANDLER: 0
; COMPUTE_PGM_RSRC2:TGID_X_EN: 1
; COMPUTE_PGM_RSRC2:TGID_Y_EN: 0
; COMPUTE_PGM_RSRC2:TGID_Z_EN: 0
; COMPUTE_PGM_RSRC2:TIDIG_COMP_CNT: 0
	.section	.text._ZN2at6native12_GLOBAL__N_16kernel18lstm_cell_backwardIddiLi2EEEvNS_4cuda6detail10TensorInfoIT_T1_EES9_S9_S9_S9_S9_S9_S8_S8_,"axG",@progbits,_ZN2at6native12_GLOBAL__N_16kernel18lstm_cell_backwardIddiLi2EEEvNS_4cuda6detail10TensorInfoIT_T1_EES9_S9_S9_S9_S9_S9_S8_S8_,comdat
	.globl	_ZN2at6native12_GLOBAL__N_16kernel18lstm_cell_backwardIddiLi2EEEvNS_4cuda6detail10TensorInfoIT_T1_EES9_S9_S9_S9_S9_S9_S8_S8_ ; -- Begin function _ZN2at6native12_GLOBAL__N_16kernel18lstm_cell_backwardIddiLi2EEEvNS_4cuda6detail10TensorInfoIT_T1_EES9_S9_S9_S9_S9_S9_S8_S8_
	.p2align	8
	.type	_ZN2at6native12_GLOBAL__N_16kernel18lstm_cell_backwardIddiLi2EEEvNS_4cuda6detail10TensorInfoIT_T1_EES9_S9_S9_S9_S9_S9_S8_S8_,@function
_ZN2at6native12_GLOBAL__N_16kernel18lstm_cell_backwardIddiLi2EEEvNS_4cuda6detail10TensorInfoIT_T1_EES9_S9_S9_S9_S9_S9_S8_S8_: ; @_ZN2at6native12_GLOBAL__N_16kernel18lstm_cell_backwardIddiLi2EEEvNS_4cuda6detail10TensorInfoIT_T1_EES9_S9_S9_S9_S9_S9_S8_S8_
; %bb.0:
	s_clause 0x1
	s_load_b32 s2, s[0:1], 0x5fc
	s_load_b64 s[4:5], s[0:1], 0x5e8
	s_bfe_u32 s3, ttmp6, 0x4000c
	s_and_b32 s6, ttmp6, 15
	s_add_co_i32 s3, s3, 1
	s_getreg_b32 s7, hwreg(HW_REG_IB_STS2, 6, 4)
	s_mul_i32 s8, ttmp9, s3
	s_delay_alu instid0(SALU_CYCLE_1)
	s_add_co_i32 s6, s6, s8
	s_wait_kmcnt 0x0
	s_and_b32 s3, s2, 0xffff
	s_cmp_eq_u32 s7, 0
	s_mov_b32 s7, 0
	s_cselect_b32 s2, ttmp9, s6
	s_delay_alu instid0(SALU_CYCLE_1) | instskip(SKIP_1) | instid1(VALU_DEP_1)
	v_mad_u32 v28, s2, s3, v0
	s_mov_b32 s2, exec_lo
	v_cmpx_gt_i32_e64 s5, v28
	s_cbranch_execz .LBB17_7
; %bb.1:
	s_clause 0x4
	s_load_b64 s[8:9], s[0:1], 0x360
	s_load_b64 s[10:11], s[0:1], 0x438
	s_load_b32 s33, s[0:1], 0xc
	s_load_b32 s2, s[0:1], 0x36c
	s_load_b64 s[12:13], s[0:1], 0x3cc
	s_add_nc_u64 s[20:21], s[0:1], 0x5f0
	s_clause 0x2
	s_load_b64 s[14:15], s[0:1], 0x0
	s_load_b64 s[16:17], s[0:1], 0x6c
	;; [unrolled: 1-line block ×3, first 2 shown]
	s_load_b32 s61, s[20:21], 0x0
	s_load_b32 s56, s[0:1], 0xe4
	s_wait_xcnt 0x0
	s_clause 0xa
	s_load_b64 s[20:21], s[0:1], 0x144
	s_load_b64 s[22:23], s[0:1], 0x1b0
	s_load_b32 s52, s[0:1], 0x1bc
	s_load_b64 s[24:25], s[0:1], 0x21c
	s_load_b64 s[26:27], s[0:1], 0x288
	s_load_b32 s53, s[0:1], 0x294
	s_load_b64 s[28:29], s[0:1], 0x2f4
	s_load_b32 s81, s[0:1], 0x444
	s_load_b64 s[30:31], s[0:1], 0x4a4
	s_load_b64 s[34:35], s[0:1], 0x510
	s_load_b32 s54, s[0:1], 0x51c
	v_mov_b32_e32 v3, 0
	s_mov_b32 s43, s7
	s_mov_b32 s47, s7
	;; [unrolled: 1-line block ×3, first 2 shown]
	s_mul_i32 s76, s4, 3
	s_mov_b32 s82, s7
                                        ; implicit-def: $vgpr4_vgpr5
                                        ; implicit-def: $vgpr4_vgpr5
	;; [unrolled: 1-line block ×8, first 2 shown]
	s_wait_kmcnt 0x0
	s_cmp_lg_u64 s[8:9], 0
	s_cselect_b32 s57, -1, 0
	s_cmp_lg_u64 s[10:11], 0
	s_cselect_b32 s58, -1, 0
	s_abs_i32 s59, s4
	s_abs_i32 s60, s33
	s_cvt_f32_u32 s6, s59
	s_cvt_f32_u32 s36, s60
	s_abs_i32 s62, s56
	s_mul_i32 s61, s61, s3
	v_rcp_iflag_f32_e32 v0, s6
	v_rcp_iflag_f32_e32 v1, s36
	s_load_b64 s[36:37], s[0:1], 0x57c
	s_wait_xcnt 0x0
	s_cvt_f32_u32 s0, s62
	s_abs_i32 s65, s52
	s_sub_co_i32 s6, 0, s60
	s_cvt_f32_u32 s38, s65
	v_readfirstlane_b32 s1, v0
	v_readfirstlane_b32 s3, v1
	v_rcp_iflag_f32_e32 v0, s0
	s_abs_i32 s67, s53
	s_abs_i32 s68, s54
	s_mul_f32 s0, s1, 0x4f7ffffe
	s_mul_f32 s1, s3, 0x4f7ffffe
	s_sub_co_i32 s3, 0, s59
	s_cvt_f32_u32 s41, s67
	s_cvt_u32_f32 s0, s0
	s_cvt_u32_f32 s1, s1
	v_nop
	v_readfirstlane_b32 s39, v0
	v_rcp_iflag_f32_e32 v0, s38
	s_mul_i32 s3, s3, s0
	s_mul_i32 s6, s6, s1
	s_mul_hi_u32 s3, s0, s3
	s_mul_hi_u32 s40, s1, s6
	s_add_co_i32 s6, s0, s3
	s_mul_f32 s0, s39, 0x4f7ffffe
	v_nop
	v_readfirstlane_b32 s3, v0
	s_add_co_i32 s38, s1, s40
	s_sub_co_i32 s1, 0, s62
	s_cvt_u32_f32 s0, s0
	v_rcp_iflag_f32_e32 v0, s41
	s_mul_f32 s3, s3, 0x4f7ffffe
	s_abs_i32 s70, s2
	s_mul_i32 s1, s1, s0
	s_abs_i32 s72, s81
	s_mul_hi_u32 s1, s0, s1
	s_sub_co_i32 s44, 0, s67
	s_add_co_i32 s40, s0, s1
	s_cvt_u32_f32 s0, s3
	s_cvt_f32_u32 s1, s68
	s_sub_co_i32 s3, 0, s65
	s_sub_co_i32 s45, 0, s68
	s_mul_i32 s3, s3, s0
	v_rcp_iflag_f32_e32 v1, s1
	v_nop
	v_readfirstlane_b32 s1, v0
	s_mul_hi_u32 s3, s0, s3
	s_sub_co_i32 s49, 0, s72
	s_add_co_i32 s42, s0, s3
	s_cvt_f32_u32 s3, s70
	s_mul_f32 s0, s1, 0x4f7ffffe
	v_readfirstlane_b32 s1, v1
	s_ashr_i32 s63, s4, 31
	v_rcp_iflag_f32_e32 v0, s3
	s_cvt_f32_u32 s3, s72
	s_cvt_u32_f32 s0, s0
	s_mul_f32 s1, s1, 0x4f7ffffe
	s_ashr_i32 s64, s33, 31
	v_rcp_iflag_f32_e32 v1, s3
	s_mul_i32 s44, s44, s0
	v_nop
	v_readfirstlane_b32 s3, v0
	s_cvt_u32_f32 s1, s1
	s_mul_hi_u32 s44, s0, s44
	s_mov_b32 s39, s7
	s_add_co_i32 s44, s0, s44
	v_readfirstlane_b32 s48, v1
	s_mul_i32 s0, s45, s1
	s_mul_f32 s3, s3, 0x4f7ffffe
	s_mul_hi_u32 s0, s1, s0
	v_mov_b64_e32 v[0:1], 0x3e928af3fca7ab0c
	s_add_co_i32 s46, s1, s0
	s_cvt_u32_f32 s0, s3
	s_mul_f32 s1, s48, 0x4f7ffffe
	s_sub_co_i32 s3, 0, s70
	s_ashr_i32 s66, s56, 31
	s_mul_i32 s3, s3, s0
	s_cvt_u32_f32 s1, s1
	s_mul_hi_u32 s3, s0, s3
	s_mov_b32 s41, s7
	s_add_co_i32 s48, s0, s3
	s_mul_i32 s0, s49, s1
	s_ashr_i32 s69, s52, 31
	s_mul_hi_u32 s0, s1, s0
	s_ashr_i32 s71, s53, 31
	s_mov_b32 s45, s7
	s_ashr_i32 s73, s54, 31
	s_ashr_i32 s74, s2, 31
	s_mov_b32 s49, s7
	s_ashr_i32 s75, s81, 31
	s_add_co_i32 s50, s1, s0
	s_sub_co_i32 s77, 0, s52
	s_sub_co_i32 s78, 0, s53
	;; [unrolled: 1-line block ×3, first 2 shown]
	s_mov_b64 s[52:53], 0x3ff71547652b82fe
	s_mov_b64 s[54:55], 0xbfe62e42fefa3000
	s_sub_co_i32 s80, 0, s2
	s_sub_co_i32 s81, 0, s81
	s_branch .LBB17_3
.LBB17_2:                               ;   in Loop: Header=BB17_3 Depth=1
	s_wait_loadcnt 0x0
	v_mul_f64_e64 v[38:39], |v[26:27]|, s[52:53]
	v_cmp_nlt_f64_e64 vcc_lo, 0x40331000, |v[26:27]|
	v_xor_b32_e32 v30, s73, v30
	s_delay_alu instid0(VALU_DEP_3) | instskip(NEXT) | instid1(VALU_DEP_1)
	v_rndne_f64_e32 v[38:39], v[38:39]
	v_fma_f64 v[40:41], v[38:39], s[54:55], |v[26:27]|
	v_mul_f64_e32 v[42:43], 0xbd53de6af278e000, v[38:39]
	s_delay_alu instid0(VALU_DEP_2) | instskip(NEXT) | instid1(VALU_DEP_1)
	v_add_f64_e32 v[44:45], 0, v[40:41]
	v_add_f64_e32 v[46:47], v[44:45], v[42:43]
	v_add_f64_e64 v[40:41], v[40:41], -v[44:45]
	s_delay_alu instid0(VALU_DEP_2) | instskip(NEXT) | instid1(VALU_DEP_2)
	v_add_f64_e64 v[44:45], v[44:45], -v[46:47]
	v_add_f64_e32 v[40:41], 0, v[40:41]
	s_delay_alu instid0(VALU_DEP_2) | instskip(NEXT) | instid1(VALU_DEP_1)
	v_add_f64_e32 v[42:43], v[44:45], v[42:43]
	v_add_f64_e32 v[40:41], v[40:41], v[42:43]
	v_mul_f64_e32 v[42:43], 0xbac9cc01f97b57a0, v[38:39]
	s_delay_alu instid0(VALU_DEP_2) | instskip(NEXT) | instid1(VALU_DEP_1)
	v_add_f64_e32 v[44:45], v[46:47], v[40:41]
	v_add_f64_e32 v[48:49], v[44:45], v[42:43]
	v_add_f64_e64 v[46:47], v[46:47], -v[44:45]
	s_delay_alu instid0(VALU_DEP_2) | instskip(NEXT) | instid1(VALU_DEP_2)
	v_add_f64_e64 v[44:45], v[44:45], -v[48:49]
	v_add_f64_e32 v[40:41], v[40:41], v[46:47]
	s_delay_alu instid0(VALU_DEP_2) | instskip(NEXT) | instid1(VALU_DEP_1)
	v_add_f64_e32 v[42:43], v[44:45], v[42:43]
	v_add_f64_e32 v[40:41], v[40:41], v[42:43]
	s_delay_alu instid0(VALU_DEP_1) | instskip(NEXT) | instid1(VALU_DEP_1)
	v_add_f64_e32 v[42:43], v[48:49], v[40:41]
	v_add_f64_e64 v[44:45], v[48:49], -v[42:43]
	v_mul_f64_e32 v[46:47], v[42:43], v[42:43]
	s_delay_alu instid0(VALU_DEP_2) | instskip(NEXT) | instid1(VALU_DEP_2)
	v_add_f64_e32 v[40:41], v[40:41], v[44:45]
	v_fma_f64 v[44:45], v[42:43], v[42:43], -v[46:47]
	s_delay_alu instid0(VALU_DEP_2) | instskip(NEXT) | instid1(VALU_DEP_1)
	v_add_f64_e32 v[48:49], v[40:41], v[40:41]
	v_fmac_f64_e32 v[44:45], v[42:43], v[48:49]
	v_fmamk_f64 v[48:49], v[42:43], 0x3e5ade156a5dcb37, v[0:1]
	s_delay_alu instid0(VALU_DEP_1) | instskip(NEXT) | instid1(VALU_DEP_1)
	v_fmaak_f64 v[48:49], v[42:43], v[48:49], 0x3ec71dee623fde64
	v_fmaak_f64 v[48:49], v[42:43], v[48:49], 0x3efa01997c89e6b0
	s_delay_alu instid0(VALU_DEP_1) | instskip(NEXT) | instid1(VALU_DEP_1)
	v_fmaak_f64 v[48:49], v[42:43], v[48:49], 0x3f2a01a014761f6e
	v_fmaak_f64 v[48:49], v[42:43], v[48:49], 0x3f56c16c1852b7b0
	v_add_f64_e32 v[50:51], v[46:47], v[44:45]
	s_delay_alu instid0(VALU_DEP_2) | instskip(NEXT) | instid1(VALU_DEP_1)
	v_fmaak_f64 v[48:49], v[42:43], v[48:49], 0x3f81111111122322
	v_fmaak_f64 v[48:49], v[42:43], v[48:49], 0x3fa55555555502a1
	s_delay_alu instid0(VALU_DEP_1) | instskip(NEXT) | instid1(VALU_DEP_1)
	v_fmaak_f64 v[48:49], v[42:43], v[48:49], 0x3fc5555555555511
	v_fmaak_f64 v[48:49], v[42:43], v[48:49], 0x3fe000000000000b
	v_add_f64_e64 v[46:47], v[50:51], -v[46:47]
	s_delay_alu instid0(VALU_DEP_2) | instskip(NEXT) | instid1(VALU_DEP_2)
	v_mul_f64_e32 v[52:53], v[50:51], v[48:49]
	v_add_f64_e64 v[44:45], v[44:45], -v[46:47]
	s_delay_alu instid0(VALU_DEP_2) | instskip(NEXT) | instid1(VALU_DEP_1)
	v_fma_f64 v[46:47], v[50:51], v[48:49], -v[52:53]
	v_fmac_f64_e32 v[46:47], v[44:45], v[48:49]
	s_delay_alu instid0(VALU_DEP_1) | instskip(NEXT) | instid1(VALU_DEP_1)
	v_add_f64_e32 v[44:45], v[52:53], v[46:47]
	v_add_f64_e32 v[48:49], v[42:43], v[44:45]
	v_add_f64_e64 v[50:51], v[44:45], -v[52:53]
	s_delay_alu instid0(VALU_DEP_2) | instskip(NEXT) | instid1(VALU_DEP_2)
	v_add_f64_e64 v[42:43], v[48:49], -v[42:43]
	v_add_f64_e64 v[46:47], v[46:47], -v[50:51]
	v_cvt_i32_f64_e32 v50, v[38:39]
	s_delay_alu instid0(VALU_DEP_3) | instskip(NEXT) | instid1(VALU_DEP_3)
	v_add_f64_e64 v[42:43], v[44:45], -v[42:43]
	v_add_f64_e32 v[40:41], v[40:41], v[46:47]
	s_delay_alu instid0(VALU_DEP_1) | instskip(NEXT) | instid1(VALU_DEP_1)
	v_add_f64_e32 v[40:41], v[40:41], v[42:43]
	v_add_f64_e32 v[42:43], v[48:49], v[40:41]
	s_delay_alu instid0(VALU_DEP_1) | instskip(SKIP_1) | instid1(VALU_DEP_2)
	v_add_f64_e32 v[44:45], 1.0, v[42:43]
	v_add_f64_e64 v[46:47], v[42:43], -v[48:49]
	v_add_f64_e32 v[48:49], -1.0, v[44:45]
	s_delay_alu instid0(VALU_DEP_2) | instskip(NEXT) | instid1(VALU_DEP_2)
	v_add_f64_e64 v[40:41], v[40:41], -v[46:47]
	v_add_f64_e64 v[42:43], v[42:43], -v[48:49]
	s_delay_alu instid0(VALU_DEP_1) | instskip(NEXT) | instid1(VALU_DEP_1)
	v_add_f64_e32 v[40:41], v[40:41], v[42:43]
	v_add_f64_e32 v[38:39], v[44:45], v[40:41]
	s_delay_alu instid0(VALU_DEP_1) | instskip(SKIP_1) | instid1(VALU_DEP_2)
	v_ldexp_f64 v[42:43], v[38:39], v50
	v_add_f64_e64 v[38:39], v[38:39], -v[44:45]
	v_rcp_f64_e32 v[46:47], v[42:43]
	s_delay_alu instid0(VALU_DEP_1) | instskip(NEXT) | instid1(VALU_DEP_1)
	v_add_f64_e64 v[38:39], v[40:41], -v[38:39]
	v_ldexp_f64 v[38:39], v[38:39], v50
	s_delay_alu instid0(TRANS32_DEP_1) | instskip(NEXT) | instid1(VALU_DEP_1)
	v_fma_f64 v[48:49], -v[42:43], v[46:47], 1.0
	v_fmac_f64_e32 v[46:47], v[48:49], v[46:47]
	s_delay_alu instid0(VALU_DEP_1) | instskip(NEXT) | instid1(VALU_DEP_1)
	v_fma_f64 v[48:49], -v[42:43], v[46:47], 1.0
	v_fmac_f64_e32 v[46:47], v[48:49], v[46:47]
	s_delay_alu instid0(VALU_DEP_1) | instskip(NEXT) | instid1(VALU_DEP_1)
	v_mul_f64_e32 v[40:41], v[42:43], v[46:47]
	v_fma_f64 v[44:45], v[46:47], v[42:43], -v[40:41]
	s_delay_alu instid0(VALU_DEP_1) | instskip(NEXT) | instid1(VALU_DEP_1)
	v_fmac_f64_e32 v[44:45], v[46:47], v[38:39]
	v_add_f64_e32 v[48:49], v[40:41], v[44:45]
	s_delay_alu instid0(VALU_DEP_1) | instskip(SKIP_1) | instid1(VALU_DEP_2)
	v_add_f64_e64 v[50:51], -v[48:49], 1.0
	v_add_f64_e64 v[40:41], v[48:49], -v[40:41]
	v_add_f64_e64 v[52:53], -v[50:51], 1.0
	s_delay_alu instid0(VALU_DEP_2) | instskip(NEXT) | instid1(VALU_DEP_2)
	v_add_f64_e64 v[40:41], v[40:41], -v[44:45]
	v_add_f64_e64 v[44:45], v[52:53], -v[48:49]
	s_delay_alu instid0(VALU_DEP_1) | instskip(NEXT) | instid1(VALU_DEP_1)
	v_add_f64_e32 v[40:41], v[40:41], v[44:45]
	v_add_f64_e32 v[44:45], v[50:51], v[40:41]
	s_delay_alu instid0(VALU_DEP_1) | instskip(SKIP_1) | instid1(VALU_DEP_2)
	v_mul_f64_e32 v[48:49], v[46:47], v[44:45]
	v_add_f64_e64 v[50:51], v[50:51], -v[44:45]
	v_mul_f64_e32 v[52:53], v[42:43], v[48:49]
	s_delay_alu instid0(VALU_DEP_2) | instskip(NEXT) | instid1(VALU_DEP_2)
	v_add_f64_e32 v[40:41], v[40:41], v[50:51]
	v_fma_f64 v[54:55], v[48:49], v[42:43], -v[52:53]
	s_delay_alu instid0(VALU_DEP_1) | instskip(NEXT) | instid1(VALU_DEP_1)
	v_fmac_f64_e32 v[54:55], v[48:49], v[38:39]
	v_add_f64_e32 v[56:57], v[52:53], v[54:55]
	s_delay_alu instid0(VALU_DEP_1) | instskip(SKIP_1) | instid1(VALU_DEP_2)
	v_add_f64_e64 v[58:59], v[44:45], -v[56:57]
	v_add_f64_e64 v[50:51], v[56:57], -v[52:53]
	;; [unrolled: 1-line block ×3, first 2 shown]
	s_delay_alu instid0(VALU_DEP_2) | instskip(NEXT) | instid1(VALU_DEP_2)
	v_add_f64_e64 v[50:51], v[50:51], -v[54:55]
	v_add_f64_e64 v[44:45], v[44:45], -v[56:57]
	s_delay_alu instid0(VALU_DEP_1) | instskip(SKIP_1) | instid1(VALU_DEP_2)
	v_add_f64_e32 v[40:41], v[40:41], v[44:45]
	v_add_f64_e32 v[44:45], v[46:47], v[48:49]
	;; [unrolled: 1-line block ×3, first 2 shown]
	s_delay_alu instid0(VALU_DEP_2) | instskip(NEXT) | instid1(VALU_DEP_2)
	v_add_f64_e64 v[50:51], v[44:45], -v[46:47]
	v_add_f64_e32 v[40:41], v[58:59], v[40:41]
	s_delay_alu instid0(VALU_DEP_2) | instskip(NEXT) | instid1(VALU_DEP_2)
	v_add_f64_e64 v[48:49], v[48:49], -v[50:51]
	v_mul_f64_e32 v[40:41], v[46:47], v[40:41]
	s_delay_alu instid0(VALU_DEP_1) | instskip(NEXT) | instid1(VALU_DEP_1)
	v_add_f64_e32 v[40:41], v[48:49], v[40:41]
	v_add_f64_e32 v[46:47], v[44:45], v[40:41]
	s_delay_alu instid0(VALU_DEP_1) | instskip(SKIP_2) | instid1(VALU_DEP_3)
	v_add_f64_e32 v[48:49], v[42:43], v[46:47]
	v_add_f64_e64 v[44:45], v[46:47], -v[44:45]
	v_add_f64_e64 v[52:53], v[42:43], -v[46:47]
	v_add_f64_e64 v[50:51], v[48:49], -v[42:43]
	s_delay_alu instid0(VALU_DEP_3) | instskip(NEXT) | instid1(VALU_DEP_3)
	v_add_f64_e64 v[40:41], v[40:41], -v[44:45]
	v_add_f64_e64 v[42:43], v[42:43], -v[52:53]
	s_delay_alu instid0(VALU_DEP_3) | instskip(NEXT) | instid1(VALU_DEP_3)
	v_add_f64_e64 v[44:45], v[46:47], -v[50:51]
	v_add_f64_e32 v[50:51], v[38:39], v[40:41]
	s_delay_alu instid0(VALU_DEP_3) | instskip(NEXT) | instid1(VALU_DEP_2)
	v_add_f64_e64 v[42:43], v[42:43], -v[46:47]
	v_add_f64_e32 v[44:45], v[50:51], v[44:45]
	s_delay_alu instid0(VALU_DEP_2) | instskip(NEXT) | instid1(VALU_DEP_2)
	v_add_f64_e32 v[38:39], v[38:39], v[42:43]
	v_add_f64_e32 v[50:51], v[48:49], v[44:45]
	s_delay_alu instid0(VALU_DEP_2) | instskip(NEXT) | instid1(VALU_DEP_2)
	v_add_f64_e64 v[38:39], v[38:39], -v[40:41]
	v_rcp_f64_e32 v[54:55], v[50:51]
	s_delay_alu instid0(VALU_DEP_1) | instskip(NEXT) | instid1(TRANS32_DEP_1)
	v_add_f64_e32 v[42:43], v[52:53], v[38:39]
	v_fma_f64 v[46:47], -v[50:51], v[54:55], 1.0
	s_delay_alu instid0(VALU_DEP_1) | instskip(SKIP_1) | instid1(VALU_DEP_2)
	v_fmac_f64_e32 v[54:55], v[46:47], v[54:55]
	v_add_f64_e64 v[46:47], v[50:51], -v[48:49]
	v_fma_f64 v[40:41], -v[50:51], v[54:55], 1.0
	s_delay_alu instid0(VALU_DEP_2) | instskip(NEXT) | instid1(VALU_DEP_2)
	v_add_f64_e64 v[44:45], v[44:45], -v[46:47]
	v_fmac_f64_e32 v[54:55], v[40:41], v[54:55]
	s_delay_alu instid0(VALU_DEP_1) | instskip(NEXT) | instid1(VALU_DEP_1)
	v_mul_f64_e32 v[40:41], v[42:43], v[54:55]
	v_mul_f64_e32 v[48:49], v[50:51], v[40:41]
	s_delay_alu instid0(VALU_DEP_1) | instskip(NEXT) | instid1(VALU_DEP_1)
	v_fma_f64 v[46:47], v[40:41], v[50:51], -v[48:49]
	v_fmac_f64_e32 v[46:47], v[40:41], v[44:45]
	s_delay_alu instid0(VALU_DEP_1) | instskip(NEXT) | instid1(VALU_DEP_1)
	v_add_f64_e32 v[44:45], v[48:49], v[46:47]
	v_add_f64_e64 v[50:51], v[42:43], -v[44:45]
	v_add_f64_e64 v[48:49], v[44:45], -v[48:49]
	s_delay_alu instid0(VALU_DEP_2) | instskip(SKIP_1) | instid1(VALU_DEP_3)
	v_add_f64_e64 v[56:57], v[42:43], -v[50:51]
	v_add_f64_e64 v[42:43], v[42:43], -v[52:53]
	;; [unrolled: 1-line block ×3, first 2 shown]
	v_mul_u64_e32 v[48:49], s[40:41], v[8:9]
	s_delay_alu instid0(VALU_DEP_4) | instskip(NEXT) | instid1(VALU_DEP_2)
	v_add_f64_e64 v[44:45], v[56:57], -v[44:45]
	v_dual_add_f64 v[38:39], v[38:39], -v[42:43] :: v_dual_add_nc_u32 v56, 1, v49
	s_delay_alu instid0(VALU_DEP_2) | instskip(SKIP_3) | instid1(VALU_DEP_1)
	v_add_f64_e64 v[42:43], v[44:45], -v[46:47]
	v_mul_u64_e32 v[44:45], s[40:41], v[10:11]
	v_mul_u64_e32 v[46:47], s[40:41], v[6:7]
	v_mul_lo_u32 v11, v49, s62
	v_dual_sub_nc_u32 v58, v8, v11 :: v_dual_bitop2_b32 v44, s66, v37 bitop3:0x14
	s_delay_alu instid0(VALU_DEP_1)
	v_cmp_le_u32_e64 s2, s62, v58
	v_add_f64_e32 v[38:39], v[38:39], v[42:43]
	v_mul_u64_e32 v[42:43], s[40:41], v[4:5]
	v_mul_lo_u32 v7, v45, s62
	v_mul_lo_u32 v9, v47, s62
	v_xor_b32_e32 v42, s66, v36
	v_add_f64_e64 v[36:37], -v[12:13], 1.0
	s_delay_alu instid0(VALU_DEP_4) | instskip(NEXT) | instid1(VALU_DEP_1)
	v_dual_add_nc_u32 v53, 1, v45 :: v_dual_sub_nc_u32 v52, v10, v7
	v_cmp_le_u32_e64 s0, s62, v52
	v_add_f64_e32 v[38:39], v[50:51], v[38:39]
	v_mul_u64_e32 v[50:51], s[46:47], v[2:3]
	v_mul_lo_u32 v5, v43, s62
	s_delay_alu instid0(VALU_DEP_1)
	v_dual_add_nc_u32 v50, 1, v43 :: v_dual_sub_nc_u32 v48, v4, v5
	v_add_f64_e64 v[4:5], -v[16:17], 1.0
	v_mul_f64_e32 v[38:39], v[54:55], v[38:39]
	v_sub_nc_u32_e32 v55, v6, v9
	v_mul_lo_u32 v46, v51, s68
	v_add_nc_u32_e32 v54, 1, v47
	v_add_nc_u32_e32 v57, 1, v51
	s_delay_alu instid0(VALU_DEP_4) | instskip(NEXT) | instid1(VALU_DEP_4)
	v_cmp_le_u32_e64 s1, s62, v55
	v_sub_nc_u32_e32 v2, v2, v46
	s_delay_alu instid0(VALU_DEP_1) | instskip(SKIP_2) | instid1(VALU_DEP_2)
	v_cmp_le_u32_e64 s3, s68, v2
	v_add_f64_e32 v[38:39], v[40:41], v[38:39]
	v_and_b32_e32 v40, 0x7fffffff, v27
	v_cndmask_b32_e32 v39, 0x3ff00000, v39, vcc_lo
	s_delay_alu instid0(VALU_DEP_3) | instskip(SKIP_1) | instid1(VALU_DEP_1)
	v_cndmask_b32_e32 v38, 0, v38, vcc_lo
	v_cmp_gt_f64_e64 vcc_lo, 0x3e400000, |v[26:27]|
	v_dual_cndmask_b32 v26, v38, v26, vcc_lo :: v_dual_cndmask_b32 v38, v39, v40, vcc_lo
	v_cmp_le_u32_e32 vcc_lo, s62, v48
	s_delay_alu instid0(VALU_DEP_2) | instskip(SKIP_1) | instid1(VALU_DEP_2)
	v_bfi_b32 v27, 0x7fffffff, v38, v27
	v_mul_f64_e32 v[38:39], v[16:17], v[24:25]
	v_fma_f64 v[40:41], -v[26:27], v[26:27], 1.0
	v_mul_f64_e32 v[6:7], v[26:27], v[24:25]
	v_subrev_nc_u32_e32 v25, s62, v55
	s_wait_xcnt 0x0
	v_cndmask_b32_e64 v24, v47, v54, s1
	v_subrev_nc_u32_e32 v27, s62, v58
	s_delay_alu instid0(VALU_DEP_3) | instskip(NEXT) | instid1(VALU_DEP_1)
	v_dual_cndmask_b32 v26, v49, v56, s2 :: v_dual_cndmask_b32 v25, v55, v25, s1
	v_dual_cndmask_b32 v27, v58, v27, s2 :: v_dual_add_nc_u32 v49, 1, v26
	v_fmac_f64_e32 v[18:19], v[40:41], v[38:39]
	v_xor_b32_e32 v40, s66, v34
	v_xor_b32_e32 v41, s66, v35
	v_add_f64_e64 v[34:35], -v[14:15], 1.0
	v_fma_f64 v[38:39], -v[22:23], v[22:23], 1.0
	v_mul_f64_e32 v[4:5], v[4:5], v[6:7]
	v_mul_f64_e32 v[8:9], v[22:23], v[18:19]
	;; [unrolled: 1-line block ×3, first 2 shown]
	v_subrev_nc_u32_e32 v21, s62, v48
	v_cndmask_b32_e32 v20, v43, v50, vcc_lo
	v_subrev_nc_u32_e32 v23, s62, v52
	v_cndmask_b32_e64 v22, v45, v53, s0
	v_subrev_nc_u32_e32 v45, s68, v2
	s_delay_alu instid0(VALU_DEP_4) | instskip(NEXT) | instid1(VALU_DEP_3)
	v_dual_cndmask_b32 v21, v48, v21 :: v_dual_add_nc_u32 v46, 1, v20
	v_dual_cndmask_b32 v23, v52, v23, s0 :: v_dual_add_nc_u32 v47, 1, v22
	v_add_nc_u32_e32 v48, 1, v24
	s_delay_alu instid0(VALU_DEP_3)
	v_cmp_le_u32_e32 vcc_lo, s62, v21
	v_cndmask_b32_e64 v43, v51, v57, s3
	v_cndmask_b32_e64 v2, v2, v45, s3
	v_mul_f64_e32 v[4:5], v[16:17], v[4:5]
	v_cndmask_b32_e32 v20, v20, v46, vcc_lo
	v_cmp_le_u32_e32 vcc_lo, s62, v23
	s_delay_alu instid0(VALU_DEP_2) | instskip(SKIP_1) | instid1(VALU_DEP_2)
	v_dual_cndmask_b32 v21, v22, v47, vcc_lo :: v_dual_bitop2_b32 v20, v20, v40 bitop3:0x14
	v_cmp_le_u32_e32 vcc_lo, s62, v25
	v_dual_sub_nc_u32 v20, v20, v40 :: v_dual_bitop2_b32 v21, v21, v41 bitop3:0x14
	v_cndmask_b32_e32 v22, v24, v48, vcc_lo
	v_cmp_le_u32_e32 vcc_lo, s62, v27
	v_dual_mul_f64 v[6:7], v[34:35], v[8:9] :: v_dual_add_nc_u32 v24, 1, v43
	v_mul_f64_e32 v[8:9], v[36:37], v[10:11]
	v_mul_f64_e32 v[10:11], v[14:15], v[18:19]
	v_cndmask_b32_e32 v23, v26, v49, vcc_lo
	v_xor_b32_e32 v22, v22, v42
	v_cmp_le_u32_e32 vcc_lo, s68, v2
	s_delay_alu instid0(VALU_DEP_3) | instskip(NEXT) | instid1(VALU_DEP_3)
	v_dual_sub_nc_u32 v21, v21, v41 :: v_dual_bitop2_b32 v23, v23, v44 bitop3:0x14
	v_dual_sub_nc_u32 v22, v22, v42 :: v_dual_cndmask_b32 v2, v43, v24, vcc_lo
	v_mul_lo_u32 v24, v20, s56
	s_delay_alu instid0(VALU_DEP_3) | instskip(NEXT) | instid1(VALU_DEP_4)
	v_mul_lo_u32 v25, v21, s56
	v_sub_nc_u32_e32 v23, v23, v44
	s_delay_alu instid0(VALU_DEP_4) | instskip(SKIP_1) | instid1(VALU_DEP_3)
	v_mul_lo_u32 v26, v22, s56
	v_xor_b32_e32 v2, v2, v30
	v_mul_lo_u32 v27, v23, s56
	s_delay_alu instid0(VALU_DEP_2) | instskip(NEXT) | instid1(VALU_DEP_4)
	v_dual_sub_nc_u32 v2, v2, v30 :: v_dual_sub_nc_u32 v24, v29, v24
	v_dual_sub_nc_u32 v25, v31, v25 :: v_dual_sub_nc_u32 v26, v32, v26
	s_delay_alu instid0(VALU_DEP_2) | instskip(NEXT) | instid1(VALU_DEP_2)
	v_mad_u32 v30, s79, v2, v28
	v_dual_sub_nc_u32 v27, v33, v27 :: v_dual_add_nc_u32 v16, v28, v26
	v_mul_f64_e32 v[6:7], v[14:15], v[6:7]
	v_mul_f64_e32 v[8:9], v[12:13], v[8:9]
	;; [unrolled: 1-line block ×4, first 2 shown]
	v_dual_add_nc_u32 v14, v28, v24 :: v_dual_add_nc_u32 v15, v28, v25
	v_add_nc_u32_e32 v17, v28, v27
	v_mul_lo_u32 v16, v16, s21
	s_wait_kmcnt 0x0
	v_mul_lo_u32 v18, v30, s37
	v_mul_lo_u32 v14, v14, s21
	;; [unrolled: 1-line block ×4, first 2 shown]
	v_add_nc_u32_e32 v28, s61, v28
	s_delay_alu instid0(VALU_DEP_1)
	v_cmp_le_i32_e32 vcc_lo, s5, v28
	v_mad_u32 v16, v22, s20, v16
	v_mad_u32 v2, v2, s36, v18
	;; [unrolled: 1-line block ×5, first 2 shown]
	s_or_b32 s82, vcc_lo, s82
	s_clause 0x3
	global_store_b64 v14, v[6:7], s[18:19] scale_offset
	global_store_b64 v15, v[8:9], s[18:19] scale_offset
	;; [unrolled: 1-line block ×5, first 2 shown]
	s_wait_xcnt 0x0
	s_and_not1_b32 exec_lo, exec_lo, s82
	s_cbranch_execz .LBB17_7
.LBB17_3:                               ; =>This Inner Loop Header: Depth=1
	v_dual_sub_nc_u32 v2, 0, v28 :: v_dual_ashrrev_i32 v30, 31, v28
	s_delay_alu instid0(VALU_DEP_1) | instskip(NEXT) | instid1(VALU_DEP_1)
	v_dual_mov_b32 v11, v3 :: v_dual_max_i32 v2, v28, v2
	v_mul_u64_e32 v[4:5], s[6:7], v[2:3]
	v_mul_u64_e32 v[12:13], s[42:43], v[2:3]
	v_mul_u64_e32 v[14:15], s[44:45], v[2:3]
	s_delay_alu instid0(VALU_DEP_3) | instskip(SKIP_1) | instid1(VALU_DEP_4)
	v_mul_lo_u32 v4, v5, s59
	v_add_nc_u32_e32 v6, 1, v5
	v_mul_lo_u32 v12, v13, s65
	s_delay_alu instid0(VALU_DEP_4) | instskip(NEXT) | instid1(VALU_DEP_4)
	v_mul_lo_u32 v14, v15, s67
	v_sub_nc_u32_e32 v4, v2, v4
	s_delay_alu instid0(VALU_DEP_2) | instskip(NEXT) | instid1(VALU_DEP_2)
	v_dual_sub_nc_u32 v12, v2, v12 :: v_dual_sub_nc_u32 v14, v2, v14
	v_cmp_le_u32_e32 vcc_lo, s59, v4
	v_cndmask_b32_e32 v5, v5, v6, vcc_lo
	v_subrev_nc_u32_e32 v7, s59, v4
	s_delay_alu instid0(VALU_DEP_1) | instskip(SKIP_1) | instid1(VALU_DEP_2)
	v_dual_add_nc_u32 v6, 1, v5 :: v_dual_cndmask_b32 v4, v4, v7, vcc_lo
	v_xor_b32_e32 v7, s63, v30
	v_cmp_le_u32_e32 vcc_lo, s59, v4
	s_delay_alu instid0(VALU_DEP_3) | instskip(NEXT) | instid1(VALU_DEP_3)
	v_cndmask_b32_e32 v4, v5, v6, vcc_lo
	v_mul_i32_i24_e32 v6, 3, v7
	v_cmp_le_u32_e32 vcc_lo, s65, v12
	s_delay_alu instid0(VALU_DEP_3) | instskip(NEXT) | instid1(VALU_DEP_1)
	v_xor_b32_e32 v4, v4, v7
	v_sub_nc_u32_e32 v5, v4, v7
	v_lshl_add_u32 v4, v4, 1, v4
	s_delay_alu instid0(VALU_DEP_1) | instskip(NEXT) | instid1(VALU_DEP_3)
	v_sub_nc_u32_e32 v4, v4, v6
	v_mul_lo_u32 v29, s76, v5
	s_delay_alu instid0(VALU_DEP_2) | instskip(SKIP_1) | instid1(VALU_DEP_1)
	v_mad_u32 v31, s4, v4, s4
	v_dual_add_nc_u32 v5, 2, v4 :: v_dual_add_nc_u32 v4, 3, v4
	v_mul_lo_u32 v32, s4, v5
	s_delay_alu instid0(VALU_DEP_4) | instskip(NEXT) | instid1(VALU_DEP_3)
	v_dual_mov_b32 v5, v3 :: v_dual_add_nc_u32 v6, v28, v29
	v_mul_lo_u32 v33, s4, v4
	s_delay_alu instid0(VALU_DEP_2) | instskip(NEXT) | instid1(VALU_DEP_1)
	v_dual_add_nc_u32 v4, v28, v31 :: v_dual_ashrrev_i32 v34, 31, v6
	v_add3_u32 v6, v34, v29, v28
	v_add_nc_u32_e32 v7, v28, v32
	s_delay_alu instid0(VALU_DEP_3) | instskip(NEXT) | instid1(VALU_DEP_2)
	v_dual_ashrrev_i32 v35, 31, v4 :: v_dual_add_nc_u32 v8, v28, v33
	v_dual_ashrrev_i32 v36, 31, v7 :: v_dual_bitop2_b32 v4, v6, v34 bitop3:0x14
	s_delay_alu instid0(VALU_DEP_2) | instskip(NEXT) | instid1(VALU_DEP_3)
	v_add3_u32 v6, v35, v31, v28
	v_dual_ashrrev_i32 v37, 31, v8 :: v_dual_mov_b32 v7, v3
	s_delay_alu instid0(VALU_DEP_3) | instskip(SKIP_1) | instid1(VALU_DEP_4)
	v_mul_u64_e32 v[16:17], s[38:39], v[4:5]
	v_xor_b32_e32 v16, s69, v30
	v_xor_b32_e32 v10, v6, v35
	v_add3_u32 v6, v36, v32, v28
	v_add3_u32 v8, v37, v33, v28
	v_mov_b32_e32 v9, v3
	s_delay_alu instid0(VALU_DEP_4) | instskip(NEXT) | instid1(VALU_DEP_4)
	v_mul_u64_e32 v[18:19], s[38:39], v[10:11]
	v_xor_b32_e32 v6, v6, v36
	s_delay_alu instid0(VALU_DEP_4) | instskip(SKIP_1) | instid1(VALU_DEP_3)
	v_xor_b32_e32 v8, v8, v37
	v_dual_add_nc_u32 v18, 1, v13 :: v_dual_bitop2_b32 v26, s64, v36 bitop3:0x14
	v_mul_u64_e32 v[20:21], s[38:39], v[6:7]
	s_delay_alu instid0(VALU_DEP_3)
	v_mul_u64_e32 v[22:23], s[38:39], v[8:9]
	v_subrev_nc_u32_e32 v22, s65, v12
	v_add_nc_u32_e32 v20, 1, v15
	v_cmp_le_u32_e64 s0, s67, v14
	v_cndmask_b32_e32 v13, v13, v18, vcc_lo
	v_subrev_nc_u32_e32 v18, s67, v14
	s_delay_alu instid0(VALU_DEP_3) | instskip(NEXT) | instid1(VALU_DEP_3)
	v_dual_cndmask_b32 v12, v12, v22, vcc_lo :: v_dual_cndmask_b32 v15, v15, v20, s0
	v_dual_add_nc_u32 v20, 1, v13 :: v_dual_bitop2_b32 v24, s71, v30 bitop3:0x14
	s_delay_alu instid0(VALU_DEP_2) | instskip(NEXT) | instid1(VALU_DEP_3)
	v_cmp_le_u32_e32 vcc_lo, s65, v12
	v_dual_cndmask_b32 v14, v14, v18, s0 :: v_dual_add_nc_u32 v18, 1, v15
	s_delay_alu instid0(VALU_DEP_3) | instskip(SKIP_4) | instid1(VALU_DEP_3)
	v_dual_cndmask_b32 v12, v13, v20, vcc_lo :: v_dual_bitop2_b32 v13, s64, v34 bitop3:0x14
	v_add_nc_u32_e32 v38, 1, v17
	v_mul_lo_u32 v22, v17, s60
	v_xor_b32_e32 v20, s64, v35
	v_mul_lo_u32 v25, v19, s60
	v_dual_add_nc_u32 v39, 1, v19 :: v_dual_sub_nc_u32 v22, v4, v22
	v_mul_lo_u32 v40, v21, s60
	v_mul_lo_u32 v41, v23, s60
	v_add_nc_u32_e32 v43, 1, v23
	s_delay_alu instid0(VALU_DEP_4) | instskip(SKIP_3) | instid1(VALU_DEP_4)
	v_subrev_nc_u32_e32 v42, s60, v22
	v_cmp_le_u32_e32 vcc_lo, s60, v22
	v_sub_nc_u32_e32 v25, v10, v25
	v_dual_cndmask_b32 v17, v17, v38, vcc_lo :: v_dual_bitop2_b32 v27, s64, v37 bitop3:0x14
	v_dual_add_nc_u32 v38, 1, v21 :: v_dual_cndmask_b32 v22, v22, v42, vcc_lo
	s_delay_alu instid0(VALU_DEP_3) | instskip(SKIP_1) | instid1(VALU_DEP_4)
	v_cmp_le_u32_e32 vcc_lo, s60, v25
	v_dual_sub_nc_u32 v40, v6, v40 :: v_dual_sub_nc_u32 v41, v8, v41
	v_add_nc_u32_e32 v42, 1, v17
	s_delay_alu instid0(VALU_DEP_4) | instskip(SKIP_2) | instid1(VALU_DEP_3)
	v_cmp_le_u32_e64 s0, s60, v22
	v_cndmask_b32_e32 v19, v19, v39, vcc_lo
	v_subrev_nc_u32_e32 v39, s60, v25
	v_cndmask_b32_e64 v17, v17, v42, s0
	v_cmp_le_u32_e64 s0, s60, v41
	s_delay_alu instid0(VALU_DEP_3)
	v_cndmask_b32_e32 v22, v25, v39, vcc_lo
	v_cmp_le_u32_e32 vcc_lo, s60, v40
	v_subrev_nc_u32_e32 v25, s60, v40
	v_add_nc_u32_e32 v39, 1, v19
	v_dual_cndmask_b32 v23, v23, v43, s0 :: v_dual_cndmask_b32 v21, v21, v38, vcc_lo
	v_subrev_nc_u32_e32 v38, s60, v41
	s_delay_alu instid0(VALU_DEP_4) | instskip(SKIP_1) | instid1(VALU_DEP_3)
	v_cndmask_b32_e32 v25, v40, v25, vcc_lo
	v_cmp_le_u32_e32 vcc_lo, s60, v22
	v_dual_add_nc_u32 v40, 1, v21 :: v_dual_cndmask_b32 v38, v41, v38, s0
	v_cndmask_b32_e32 v19, v19, v39, vcc_lo
	s_delay_alu instid0(VALU_DEP_4) | instskip(NEXT) | instid1(VALU_DEP_3)
	v_cmp_le_u32_e32 vcc_lo, s60, v25
	v_dual_add_nc_u32 v41, 1, v23 :: v_dual_cndmask_b32 v21, v21, v40, vcc_lo
	s_delay_alu instid0(VALU_DEP_4) | instskip(NEXT) | instid1(VALU_DEP_2)
	v_cmp_le_u32_e32 vcc_lo, s60, v38
	v_cndmask_b32_e32 v22, v23, v41, vcc_lo
	v_cmp_le_u32_e32 vcc_lo, s67, v14
	v_dual_cndmask_b32 v14, v15, v18, vcc_lo :: v_dual_bitop2_b32 v15, v17, v13 bitop3:0x14
	v_xor_b32_e32 v17, v19, v20
	v_xor_b32_e32 v18, v21, v26
	;; [unrolled: 1-line block ×3, first 2 shown]
	s_delay_alu instid0(VALU_DEP_4) | instskip(NEXT) | instid1(VALU_DEP_3)
	v_dual_sub_nc_u32 v13, v15, v13 :: v_dual_bitop2_b32 v12, v12, v16 bitop3:0x14
	v_dual_sub_nc_u32 v15, v17, v20 :: v_dual_sub_nc_u32 v17, v18, v26
	s_delay_alu instid0(VALU_DEP_3) | instskip(SKIP_1) | instid1(VALU_DEP_3)
	v_sub_nc_u32_e32 v18, v19, v27
	s_and_not1_b32 vcc_lo, exec_lo, s57
	v_mul_lo_u32 v19, v13, s33
	s_delay_alu instid0(VALU_DEP_3) | instskip(SKIP_4) | instid1(VALU_DEP_2)
	v_mul_lo_u32 v20, v15, s33
	v_mul_lo_u32 v21, v17, s33
	;; [unrolled: 1-line block ×3, first 2 shown]
	v_xor_b32_e32 v14, v14, v24
	v_dual_sub_nc_u32 v12, v12, v16 :: v_dual_sub_nc_u32 v19, v29, v19
	v_dual_sub_nc_u32 v14, v14, v24 :: v_dual_sub_nc_u32 v21, v32, v21
	s_delay_alu instid0(VALU_DEP_4) | instskip(NEXT) | instid1(VALU_DEP_3)
	v_sub_nc_u32_e32 v22, v33, v22
	v_mad_u32 v16, s77, v12, v28
	s_delay_alu instid0(VALU_DEP_4) | instskip(NEXT) | instid1(VALU_DEP_4)
	v_dual_sub_nc_u32 v20, v31, v20 :: v_dual_add_nc_u32 v19, v28, v19
	v_mad_u32 v23, s78, v14, v28
	s_delay_alu instid0(VALU_DEP_4) | instskip(NEXT) | instid1(VALU_DEP_3)
	v_dual_add_nc_u32 v21, v28, v21 :: v_dual_add_nc_u32 v22, v28, v22
	v_add_nc_u32_e32 v20, v28, v20
	s_delay_alu instid0(VALU_DEP_4) | instskip(SKIP_1) | instid1(VALU_DEP_4)
	v_mul_lo_u32 v19, v19, s17
	v_mov_b64_e32 v[24:25], 0
	v_mul_lo_u32 v21, v21, s17
	v_mul_lo_u32 v22, v22, s17
	;; [unrolled: 1-line block ×5, first 2 shown]
	v_mad_u32 v13, v13, s16, v19
	v_mad_u32 v17, v17, s16, v21
	;; [unrolled: 1-line block ×6, first 2 shown]
	global_load_b64 v[20:21], v12, s[22:23] scale_offset
	s_clause 0x3
	global_load_b64 v[14:15], v13, s[14:15] scale_offset
	global_load_b64 v[12:13], v16, s[14:15] scale_offset
	global_load_b64 v[22:23], v17, s[14:15] scale_offset
	global_load_b64 v[16:17], v18, s[14:15] scale_offset
	global_load_b64 v[26:27], v19, s[26:27] scale_offset
	s_wait_xcnt 0x0
	v_mov_b64_e32 v[18:19], 0
	s_cbranch_vccnz .LBB17_5
; %bb.4:                                ;   in Loop: Header=BB17_3 Depth=1
	v_mul_u64_e32 v[24:25], s[48:49], v[2:3]
	s_delay_alu instid0(VALU_DEP_1) | instskip(NEXT) | instid1(VALU_DEP_1)
	v_mul_lo_u32 v24, v25, s70
	v_dual_add_nc_u32 v38, 1, v25 :: v_dual_sub_nc_u32 v24, v2, v24
	s_delay_alu instid0(VALU_DEP_1) | instskip(SKIP_1) | instid1(VALU_DEP_2)
	v_subrev_nc_u32_e32 v39, s70, v24
	v_cmp_le_u32_e32 vcc_lo, s70, v24
	v_dual_cndmask_b32 v25, v25, v38 :: v_dual_cndmask_b32 v24, v24, v39
	s_delay_alu instid0(VALU_DEP_1) | instskip(NEXT) | instid1(VALU_DEP_2)
	v_dual_add_nc_u32 v38, 1, v25 :: v_dual_bitop2_b32 v39, s74, v30 bitop3:0x14
	v_cmp_le_u32_e32 vcc_lo, s70, v24
	s_delay_alu instid0(VALU_DEP_2) | instskip(NEXT) | instid1(VALU_DEP_1)
	v_cndmask_b32_e32 v24, v25, v38, vcc_lo
	v_xor_b32_e32 v24, v24, v39
	s_delay_alu instid0(VALU_DEP_1) | instskip(NEXT) | instid1(VALU_DEP_1)
	v_sub_nc_u32_e32 v24, v24, v39
	v_mad_u32 v25, s80, v24, v28
	s_delay_alu instid0(VALU_DEP_1) | instskip(NEXT) | instid1(VALU_DEP_1)
	v_mul_lo_u32 v25, v25, s13
	v_mad_u32 v24, v24, s12, v25
	global_load_b64 v[24:25], v24, s[8:9] scale_offset
.LBB17_5:                               ;   in Loop: Header=BB17_3 Depth=1
	s_and_not1_b32 vcc_lo, exec_lo, s58
	s_cbranch_vccnz .LBB17_2
; %bb.6:                                ;   in Loop: Header=BB17_3 Depth=1
	v_mul_u64_e32 v[18:19], s[50:51], v[2:3]
	s_delay_alu instid0(VALU_DEP_1) | instskip(NEXT) | instid1(VALU_DEP_1)
	v_mul_lo_u32 v18, v19, s72
	v_dual_add_nc_u32 v38, 1, v19 :: v_dual_sub_nc_u32 v18, v2, v18
	s_delay_alu instid0(VALU_DEP_1) | instskip(SKIP_1) | instid1(VALU_DEP_2)
	v_subrev_nc_u32_e32 v39, s72, v18
	v_cmp_le_u32_e32 vcc_lo, s72, v18
	v_dual_cndmask_b32 v19, v19, v38 :: v_dual_cndmask_b32 v18, v18, v39
	s_delay_alu instid0(VALU_DEP_1) | instskip(NEXT) | instid1(VALU_DEP_2)
	v_dual_add_nc_u32 v38, 1, v19 :: v_dual_bitop2_b32 v39, s75, v30 bitop3:0x14
	v_cmp_le_u32_e32 vcc_lo, s72, v18
	s_delay_alu instid0(VALU_DEP_2) | instskip(NEXT) | instid1(VALU_DEP_1)
	v_cndmask_b32_e32 v18, v19, v38, vcc_lo
	v_xor_b32_e32 v18, v18, v39
	s_delay_alu instid0(VALU_DEP_1) | instskip(NEXT) | instid1(VALU_DEP_1)
	v_sub_nc_u32_e32 v18, v18, v39
	v_mad_u32 v19, s81, v18, v28
	s_delay_alu instid0(VALU_DEP_1) | instskip(NEXT) | instid1(VALU_DEP_1)
	v_mul_lo_u32 v19, v19, s31
	v_mad_u32 v18, v18, s30, v19
	global_load_b64 v[18:19], v18, s[10:11] scale_offset
	s_branch .LBB17_2
.LBB17_7:
	s_endpgm
	.section	.rodata,"a",@progbits
	.p2align	6, 0x0
	.amdhsa_kernel _ZN2at6native12_GLOBAL__N_16kernel18lstm_cell_backwardIddiLi2EEEvNS_4cuda6detail10TensorInfoIT_T1_EES9_S9_S9_S9_S9_S9_S8_S8_
		.amdhsa_group_segment_fixed_size 0
		.amdhsa_private_segment_fixed_size 0
		.amdhsa_kernarg_size 1776
		.amdhsa_user_sgpr_count 2
		.amdhsa_user_sgpr_dispatch_ptr 0
		.amdhsa_user_sgpr_queue_ptr 0
		.amdhsa_user_sgpr_kernarg_segment_ptr 1
		.amdhsa_user_sgpr_dispatch_id 0
		.amdhsa_user_sgpr_kernarg_preload_length 0
		.amdhsa_user_sgpr_kernarg_preload_offset 0
		.amdhsa_user_sgpr_private_segment_size 0
		.amdhsa_wavefront_size32 1
		.amdhsa_uses_dynamic_stack 0
		.amdhsa_enable_private_segment 0
		.amdhsa_system_sgpr_workgroup_id_x 1
		.amdhsa_system_sgpr_workgroup_id_y 0
		.amdhsa_system_sgpr_workgroup_id_z 0
		.amdhsa_system_sgpr_workgroup_info 0
		.amdhsa_system_vgpr_workitem_id 0
		.amdhsa_next_free_vgpr 60
		.amdhsa_next_free_sgpr 83
		.amdhsa_named_barrier_count 0
		.amdhsa_reserve_vcc 1
		.amdhsa_float_round_mode_32 0
		.amdhsa_float_round_mode_16_64 0
		.amdhsa_float_denorm_mode_32 3
		.amdhsa_float_denorm_mode_16_64 3
		.amdhsa_fp16_overflow 0
		.amdhsa_memory_ordered 1
		.amdhsa_forward_progress 1
		.amdhsa_inst_pref_size 33
		.amdhsa_round_robin_scheduling 0
		.amdhsa_exception_fp_ieee_invalid_op 0
		.amdhsa_exception_fp_denorm_src 0
		.amdhsa_exception_fp_ieee_div_zero 0
		.amdhsa_exception_fp_ieee_overflow 0
		.amdhsa_exception_fp_ieee_underflow 0
		.amdhsa_exception_fp_ieee_inexact 0
		.amdhsa_exception_int_div_zero 0
	.end_amdhsa_kernel
	.section	.text._ZN2at6native12_GLOBAL__N_16kernel18lstm_cell_backwardIddiLi2EEEvNS_4cuda6detail10TensorInfoIT_T1_EES9_S9_S9_S9_S9_S9_S8_S8_,"axG",@progbits,_ZN2at6native12_GLOBAL__N_16kernel18lstm_cell_backwardIddiLi2EEEvNS_4cuda6detail10TensorInfoIT_T1_EES9_S9_S9_S9_S9_S9_S8_S8_,comdat
.Lfunc_end17:
	.size	_ZN2at6native12_GLOBAL__N_16kernel18lstm_cell_backwardIddiLi2EEEvNS_4cuda6detail10TensorInfoIT_T1_EES9_S9_S9_S9_S9_S9_S8_S8_, .Lfunc_end17-_ZN2at6native12_GLOBAL__N_16kernel18lstm_cell_backwardIddiLi2EEEvNS_4cuda6detail10TensorInfoIT_T1_EES9_S9_S9_S9_S9_S9_S8_S8_
                                        ; -- End function
	.set _ZN2at6native12_GLOBAL__N_16kernel18lstm_cell_backwardIddiLi2EEEvNS_4cuda6detail10TensorInfoIT_T1_EES9_S9_S9_S9_S9_S9_S8_S8_.num_vgpr, 60
	.set _ZN2at6native12_GLOBAL__N_16kernel18lstm_cell_backwardIddiLi2EEEvNS_4cuda6detail10TensorInfoIT_T1_EES9_S9_S9_S9_S9_S9_S8_S8_.num_agpr, 0
	.set _ZN2at6native12_GLOBAL__N_16kernel18lstm_cell_backwardIddiLi2EEEvNS_4cuda6detail10TensorInfoIT_T1_EES9_S9_S9_S9_S9_S9_S8_S8_.numbered_sgpr, 83
	.set _ZN2at6native12_GLOBAL__N_16kernel18lstm_cell_backwardIddiLi2EEEvNS_4cuda6detail10TensorInfoIT_T1_EES9_S9_S9_S9_S9_S9_S8_S8_.num_named_barrier, 0
	.set _ZN2at6native12_GLOBAL__N_16kernel18lstm_cell_backwardIddiLi2EEEvNS_4cuda6detail10TensorInfoIT_T1_EES9_S9_S9_S9_S9_S9_S8_S8_.private_seg_size, 0
	.set _ZN2at6native12_GLOBAL__N_16kernel18lstm_cell_backwardIddiLi2EEEvNS_4cuda6detail10TensorInfoIT_T1_EES9_S9_S9_S9_S9_S9_S8_S8_.uses_vcc, 1
	.set _ZN2at6native12_GLOBAL__N_16kernel18lstm_cell_backwardIddiLi2EEEvNS_4cuda6detail10TensorInfoIT_T1_EES9_S9_S9_S9_S9_S9_S8_S8_.uses_flat_scratch, 0
	.set _ZN2at6native12_GLOBAL__N_16kernel18lstm_cell_backwardIddiLi2EEEvNS_4cuda6detail10TensorInfoIT_T1_EES9_S9_S9_S9_S9_S9_S8_S8_.has_dyn_sized_stack, 0
	.set _ZN2at6native12_GLOBAL__N_16kernel18lstm_cell_backwardIddiLi2EEEvNS_4cuda6detail10TensorInfoIT_T1_EES9_S9_S9_S9_S9_S9_S8_S8_.has_recursion, 0
	.set _ZN2at6native12_GLOBAL__N_16kernel18lstm_cell_backwardIddiLi2EEEvNS_4cuda6detail10TensorInfoIT_T1_EES9_S9_S9_S9_S9_S9_S8_S8_.has_indirect_call, 0
	.section	.AMDGPU.csdata,"",@progbits
; Kernel info:
; codeLenInByte = 4196
; TotalNumSgprs: 85
; NumVgprs: 60
; ScratchSize: 0
; MemoryBound: 0
; FloatMode: 240
; IeeeMode: 1
; LDSByteSize: 0 bytes/workgroup (compile time only)
; SGPRBlocks: 0
; VGPRBlocks: 3
; NumSGPRsForWavesPerEU: 85
; NumVGPRsForWavesPerEU: 60
; NamedBarCnt: 0
; Occupancy: 16
; WaveLimiterHint : 1
; COMPUTE_PGM_RSRC2:SCRATCH_EN: 0
; COMPUTE_PGM_RSRC2:USER_SGPR: 2
; COMPUTE_PGM_RSRC2:TRAP_HANDLER: 0
; COMPUTE_PGM_RSRC2:TGID_X_EN: 1
; COMPUTE_PGM_RSRC2:TGID_Y_EN: 0
; COMPUTE_PGM_RSRC2:TGID_Z_EN: 0
; COMPUTE_PGM_RSRC2:TIDIG_COMP_CNT: 0
	.section	.text._ZN2at6native12_GLOBAL__N_16kernel18lstm_cell_backwardIddlLi1EEEvNS_4cuda6detail10TensorInfoIT_T1_EES9_S9_S9_S9_S9_S9_S8_S8_,"axG",@progbits,_ZN2at6native12_GLOBAL__N_16kernel18lstm_cell_backwardIddlLi1EEEvNS_4cuda6detail10TensorInfoIT_T1_EES9_S9_S9_S9_S9_S9_S8_S8_,comdat
	.globl	_ZN2at6native12_GLOBAL__N_16kernel18lstm_cell_backwardIddlLi1EEEvNS_4cuda6detail10TensorInfoIT_T1_EES9_S9_S9_S9_S9_S9_S8_S8_ ; -- Begin function _ZN2at6native12_GLOBAL__N_16kernel18lstm_cell_backwardIddlLi1EEEvNS_4cuda6detail10TensorInfoIT_T1_EES9_S9_S9_S9_S9_S9_S8_S8_
	.p2align	8
	.type	_ZN2at6native12_GLOBAL__N_16kernel18lstm_cell_backwardIddlLi1EEEvNS_4cuda6detail10TensorInfoIT_T1_EES9_S9_S9_S9_S9_S9_S8_S8_,@function
_ZN2at6native12_GLOBAL__N_16kernel18lstm_cell_backwardIddlLi1EEEvNS_4cuda6detail10TensorInfoIT_T1_EES9_S9_S9_S9_S9_S9_S8_S8_: ; @_ZN2at6native12_GLOBAL__N_16kernel18lstm_cell_backwardIddlLi1EEEvNS_4cuda6detail10TensorInfoIT_T1_EES9_S9_S9_S9_S9_S9_S8_S8_
; %bb.0:
	s_clause 0x1
	s_load_b32 s2, s[0:1], 0xb7c
	s_load_b128 s[4:7], s[0:1], 0xb60
	s_bfe_u32 s3, ttmp6, 0x4000c
	s_and_b32 s8, ttmp6, 15
	s_add_co_i32 s3, s3, 1
	s_getreg_b32 s9, hwreg(HW_REG_IB_STS2, 6, 4)
	s_mul_i32 s3, ttmp9, s3
	v_mov_b32_e32 v2, 0
	s_add_co_i32 s8, s8, s3
	s_delay_alu instid0(VALU_DEP_1)
	v_mov_b32_e32 v1, v2
	s_wait_kmcnt 0x0
	s_and_b32 s2, s2, 0xffff
	s_cmp_eq_u32 s9, 0
	s_cselect_b32 s3, ttmp9, s8
	s_mov_b32 s8, exec_lo
	v_mad_u32 v0, s3, s2, v0
	s_mov_b32 s3, 0
	s_delay_alu instid0(VALU_DEP_1)
	v_cmpx_gt_i64_e64 s[6:7], v[0:1]
	s_cbranch_execz .LBB18_11
; %bb.1:
	s_clause 0x8
	s_load_b64 s[26:27], s[0:1], 0x410
	s_load_b64 s[28:29], s[0:1], 0x5b0
	;; [unrolled: 1-line block ×9, first 2 shown]
	s_add_nc_u64 s[8:9], s[0:1], 0xb70
	s_load_b64 s[46:47], s[0:1], 0x9c0
	s_load_b32 s16, s[8:9], 0x0
	s_wait_xcnt 0x0
	s_clause 0x3
	s_load_b64 s[8:9], s[0:1], 0x0
	s_load_b64 s[10:11], s[0:1], 0xd0
	;; [unrolled: 1-line block ×4, first 2 shown]
	v_mov_b64_e32 v[4:5], 0x3e928af3fca7ab0c
	s_mov_b32 s17, s3
	s_mul_u64 s[18:19], s[4:5], 3
	s_mov_b64 s[20:21], 0xffffffff
	s_mov_b64 s[22:23], 0x3ff71547652b82fe
	s_mov_b64 s[24:25], 0xbfe62e42fefa3000
                                        ; implicit-def: $vgpr16_vgpr17
                                        ; implicit-def: $vgpr16_vgpr17
	;; [unrolled: 1-line block ×8, first 2 shown]
	s_wait_kmcnt 0x0
	v_mul_u64_e32 v[6:7], s[26:27], v[0:1]
	v_mul_u64_e32 v[8:9], s[28:29], v[0:1]
	;; [unrolled: 1-line block ×5, first 2 shown]
	s_cmp_lg_u64 s[42:43], 0
	s_cselect_b32 s1, -1, 0
	s_mul_i32 s16, s16, s2
	s_cmp_lg_u64 s[44:45], 0
	s_mul_u64 s[26:27], s[16:17], s[26:27]
	s_mul_u64 s[28:29], s[16:17], s[28:29]
	;; [unrolled: 1-line block ×5, first 2 shown]
	s_cselect_b32 s33, -1, 0
	s_lshl_b64 s[26:27], s[26:27], 3
	s_lshl_b64 s[28:29], s[28:29], 3
	;; [unrolled: 1-line block ×5, first 2 shown]
	v_lshl_add_u64 v[6:7], v[6:7], 3, s[38:39]
	v_lshl_add_u64 v[8:9], v[8:9], 3, s[40:41]
	;; [unrolled: 1-line block ×5, first 2 shown]
	s_ashr_i32 s38, s5, 31
	s_mov_b32 s42, 0
	s_branch .LBB18_3
.LBB18_2:                               ;   in Loop: Header=BB18_3 Depth=1
	s_wait_loadcnt 0x0
	v_mul_f64_e64 v[40:41], |v[38:39]|, s[22:23]
	v_cmp_nlt_f64_e64 vcc_lo, 0x40331000, |v[38:39]|
	v_mul_u64_e32 v[22:23], s[14:15], v[22:23]
	v_mul_u64_e32 v[20:21], s[14:15], v[20:21]
	;; [unrolled: 1-line block ×4, first 2 shown]
	v_add_nc_u64_e32 v[0:1], s[16:17], v[0:1]
	v_add_nc_u64_e32 v[6:7], s[26:27], v[6:7]
	s_wait_xcnt 0x0
	v_add_nc_u64_e32 v[8:9], s[28:29], v[8:9]
	v_add_nc_u64_e32 v[12:13], s[34:35], v[12:13]
	;; [unrolled: 1-line block ×3, first 2 shown]
	v_rndne_f64_e32 v[40:41], v[40:41]
	v_lshl_add_u64 v[22:23], v[22:23], 3, s[12:13]
	v_lshl_add_u64 v[20:21], v[20:21], 3, s[12:13]
	;; [unrolled: 1-line block ×4, first 2 shown]
	v_fma_f64 v[42:43], v[40:41], s[24:25], |v[38:39]|
	v_mul_f64_e32 v[44:45], 0xbd53de6af278e000, v[40:41]
	v_cvt_i32_f64_e32 v3, v[40:41]
	s_delay_alu instid0(VALU_DEP_3) | instskip(NEXT) | instid1(VALU_DEP_1)
	v_add_f64_e32 v[46:47], 0, v[42:43]
	v_add_f64_e32 v[48:49], v[46:47], v[44:45]
	v_add_f64_e64 v[42:43], v[42:43], -v[46:47]
	s_delay_alu instid0(VALU_DEP_2) | instskip(NEXT) | instid1(VALU_DEP_2)
	v_add_f64_e64 v[46:47], v[46:47], -v[48:49]
	v_add_f64_e32 v[42:43], 0, v[42:43]
	s_delay_alu instid0(VALU_DEP_2) | instskip(NEXT) | instid1(VALU_DEP_1)
	v_add_f64_e32 v[44:45], v[46:47], v[44:45]
	v_add_f64_e32 v[42:43], v[42:43], v[44:45]
	v_mul_f64_e32 v[44:45], 0xbac9cc01f97b57a0, v[40:41]
	s_delay_alu instid0(VALU_DEP_2) | instskip(NEXT) | instid1(VALU_DEP_1)
	v_add_f64_e32 v[46:47], v[48:49], v[42:43]
	v_add_f64_e32 v[50:51], v[46:47], v[44:45]
	v_add_f64_e64 v[48:49], v[48:49], -v[46:47]
	s_delay_alu instid0(VALU_DEP_2) | instskip(NEXT) | instid1(VALU_DEP_2)
	v_add_f64_e64 v[46:47], v[46:47], -v[50:51]
	v_add_f64_e32 v[42:43], v[42:43], v[48:49]
	s_delay_alu instid0(VALU_DEP_2) | instskip(NEXT) | instid1(VALU_DEP_1)
	v_add_f64_e32 v[44:45], v[46:47], v[44:45]
	v_add_f64_e32 v[42:43], v[42:43], v[44:45]
	s_delay_alu instid0(VALU_DEP_1) | instskip(NEXT) | instid1(VALU_DEP_1)
	v_add_f64_e32 v[44:45], v[50:51], v[42:43]
	v_add_f64_e64 v[46:47], v[50:51], -v[44:45]
	v_mul_f64_e32 v[48:49], v[44:45], v[44:45]
	s_delay_alu instid0(VALU_DEP_2) | instskip(NEXT) | instid1(VALU_DEP_2)
	v_add_f64_e32 v[42:43], v[42:43], v[46:47]
	v_fma_f64 v[46:47], v[44:45], v[44:45], -v[48:49]
	s_delay_alu instid0(VALU_DEP_2) | instskip(NEXT) | instid1(VALU_DEP_1)
	v_add_f64_e32 v[50:51], v[42:43], v[42:43]
	v_fmac_f64_e32 v[46:47], v[44:45], v[50:51]
	v_fmamk_f64 v[50:51], v[44:45], 0x3e5ade156a5dcb37, v[4:5]
	s_delay_alu instid0(VALU_DEP_1) | instskip(NEXT) | instid1(VALU_DEP_1)
	v_fmaak_f64 v[50:51], v[44:45], v[50:51], 0x3ec71dee623fde64
	v_fmaak_f64 v[50:51], v[44:45], v[50:51], 0x3efa01997c89e6b0
	s_delay_alu instid0(VALU_DEP_1) | instskip(NEXT) | instid1(VALU_DEP_1)
	v_fmaak_f64 v[50:51], v[44:45], v[50:51], 0x3f2a01a014761f6e
	v_fmaak_f64 v[50:51], v[44:45], v[50:51], 0x3f56c16c1852b7b0
	v_add_f64_e32 v[52:53], v[48:49], v[46:47]
	s_delay_alu instid0(VALU_DEP_2) | instskip(NEXT) | instid1(VALU_DEP_1)
	v_fmaak_f64 v[50:51], v[44:45], v[50:51], 0x3f81111111122322
	v_fmaak_f64 v[50:51], v[44:45], v[50:51], 0x3fa55555555502a1
	s_delay_alu instid0(VALU_DEP_1) | instskip(NEXT) | instid1(VALU_DEP_1)
	v_fmaak_f64 v[50:51], v[44:45], v[50:51], 0x3fc5555555555511
	v_fmaak_f64 v[50:51], v[44:45], v[50:51], 0x3fe000000000000b
	v_add_f64_e64 v[48:49], v[52:53], -v[48:49]
	s_delay_alu instid0(VALU_DEP_2) | instskip(NEXT) | instid1(VALU_DEP_2)
	v_mul_f64_e32 v[54:55], v[52:53], v[50:51]
	v_add_f64_e64 v[46:47], v[46:47], -v[48:49]
	s_delay_alu instid0(VALU_DEP_2) | instskip(NEXT) | instid1(VALU_DEP_1)
	v_fma_f64 v[48:49], v[52:53], v[50:51], -v[54:55]
	v_fmac_f64_e32 v[48:49], v[46:47], v[50:51]
	s_delay_alu instid0(VALU_DEP_1) | instskip(NEXT) | instid1(VALU_DEP_1)
	v_add_f64_e32 v[46:47], v[54:55], v[48:49]
	v_add_f64_e32 v[50:51], v[44:45], v[46:47]
	v_add_f64_e64 v[52:53], v[46:47], -v[54:55]
	s_delay_alu instid0(VALU_DEP_2) | instskip(NEXT) | instid1(VALU_DEP_2)
	v_add_f64_e64 v[44:45], v[50:51], -v[44:45]
	v_add_f64_e64 v[48:49], v[48:49], -v[52:53]
	s_delay_alu instid0(VALU_DEP_2) | instskip(NEXT) | instid1(VALU_DEP_2)
	v_add_f64_e64 v[44:45], v[46:47], -v[44:45]
	v_add_f64_e32 v[42:43], v[42:43], v[48:49]
	s_delay_alu instid0(VALU_DEP_1) | instskip(NEXT) | instid1(VALU_DEP_1)
	v_add_f64_e32 v[42:43], v[42:43], v[44:45]
	v_add_f64_e32 v[44:45], v[50:51], v[42:43]
	s_delay_alu instid0(VALU_DEP_1) | instskip(SKIP_1) | instid1(VALU_DEP_2)
	v_add_f64_e32 v[46:47], 1.0, v[44:45]
	v_add_f64_e64 v[48:49], v[44:45], -v[50:51]
	v_add_f64_e32 v[50:51], -1.0, v[46:47]
	s_delay_alu instid0(VALU_DEP_2) | instskip(NEXT) | instid1(VALU_DEP_2)
	v_add_f64_e64 v[42:43], v[42:43], -v[48:49]
	v_add_f64_e64 v[44:45], v[44:45], -v[50:51]
	s_delay_alu instid0(VALU_DEP_1) | instskip(NEXT) | instid1(VALU_DEP_1)
	v_add_f64_e32 v[42:43], v[42:43], v[44:45]
	v_add_f64_e32 v[40:41], v[46:47], v[42:43]
	s_delay_alu instid0(VALU_DEP_1) | instskip(SKIP_1) | instid1(VALU_DEP_2)
	v_ldexp_f64 v[44:45], v[40:41], v3
	v_add_f64_e64 v[40:41], v[40:41], -v[46:47]
	v_rcp_f64_e32 v[48:49], v[44:45]
	s_delay_alu instid0(VALU_DEP_1) | instskip(NEXT) | instid1(VALU_DEP_1)
	v_add_f64_e64 v[40:41], v[42:43], -v[40:41]
	v_ldexp_f64 v[40:41], v[40:41], v3
	s_delay_alu instid0(TRANS32_DEP_1) | instskip(NEXT) | instid1(VALU_DEP_1)
	v_fma_f64 v[50:51], -v[44:45], v[48:49], 1.0
	v_fmac_f64_e32 v[48:49], v[50:51], v[48:49]
	s_delay_alu instid0(VALU_DEP_1) | instskip(NEXT) | instid1(VALU_DEP_1)
	v_fma_f64 v[50:51], -v[44:45], v[48:49], 1.0
	v_fmac_f64_e32 v[48:49], v[50:51], v[48:49]
	s_delay_alu instid0(VALU_DEP_1) | instskip(NEXT) | instid1(VALU_DEP_1)
	v_mul_f64_e32 v[42:43], v[44:45], v[48:49]
	v_fma_f64 v[46:47], v[48:49], v[44:45], -v[42:43]
	s_delay_alu instid0(VALU_DEP_1) | instskip(NEXT) | instid1(VALU_DEP_1)
	v_fmac_f64_e32 v[46:47], v[48:49], v[40:41]
	v_add_f64_e32 v[50:51], v[42:43], v[46:47]
	s_delay_alu instid0(VALU_DEP_1) | instskip(SKIP_1) | instid1(VALU_DEP_2)
	v_add_f64_e64 v[52:53], -v[50:51], 1.0
	v_add_f64_e64 v[42:43], v[50:51], -v[42:43]
	v_add_f64_e64 v[54:55], -v[52:53], 1.0
	s_delay_alu instid0(VALU_DEP_2) | instskip(NEXT) | instid1(VALU_DEP_2)
	v_add_f64_e64 v[42:43], v[42:43], -v[46:47]
	v_add_f64_e64 v[46:47], v[54:55], -v[50:51]
	s_delay_alu instid0(VALU_DEP_1) | instskip(NEXT) | instid1(VALU_DEP_1)
	v_add_f64_e32 v[42:43], v[42:43], v[46:47]
	v_add_f64_e32 v[46:47], v[52:53], v[42:43]
	s_delay_alu instid0(VALU_DEP_1) | instskip(SKIP_1) | instid1(VALU_DEP_2)
	v_mul_f64_e32 v[50:51], v[48:49], v[46:47]
	v_add_f64_e64 v[52:53], v[52:53], -v[46:47]
	v_mul_f64_e32 v[54:55], v[44:45], v[50:51]
	s_delay_alu instid0(VALU_DEP_2) | instskip(NEXT) | instid1(VALU_DEP_2)
	v_add_f64_e32 v[42:43], v[42:43], v[52:53]
	v_fma_f64 v[56:57], v[50:51], v[44:45], -v[54:55]
	s_delay_alu instid0(VALU_DEP_1) | instskip(NEXT) | instid1(VALU_DEP_1)
	v_fmac_f64_e32 v[56:57], v[50:51], v[40:41]
	v_add_f64_e32 v[58:59], v[54:55], v[56:57]
	s_delay_alu instid0(VALU_DEP_1) | instskip(SKIP_1) | instid1(VALU_DEP_2)
	v_add_f64_e64 v[60:61], v[46:47], -v[58:59]
	v_add_f64_e64 v[52:53], v[58:59], -v[54:55]
	;; [unrolled: 1-line block ×3, first 2 shown]
	s_delay_alu instid0(VALU_DEP_2) | instskip(NEXT) | instid1(VALU_DEP_2)
	v_add_f64_e64 v[52:53], v[52:53], -v[56:57]
	v_add_f64_e64 v[46:47], v[46:47], -v[58:59]
	s_delay_alu instid0(VALU_DEP_1) | instskip(SKIP_1) | instid1(VALU_DEP_2)
	v_add_f64_e32 v[42:43], v[42:43], v[46:47]
	v_add_f64_e32 v[46:47], v[48:49], v[50:51]
	;; [unrolled: 1-line block ×3, first 2 shown]
	s_delay_alu instid0(VALU_DEP_2) | instskip(NEXT) | instid1(VALU_DEP_2)
	v_add_f64_e64 v[52:53], v[46:47], -v[48:49]
	v_add_f64_e32 v[42:43], v[60:61], v[42:43]
	s_delay_alu instid0(VALU_DEP_2) | instskip(NEXT) | instid1(VALU_DEP_2)
	v_add_f64_e64 v[50:51], v[50:51], -v[52:53]
	v_mul_f64_e32 v[42:43], v[48:49], v[42:43]
	s_delay_alu instid0(VALU_DEP_1) | instskip(NEXT) | instid1(VALU_DEP_1)
	v_add_f64_e32 v[42:43], v[50:51], v[42:43]
	v_add_f64_e32 v[48:49], v[46:47], v[42:43]
	s_delay_alu instid0(VALU_DEP_1) | instskip(SKIP_2) | instid1(VALU_DEP_3)
	v_add_f64_e32 v[50:51], v[44:45], v[48:49]
	v_add_f64_e64 v[46:47], v[48:49], -v[46:47]
	v_add_f64_e64 v[54:55], v[44:45], -v[48:49]
	v_add_f64_e64 v[52:53], v[50:51], -v[44:45]
	s_delay_alu instid0(VALU_DEP_3) | instskip(NEXT) | instid1(VALU_DEP_3)
	v_add_f64_e64 v[42:43], v[42:43], -v[46:47]
	v_add_f64_e64 v[44:45], v[44:45], -v[54:55]
	s_delay_alu instid0(VALU_DEP_3) | instskip(NEXT) | instid1(VALU_DEP_3)
	v_add_f64_e64 v[46:47], v[48:49], -v[52:53]
	v_add_f64_e32 v[52:53], v[40:41], v[42:43]
	s_delay_alu instid0(VALU_DEP_3) | instskip(NEXT) | instid1(VALU_DEP_2)
	v_add_f64_e64 v[44:45], v[44:45], -v[48:49]
	v_add_f64_e32 v[46:47], v[52:53], v[46:47]
	s_delay_alu instid0(VALU_DEP_2) | instskip(NEXT) | instid1(VALU_DEP_2)
	v_add_f64_e32 v[40:41], v[40:41], v[44:45]
	v_add_f64_e32 v[52:53], v[50:51], v[46:47]
	s_delay_alu instid0(VALU_DEP_2) | instskip(NEXT) | instid1(VALU_DEP_2)
	v_add_f64_e64 v[40:41], v[40:41], -v[42:43]
	v_rcp_f64_e32 v[56:57], v[52:53]
	s_delay_alu instid0(VALU_DEP_1) | instskip(NEXT) | instid1(TRANS32_DEP_1)
	v_add_f64_e32 v[44:45], v[54:55], v[40:41]
	v_fma_f64 v[48:49], -v[52:53], v[56:57], 1.0
	s_delay_alu instid0(VALU_DEP_1) | instskip(SKIP_1) | instid1(VALU_DEP_2)
	v_fmac_f64_e32 v[56:57], v[48:49], v[56:57]
	v_add_f64_e64 v[48:49], v[52:53], -v[50:51]
	v_fma_f64 v[42:43], -v[52:53], v[56:57], 1.0
	s_delay_alu instid0(VALU_DEP_2) | instskip(NEXT) | instid1(VALU_DEP_2)
	v_add_f64_e64 v[46:47], v[46:47], -v[48:49]
	v_fmac_f64_e32 v[56:57], v[42:43], v[56:57]
	s_delay_alu instid0(VALU_DEP_1) | instskip(NEXT) | instid1(VALU_DEP_1)
	v_mul_f64_e32 v[42:43], v[44:45], v[56:57]
	v_mul_f64_e32 v[50:51], v[52:53], v[42:43]
	s_delay_alu instid0(VALU_DEP_1) | instskip(NEXT) | instid1(VALU_DEP_1)
	v_fma_f64 v[48:49], v[42:43], v[52:53], -v[50:51]
	v_fmac_f64_e32 v[48:49], v[42:43], v[46:47]
	s_delay_alu instid0(VALU_DEP_1) | instskip(NEXT) | instid1(VALU_DEP_1)
	v_add_f64_e32 v[46:47], v[50:51], v[48:49]
	v_add_f64_e64 v[52:53], v[44:45], -v[46:47]
	v_add_f64_e64 v[50:51], v[46:47], -v[50:51]
	s_delay_alu instid0(VALU_DEP_2) | instskip(SKIP_1) | instid1(VALU_DEP_3)
	v_add_f64_e64 v[58:59], v[44:45], -v[52:53]
	v_add_f64_e64 v[44:45], v[44:45], -v[54:55]
	;; [unrolled: 1-line block ×3, first 2 shown]
	s_delay_alu instid0(VALU_DEP_3) | instskip(NEXT) | instid1(VALU_DEP_3)
	v_add_f64_e64 v[46:47], v[58:59], -v[46:47]
	v_add_f64_e64 v[40:41], v[40:41], -v[44:45]
	s_delay_alu instid0(VALU_DEP_2) | instskip(SKIP_1) | instid1(VALU_DEP_2)
	v_add_f64_e64 v[44:45], v[46:47], -v[48:49]
	v_add_f64_e64 v[46:47], -v[28:29], 1.0
	v_add_f64_e32 v[40:41], v[40:41], v[44:45]
	s_delay_alu instid0(VALU_DEP_1) | instskip(NEXT) | instid1(VALU_DEP_1)
	v_add_f64_e32 v[40:41], v[52:53], v[40:41]
	v_mul_f64_e32 v[40:41], v[56:57], v[40:41]
	s_delay_alu instid0(VALU_DEP_1) | instskip(NEXT) | instid1(VALU_DEP_1)
	v_add_f64_e32 v[40:41], v[42:43], v[40:41]
	v_cndmask_b32_e32 v3, 0x3ff00000, v41, vcc_lo
	s_delay_alu instid0(VALU_DEP_2) | instskip(SKIP_2) | instid1(VALU_DEP_1)
	v_cndmask_b32_e32 v40, 0, v40, vcc_lo
	v_cmp_gt_f64_e64 vcc_lo, 0x3e400000, |v[38:39]|
	v_and_b32_e32 v41, 0x7fffffff, v39
	v_dual_cndmask_b32 v3, v3, v41 :: v_dual_cndmask_b32 v38, v40, v38
	v_mul_f64_e32 v[40:41], v[28:29], v[36:37]
	v_cmp_le_i64_e32 vcc_lo, s[6:7], v[0:1]
	s_delay_alu instid0(VALU_DEP_3) | instskip(NEXT) | instid1(VALU_DEP_1)
	v_bfi_b32 v39, 0x7fffffff, v3, v39
	v_fma_f64 v[42:43], -v[38:39], v[38:39], 1.0
	v_mul_f64_e32 v[36:37], v[38:39], v[36:37]
	s_or_b32 s42, vcc_lo, s42
	s_delay_alu instid0(VALU_DEP_2) | instskip(SKIP_2) | instid1(VALU_DEP_4)
	v_fmac_f64_e32 v[30:31], v[42:43], v[40:41]
	v_add_f64_e64 v[40:41], -v[26:27], 1.0
	v_add_f64_e64 v[42:43], -v[24:25], 1.0
	v_mul_f64_e32 v[36:37], v[46:47], v[36:37]
	s_delay_alu instid0(VALU_DEP_4) | instskip(SKIP_2) | instid1(VALU_DEP_4)
	v_mul_f64_e32 v[44:45], v[32:33], v[30:31]
	v_mul_f64_e32 v[34:35], v[34:35], v[30:31]
	v_fma_f64 v[32:33], -v[32:33], v[32:33], 1.0
	v_mul_f64_e32 v[28:29], v[28:29], v[36:37]
	s_delay_alu instid0(VALU_DEP_4) | instskip(NEXT) | instid1(VALU_DEP_4)
	v_mul_f64_e32 v[38:39], v[40:41], v[44:45]
	v_mul_f64_e32 v[34:35], v[42:43], v[34:35]
	;; [unrolled: 1-line block ×3, first 2 shown]
	s_delay_alu instid0(VALU_DEP_3) | instskip(NEXT) | instid1(VALU_DEP_3)
	v_mul_f64_e32 v[26:27], v[26:27], v[38:39]
	v_mul_f64_e32 v[34:35], v[24:25], v[34:35]
	s_delay_alu instid0(VALU_DEP_3)
	v_mul_f64_e32 v[32:33], v[32:33], v[40:41]
	v_mul_f64_e32 v[24:25], v[24:25], v[30:31]
	s_clause 0x3
	global_store_b64 v[22:23], v[26:27], off
	global_store_b64 v[20:21], v[34:35], off
	;; [unrolled: 1-line block ×5, first 2 shown]
	s_wait_xcnt 0x0
	v_add_nc_u64_e32 v[10:11], s[30:31], v[10:11]
	s_and_not1_b32 exec_lo, exec_lo, s42
	s_cbranch_execz .LBB18_11
.LBB18_3:                               ; =>This Inner Loop Header: Depth=1
	v_or_b32_e32 v3, s5, v1
                                        ; implicit-def: $vgpr24_vgpr25
	s_mov_b32 s0, exec_lo
	s_delay_alu instid0(VALU_DEP_1)
	v_cmpx_ne_u64_e32 0, v[2:3]
	s_xor_b32 s43, exec_lo, s0
	s_cbranch_execz .LBB18_5
; %bb.4:                                ;   in Loop: Header=BB18_3 Depth=1
	s_mov_b32 s39, s38
	v_dual_mov_b32 v21, v2 :: v_dual_ashrrev_i32 v16, 31, v1
	s_add_nc_u64 s[40:41], s[4:5], s[38:39]
	s_delay_alu instid0(SALU_CYCLE_1) | instskip(NEXT) | instid1(VALU_DEP_1)
	s_xor_b64 s[40:41], s[40:41], s[38:39]
	v_mov_b32_e32 v17, v16
	s_cvt_f32_u32 s0, s40
	s_cvt_f32_u32 s2, s41
	s_sub_nc_u64 s[46:47], 0, s[40:41]
	s_delay_alu instid0(VALU_DEP_1) | instskip(NEXT) | instid1(SALU_CYCLE_1)
	v_add_nc_u64_e32 v[18:19], v[0:1], v[16:17]
	s_fmamk_f32 s0, s2, 0x4f800000, s0
	v_mov_b32_e32 v25, v2
	s_delay_alu instid0(SALU_CYCLE_2) | instskip(NEXT) | instid1(VALU_DEP_2)
	v_s_rcp_f32 s0, s0
	v_xor_b32_e32 v20, v18, v16
	s_delay_alu instid0(VALU_DEP_3) | instskip(SKIP_1) | instid1(TRANS32_DEP_1)
	v_dual_mov_b32 v29, v2 :: v_dual_bitop2_b32 v24, v19, v16 bitop3:0x14
	v_xor_b32_e32 v16, s38, v16
	s_mul_f32 s0, s0, 0x5f7ffffc
	s_delay_alu instid0(SALU_CYCLE_3) | instskip(NEXT) | instid1(SALU_CYCLE_3)
	s_mul_f32 s2, s0, 0x2f800000
	s_trunc_f32 s2, s2
	s_delay_alu instid0(SALU_CYCLE_3) | instskip(SKIP_1) | instid1(SALU_CYCLE_2)
	s_fmamk_f32 s0, s2, 0xcf800000, s0
	s_cvt_u32_f32 s45, s2
	s_cvt_u32_f32 s44, s0
	s_delay_alu instid0(SALU_CYCLE_3) | instskip(NEXT) | instid1(SALU_CYCLE_1)
	s_mul_u64 s[48:49], s[46:47], s[44:45]
	s_mul_hi_u32 s51, s44, s49
	s_mul_i32 s50, s44, s49
	s_mul_hi_u32 s2, s44, s48
	s_mul_i32 s39, s45, s48
	s_add_nc_u64 s[50:51], s[2:3], s[50:51]
	s_mul_hi_u32 s0, s45, s48
	s_mul_hi_u32 s52, s45, s49
	s_add_co_u32 s2, s50, s39
	s_add_co_ci_u32 s2, s51, s0
	s_mul_i32 s48, s45, s49
	s_add_co_ci_u32 s49, s52, 0
	s_delay_alu instid0(SALU_CYCLE_1) | instskip(NEXT) | instid1(SALU_CYCLE_1)
	s_add_nc_u64 s[48:49], s[2:3], s[48:49]
	s_add_co_u32 s44, s44, s48
	s_cselect_b32 s0, -1, 0
	s_delay_alu instid0(SALU_CYCLE_1) | instskip(SKIP_1) | instid1(SALU_CYCLE_1)
	s_cmp_lg_u32 s0, 0
	s_add_co_ci_u32 s45, s45, s49
	s_mul_u64 s[46:47], s[46:47], s[44:45]
	s_delay_alu instid0(SALU_CYCLE_1)
	s_mul_hi_u32 s49, s44, s47
	s_mul_i32 s48, s44, s47
	s_mul_hi_u32 s2, s44, s46
	s_mul_i32 s39, s45, s46
	s_add_nc_u64 s[48:49], s[2:3], s[48:49]
	s_mul_hi_u32 s0, s45, s46
	s_mul_hi_u32 s50, s45, s47
	s_add_co_u32 s2, s48, s39
	s_add_co_ci_u32 s2, s49, s0
	s_mul_i32 s46, s45, s47
	s_add_co_ci_u32 s47, s50, 0
	s_delay_alu instid0(SALU_CYCLE_1) | instskip(NEXT) | instid1(SALU_CYCLE_1)
	s_add_nc_u64 s[46:47], s[2:3], s[46:47]
	s_add_co_u32 s0, s44, s46
	s_cselect_b32 s2, -1, 0
	v_mul_hi_u32 v28, v20, s0
	s_cmp_lg_u32 s2, 0
	s_add_co_ci_u32 s2, s45, s47
	s_and_b64 s[44:45], s[0:1], s[20:21]
	v_mul_u64_e32 v[22:23], s[2:3], v[20:21]
	v_mul_u64_e32 v[18:19], s[44:45], v[24:25]
	;; [unrolled: 1-line block ×3, first 2 shown]
	s_delay_alu instid0(VALU_DEP_3) | instskip(NEXT) | instid1(VALU_DEP_1)
	v_add_nc_u64_e32 v[22:23], v[28:29], v[22:23]
	v_add_co_u32 v3, vcc_lo, v22, v18
	s_delay_alu instid0(VALU_DEP_2) | instskip(NEXT) | instid1(VALU_DEP_4)
	v_add_co_ci_u32_e32 v28, vcc_lo, v23, v19, vcc_lo
	v_add_co_ci_u32_e32 v27, vcc_lo, 0, v27, vcc_lo
	s_delay_alu instid0(VALU_DEP_1) | instskip(NEXT) | instid1(VALU_DEP_1)
	v_add_nc_u64_e32 v[18:19], v[28:29], v[26:27]
	v_mul_u64_e32 v[22:23], s[40:41], v[18:19]
	s_delay_alu instid0(VALU_DEP_1) | instskip(NEXT) | instid1(VALU_DEP_2)
	v_sub_nc_u32_e32 v3, v24, v23
	v_sub_co_u32 v17, vcc_lo, v20, v22
	s_delay_alu instid0(VALU_DEP_1) | instskip(NEXT) | instid1(VALU_DEP_3)
	v_sub_co_ci_u32_e64 v24, null, v24, v23, vcc_lo
	v_subrev_co_ci_u32_e64 v3, null, s41, v3, vcc_lo
	s_delay_alu instid0(VALU_DEP_3) | instskip(SKIP_1) | instid1(VALU_DEP_3)
	v_sub_co_u32 v20, s0, v17, s40
	v_add_nc_u64_e32 v[22:23], 1, v[18:19]
	v_subrev_co_ci_u32_e64 v3, null, 0, v3, s0
	s_delay_alu instid0(VALU_DEP_3) | instskip(SKIP_1) | instid1(VALU_DEP_3)
	v_cmp_le_u32_e32 vcc_lo, s40, v20
	v_cndmask_b32_e64 v20, 0, -1, vcc_lo
	v_cmp_le_u32_e32 vcc_lo, s41, v3
	v_cndmask_b32_e64 v21, 0, -1, vcc_lo
	;; [unrolled: 2-line block ×4, first 2 shown]
	v_cmp_eq_u32_e32 vcc_lo, s41, v3
	v_cndmask_b32_e32 v3, v21, v20, vcc_lo
	v_cmp_eq_u32_e32 vcc_lo, s41, v24
	v_add_nc_u64_e32 v[20:21], 2, v[18:19]
	v_cndmask_b32_e32 v17, v25, v17, vcc_lo
	s_delay_alu instid0(VALU_DEP_4) | instskip(NEXT) | instid1(VALU_DEP_2)
	v_cmp_ne_u32_e32 vcc_lo, 0, v3
	v_cmp_ne_u32_e64 s0, 0, v17
	s_delay_alu instid0(VALU_DEP_4) | instskip(NEXT) | instid1(VALU_DEP_1)
	v_dual_cndmask_b32 v3, v23, v21, vcc_lo :: v_dual_cndmask_b32 v17, v22, v20, vcc_lo
	v_dual_cndmask_b32 v18, v18, v17, s0 :: v_dual_mov_b32 v17, v16
	s_delay_alu instid0(VALU_DEP_1) | instskip(NEXT) | instid1(VALU_DEP_1)
	v_dual_cndmask_b32 v3, v19, v3, s0 :: v_dual_bitop2_b32 v18, v18, v16 bitop3:0x14
	v_xor_b32_e32 v19, v3, v16
	s_delay_alu instid0(VALU_DEP_1)
	v_sub_nc_u64_e32 v[24:25], v[18:19], v[16:17]
.LBB18_5:                               ;   in Loop: Header=BB18_3 Depth=1
	s_and_not1_saveexec_b32 s0, s43
	s_cbranch_execz .LBB18_7
; %bb.6:                                ;   in Loop: Header=BB18_3 Depth=1
	v_cvt_f32_u32_e32 v3, s4
	s_sub_co_i32 s2, 0, s4
	v_mov_b32_e32 v25, v2
	s_delay_alu instid0(VALU_DEP_2) | instskip(SKIP_1) | instid1(TRANS32_DEP_1)
	v_rcp_iflag_f32_e32 v3, v3
	v_nop
	v_mul_f32_e32 v3, 0x4f7ffffe, v3
	s_delay_alu instid0(VALU_DEP_1) | instskip(NEXT) | instid1(VALU_DEP_1)
	v_cvt_u32_f32_e32 v3, v3
	v_mul_lo_u32 v16, s2, v3
	s_delay_alu instid0(VALU_DEP_1) | instskip(NEXT) | instid1(VALU_DEP_1)
	v_mul_hi_u32 v16, v3, v16
	v_add_nc_u32_e32 v3, v3, v16
	s_delay_alu instid0(VALU_DEP_1) | instskip(NEXT) | instid1(VALU_DEP_1)
	v_mul_hi_u32 v3, v0, v3
	v_mul_lo_u32 v16, v3, s4
	s_delay_alu instid0(VALU_DEP_1) | instskip(NEXT) | instid1(VALU_DEP_1)
	v_dual_add_nc_u32 v17, 1, v3 :: v_dual_sub_nc_u32 v16, v0, v16
	v_subrev_nc_u32_e32 v18, s4, v16
	v_cmp_le_u32_e32 vcc_lo, s4, v16
	s_delay_alu instid0(VALU_DEP_2) | instskip(NEXT) | instid1(VALU_DEP_1)
	v_dual_cndmask_b32 v16, v16, v18 :: v_dual_cndmask_b32 v3, v3, v17
	v_cmp_le_u32_e32 vcc_lo, s4, v16
	s_delay_alu instid0(VALU_DEP_2) | instskip(NEXT) | instid1(VALU_DEP_1)
	v_add_nc_u32_e32 v17, 1, v3
	v_cndmask_b32_e32 v24, v3, v17, vcc_lo
.LBB18_7:                               ;   in Loop: Header=BB18_3 Depth=1
	s_or_b32 exec_lo, exec_lo, s0
	s_delay_alu instid0(VALU_DEP_1) | instskip(SKIP_2) | instid1(VALU_DEP_1)
	v_mul_u64_e32 v[16:17], 3, v[24:25]
	v_mad_nc_u64_u32 v[22:23], s18, v24, v[0:1]
	s_and_not1_b32 vcc_lo, exec_lo, s1
	v_mad_u32 v3, s19, v24, v23
	s_delay_alu instid0(VALU_DEP_1) | instskip(NEXT) | instid1(VALU_DEP_4)
	v_mad_u32 v23, s18, v25, v3
	v_add_nc_u64_e32 v[26:27], 1, v[16:17]
	v_add_nc_u64_e32 v[28:29], 2, v[16:17]
	;; [unrolled: 1-line block ×3, first 2 shown]
	s_delay_alu instid0(VALU_DEP_4) | instskip(NEXT) | instid1(VALU_DEP_4)
	v_mul_u64_e32 v[24:25], s[10:11], v[22:23]
	v_mad_nc_u64_u32 v[20:21], s4, v26, v[0:1]
	s_delay_alu instid0(VALU_DEP_4) | instskip(NEXT) | instid1(VALU_DEP_4)
	v_mad_nc_u64_u32 v[18:19], s4, v28, v[0:1]
	v_mad_nc_u64_u32 v[16:17], s4, v30, v[0:1]
	s_delay_alu instid0(VALU_DEP_3) | instskip(NEXT) | instid1(VALU_DEP_3)
	v_mad_u32 v21, s5, v26, v21
	v_mad_u32 v19, s5, v28, v19
	s_delay_alu instid0(VALU_DEP_3) | instskip(NEXT) | instid1(VALU_DEP_3)
	v_mad_u32 v17, s5, v30, v17
	v_mad_u32 v21, s4, v27, v21
	;; [unrolled: 3-line block ×3, first 2 shown]
	v_lshl_add_u64 v[36:37], v[24:25], 3, s[8:9]
	s_delay_alu instid0(VALU_DEP_4) | instskip(NEXT) | instid1(VALU_DEP_4)
	v_mul_u64_e32 v[26:27], s[10:11], v[20:21]
	v_mul_u64_e32 v[28:29], s[10:11], v[18:19]
	s_delay_alu instid0(VALU_DEP_4) | instskip(NEXT) | instid1(VALU_DEP_3)
	v_mul_u64_e32 v[30:31], s[10:11], v[16:17]
	v_lshl_add_u64 v[40:41], v[26:27], 3, s[8:9]
	s_delay_alu instid0(VALU_DEP_3) | instskip(NEXT) | instid1(VALU_DEP_3)
	v_lshl_add_u64 v[42:43], v[28:29], 3, s[8:9]
	v_lshl_add_u64 v[30:31], v[30:31], 3, s[8:9]
	global_load_b64 v[34:35], v[6:7], off
	s_clause 0x3
	global_load_b64 v[26:27], v[36:37], off
	global_load_b64 v[24:25], v[40:41], off
	;; [unrolled: 1-line block ×5, first 2 shown]
	s_wait_xcnt 0x1
	v_mov_b64_e32 v[30:31], 0
	v_mov_b64_e32 v[36:37], 0
	s_cbranch_vccnz .LBB18_9
; %bb.8:                                ;   in Loop: Header=BB18_3 Depth=1
	global_load_b64 v[36:37], v[12:13], off
.LBB18_9:                               ;   in Loop: Header=BB18_3 Depth=1
	s_and_not1_b32 vcc_lo, exec_lo, s33
	s_cbranch_vccnz .LBB18_2
; %bb.10:                               ;   in Loop: Header=BB18_3 Depth=1
	global_load_b64 v[30:31], v[14:15], off
	s_branch .LBB18_2
.LBB18_11:
	s_endpgm
	.section	.rodata,"a",@progbits
	.p2align	6, 0x0
	.amdhsa_kernel _ZN2at6native12_GLOBAL__N_16kernel18lstm_cell_backwardIddlLi1EEEvNS_4cuda6detail10TensorInfoIT_T1_EES9_S9_S9_S9_S9_S9_S8_S8_
		.amdhsa_group_segment_fixed_size 0
		.amdhsa_private_segment_fixed_size 0
		.amdhsa_kernarg_size 3184
		.amdhsa_user_sgpr_count 2
		.amdhsa_user_sgpr_dispatch_ptr 0
		.amdhsa_user_sgpr_queue_ptr 0
		.amdhsa_user_sgpr_kernarg_segment_ptr 1
		.amdhsa_user_sgpr_dispatch_id 0
		.amdhsa_user_sgpr_kernarg_preload_length 0
		.amdhsa_user_sgpr_kernarg_preload_offset 0
		.amdhsa_user_sgpr_private_segment_size 0
		.amdhsa_wavefront_size32 1
		.amdhsa_uses_dynamic_stack 0
		.amdhsa_enable_private_segment 0
		.amdhsa_system_sgpr_workgroup_id_x 1
		.amdhsa_system_sgpr_workgroup_id_y 0
		.amdhsa_system_sgpr_workgroup_id_z 0
		.amdhsa_system_sgpr_workgroup_info 0
		.amdhsa_system_vgpr_workitem_id 0
		.amdhsa_next_free_vgpr 62
		.amdhsa_next_free_sgpr 53
		.amdhsa_named_barrier_count 0
		.amdhsa_reserve_vcc 1
		.amdhsa_float_round_mode_32 0
		.amdhsa_float_round_mode_16_64 0
		.amdhsa_float_denorm_mode_32 3
		.amdhsa_float_denorm_mode_16_64 3
		.amdhsa_fp16_overflow 0
		.amdhsa_memory_ordered 1
		.amdhsa_forward_progress 1
		.amdhsa_inst_pref_size 24
		.amdhsa_round_robin_scheduling 0
		.amdhsa_exception_fp_ieee_invalid_op 0
		.amdhsa_exception_fp_denorm_src 0
		.amdhsa_exception_fp_ieee_div_zero 0
		.amdhsa_exception_fp_ieee_overflow 0
		.amdhsa_exception_fp_ieee_underflow 0
		.amdhsa_exception_fp_ieee_inexact 0
		.amdhsa_exception_int_div_zero 0
	.end_amdhsa_kernel
	.section	.text._ZN2at6native12_GLOBAL__N_16kernel18lstm_cell_backwardIddlLi1EEEvNS_4cuda6detail10TensorInfoIT_T1_EES9_S9_S9_S9_S9_S9_S8_S8_,"axG",@progbits,_ZN2at6native12_GLOBAL__N_16kernel18lstm_cell_backwardIddlLi1EEEvNS_4cuda6detail10TensorInfoIT_T1_EES9_S9_S9_S9_S9_S9_S8_S8_,comdat
.Lfunc_end18:
	.size	_ZN2at6native12_GLOBAL__N_16kernel18lstm_cell_backwardIddlLi1EEEvNS_4cuda6detail10TensorInfoIT_T1_EES9_S9_S9_S9_S9_S9_S8_S8_, .Lfunc_end18-_ZN2at6native12_GLOBAL__N_16kernel18lstm_cell_backwardIddlLi1EEEvNS_4cuda6detail10TensorInfoIT_T1_EES9_S9_S9_S9_S9_S9_S8_S8_
                                        ; -- End function
	.set _ZN2at6native12_GLOBAL__N_16kernel18lstm_cell_backwardIddlLi1EEEvNS_4cuda6detail10TensorInfoIT_T1_EES9_S9_S9_S9_S9_S9_S8_S8_.num_vgpr, 62
	.set _ZN2at6native12_GLOBAL__N_16kernel18lstm_cell_backwardIddlLi1EEEvNS_4cuda6detail10TensorInfoIT_T1_EES9_S9_S9_S9_S9_S9_S8_S8_.num_agpr, 0
	.set _ZN2at6native12_GLOBAL__N_16kernel18lstm_cell_backwardIddlLi1EEEvNS_4cuda6detail10TensorInfoIT_T1_EES9_S9_S9_S9_S9_S9_S8_S8_.numbered_sgpr, 53
	.set _ZN2at6native12_GLOBAL__N_16kernel18lstm_cell_backwardIddlLi1EEEvNS_4cuda6detail10TensorInfoIT_T1_EES9_S9_S9_S9_S9_S9_S8_S8_.num_named_barrier, 0
	.set _ZN2at6native12_GLOBAL__N_16kernel18lstm_cell_backwardIddlLi1EEEvNS_4cuda6detail10TensorInfoIT_T1_EES9_S9_S9_S9_S9_S9_S8_S8_.private_seg_size, 0
	.set _ZN2at6native12_GLOBAL__N_16kernel18lstm_cell_backwardIddlLi1EEEvNS_4cuda6detail10TensorInfoIT_T1_EES9_S9_S9_S9_S9_S9_S8_S8_.uses_vcc, 1
	.set _ZN2at6native12_GLOBAL__N_16kernel18lstm_cell_backwardIddlLi1EEEvNS_4cuda6detail10TensorInfoIT_T1_EES9_S9_S9_S9_S9_S9_S8_S8_.uses_flat_scratch, 0
	.set _ZN2at6native12_GLOBAL__N_16kernel18lstm_cell_backwardIddlLi1EEEvNS_4cuda6detail10TensorInfoIT_T1_EES9_S9_S9_S9_S9_S9_S8_S8_.has_dyn_sized_stack, 0
	.set _ZN2at6native12_GLOBAL__N_16kernel18lstm_cell_backwardIddlLi1EEEvNS_4cuda6detail10TensorInfoIT_T1_EES9_S9_S9_S9_S9_S9_S8_S8_.has_recursion, 0
	.set _ZN2at6native12_GLOBAL__N_16kernel18lstm_cell_backwardIddlLi1EEEvNS_4cuda6detail10TensorInfoIT_T1_EES9_S9_S9_S9_S9_S9_S8_S8_.has_indirect_call, 0
	.section	.AMDGPU.csdata,"",@progbits
; Kernel info:
; codeLenInByte = 2968
; TotalNumSgprs: 55
; NumVgprs: 62
; ScratchSize: 0
; MemoryBound: 0
; FloatMode: 240
; IeeeMode: 1
; LDSByteSize: 0 bytes/workgroup (compile time only)
; SGPRBlocks: 0
; VGPRBlocks: 3
; NumSGPRsForWavesPerEU: 55
; NumVGPRsForWavesPerEU: 62
; NamedBarCnt: 0
; Occupancy: 16
; WaveLimiterHint : 1
; COMPUTE_PGM_RSRC2:SCRATCH_EN: 0
; COMPUTE_PGM_RSRC2:USER_SGPR: 2
; COMPUTE_PGM_RSRC2:TRAP_HANDLER: 0
; COMPUTE_PGM_RSRC2:TGID_X_EN: 1
; COMPUTE_PGM_RSRC2:TGID_Y_EN: 0
; COMPUTE_PGM_RSRC2:TGID_Z_EN: 0
; COMPUTE_PGM_RSRC2:TIDIG_COMP_CNT: 0
	.section	.text._ZN2at6native12_GLOBAL__N_16kernel18lstm_cell_backwardIddlLi2EEEvNS_4cuda6detail10TensorInfoIT_T1_EES9_S9_S9_S9_S9_S9_S8_S8_,"axG",@progbits,_ZN2at6native12_GLOBAL__N_16kernel18lstm_cell_backwardIddlLi2EEEvNS_4cuda6detail10TensorInfoIT_T1_EES9_S9_S9_S9_S9_S9_S8_S8_,comdat
	.globl	_ZN2at6native12_GLOBAL__N_16kernel18lstm_cell_backwardIddlLi2EEEvNS_4cuda6detail10TensorInfoIT_T1_EES9_S9_S9_S9_S9_S9_S8_S8_ ; -- Begin function _ZN2at6native12_GLOBAL__N_16kernel18lstm_cell_backwardIddlLi2EEEvNS_4cuda6detail10TensorInfoIT_T1_EES9_S9_S9_S9_S9_S9_S8_S8_
	.p2align	8
	.type	_ZN2at6native12_GLOBAL__N_16kernel18lstm_cell_backwardIddlLi2EEEvNS_4cuda6detail10TensorInfoIT_T1_EES9_S9_S9_S9_S9_S9_S8_S8_,@function
_ZN2at6native12_GLOBAL__N_16kernel18lstm_cell_backwardIddlLi2EEEvNS_4cuda6detail10TensorInfoIT_T1_EES9_S9_S9_S9_S9_S9_S8_S8_: ; @_ZN2at6native12_GLOBAL__N_16kernel18lstm_cell_backwardIddlLi2EEEvNS_4cuda6detail10TensorInfoIT_T1_EES9_S9_S9_S9_S9_S9_S8_S8_
; %bb.0:
	s_clause 0x1
	s_load_b32 s2, s[0:1], 0xb7c
	s_load_b128 s[4:7], s[0:1], 0xb60
	s_bfe_u32 s3, ttmp6, 0x4000c
	s_and_b32 s8, ttmp6, 15
	s_add_co_i32 s3, s3, 1
	s_getreg_b32 s9, hwreg(HW_REG_IB_STS2, 6, 4)
	s_mul_i32 s3, ttmp9, s3
	v_mov_b32_e32 v2, 0
	s_add_co_i32 s8, s8, s3
	s_delay_alu instid0(VALU_DEP_1)
	v_mov_b32_e32 v1, v2
	s_wait_kmcnt 0x0
	s_and_b32 s2, s2, 0xffff
	s_cmp_eq_u32 s9, 0
	s_cselect_b32 s3, ttmp9, s8
	s_mov_b32 s8, exec_lo
	v_mad_u32 v0, s3, s2, v0
	s_mov_b32 s3, 0
	s_delay_alu instid0(VALU_DEP_1)
	v_cmpx_gt_i64_e64 s[6:7], v[0:1]
	s_cbranch_execz .LBB19_64
; %bb.1:
	s_add_nc_u64 s[24:25], s[0:1], 0xb70
	s_clause 0x6
	s_load_b64 s[34:35], s[0:1], 0x680
	s_load_b64 s[40:41], s[0:1], 0x0
	;; [unrolled: 1-line block ×3, first 2 shown]
	s_load_b128 s[8:11], s[0:1], 0x750
	s_load_b64 s[44:45], s[0:1], 0x820
	s_load_b128 s[12:15], s[0:1], 0xd0
	s_load_b64 s[46:47], s[0:1], 0x1a0
	s_load_b32 s66, s[24:25], 0x0
	s_clause 0x6
	s_load_b64 s[48:49], s[0:1], 0x340
	s_load_b64 s[50:51], s[0:1], 0x350
	;; [unrolled: 1-line block ×3, first 2 shown]
	s_load_b128 s[16:19], s[0:1], 0x270
	s_load_b128 s[20:23], s[0:1], 0x410
	s_load_b64 s[54:55], s[0:1], 0x4e0
	s_load_b64 s[56:57], s[0:1], 0x4f0
                                        ; kill: killed $sgpr24_sgpr25
	s_wait_xcnt 0x0
	s_clause 0x6
	s_load_b128 s[24:27], s[0:1], 0x5b0
	s_load_b64 s[58:59], s[0:1], 0x690
	s_load_b64 s[60:61], s[0:1], 0x9c0
	;; [unrolled: 1-line block ×4, first 2 shown]
	s_load_b128 s[28:31], s[0:1], 0x8f0
	s_load_b128 s[36:39], s[0:1], 0xa90
	v_mov_b64_e32 v[4:5], 0x3e928af3fca7ab0c
	s_wait_kmcnt 0x0
	s_cmp_lg_u64 s[34:35], 0
	s_mov_b32 s67, s3
	s_cselect_b32 s1, -1, 0
	s_cmp_lg_u64 s[44:45], 0
	s_mul_i32 s66, s66, s2
	s_cselect_b32 s33, -1, 0
	s_mul_u64 s[68:69], s[4:5], 3
	s_sub_nc_u64 s[70:71], 0, s[50:51]
	s_mov_b64 s[72:73], 0xffffffff
	s_mov_b64 s[74:75], 0x3ff71547652b82fe
	;; [unrolled: 1-line block ×3, first 2 shown]
	s_sub_nc_u64 s[78:79], 0, s[56:57]
	s_mov_b32 s90, 0
	s_sub_nc_u64 s[82:83], 0, s[58:59]
                                        ; implicit-def: $vgpr6_vgpr7
                                        ; implicit-def: $vgpr6_vgpr7
	;; [unrolled: 1-line block ×8, first 2 shown]
	s_sub_nc_u64 s[80:81], 0, s[62:63]
	s_sub_nc_u64 s[84:85], 0, s[64:65]
	s_branch .LBB19_4
.LBB19_2:                               ;   in Loop: Header=BB19_4 Depth=1
	s_or_b32 exec_lo, exec_lo, s0
	s_delay_alu instid0(VALU_DEP_1) | instskip(NEXT) | instid1(VALU_DEP_1)
	v_mad_nc_u64_u32 v[40:41], s84, v38, v[0:1]
	v_mad_u32 v3, s85, v38, v41
	s_delay_alu instid0(VALU_DEP_1) | instskip(SKIP_1) | instid1(VALU_DEP_2)
	v_mad_u32 v41, s84, v39, v3
	v_mul_u64_e32 v[38:39], s[28:29], v[38:39]
	v_mul_u64_e32 v[40:41], s[30:31], v[40:41]
	s_delay_alu instid0(VALU_DEP_2) | instskip(NEXT) | instid1(VALU_DEP_1)
	v_lshl_add_u64 v[38:39], v[38:39], 3, s[44:45]
	v_lshl_add_u64 v[38:39], v[40:41], 3, v[38:39]
	global_load_b64 v[38:39], v[38:39], off
.LBB19_3:                               ;   in Loop: Header=BB19_4 Depth=1
	s_wait_loadcnt 0x0
	v_mul_f64_e64 v[40:41], |v[32:33]|, s[74:75]
	v_cmp_nlt_f64_e64 vcc_lo, 0x40331000, |v[32:33]|
	s_delay_alu instid0(VALU_DEP_2) | instskip(NEXT) | instid1(VALU_DEP_1)
	v_rndne_f64_e32 v[40:41], v[40:41]
	v_fma_f64 v[42:43], v[40:41], s[76:77], |v[32:33]|
	v_mul_f64_e32 v[44:45], 0xbd53de6af278e000, v[40:41]
	v_cvt_i32_f64_e32 v3, v[40:41]
	s_delay_alu instid0(VALU_DEP_3) | instskip(NEXT) | instid1(VALU_DEP_1)
	v_add_f64_e32 v[46:47], 0, v[42:43]
	v_add_f64_e32 v[48:49], v[46:47], v[44:45]
	v_add_f64_e64 v[42:43], v[42:43], -v[46:47]
	s_delay_alu instid0(VALU_DEP_2) | instskip(NEXT) | instid1(VALU_DEP_2)
	v_add_f64_e64 v[46:47], v[46:47], -v[48:49]
	v_add_f64_e32 v[42:43], 0, v[42:43]
	s_delay_alu instid0(VALU_DEP_2) | instskip(NEXT) | instid1(VALU_DEP_1)
	v_add_f64_e32 v[44:45], v[46:47], v[44:45]
	v_add_f64_e32 v[42:43], v[42:43], v[44:45]
	v_mul_f64_e32 v[44:45], 0xbac9cc01f97b57a0, v[40:41]
	s_delay_alu instid0(VALU_DEP_2) | instskip(NEXT) | instid1(VALU_DEP_1)
	v_add_f64_e32 v[46:47], v[48:49], v[42:43]
	v_add_f64_e32 v[50:51], v[46:47], v[44:45]
	v_add_f64_e64 v[48:49], v[48:49], -v[46:47]
	s_delay_alu instid0(VALU_DEP_2) | instskip(NEXT) | instid1(VALU_DEP_2)
	v_add_f64_e64 v[46:47], v[46:47], -v[50:51]
	v_add_f64_e32 v[42:43], v[42:43], v[48:49]
	s_delay_alu instid0(VALU_DEP_2) | instskip(NEXT) | instid1(VALU_DEP_1)
	v_add_f64_e32 v[44:45], v[46:47], v[44:45]
	v_add_f64_e32 v[42:43], v[42:43], v[44:45]
	s_delay_alu instid0(VALU_DEP_1) | instskip(NEXT) | instid1(VALU_DEP_1)
	v_add_f64_e32 v[44:45], v[50:51], v[42:43]
	v_add_f64_e64 v[46:47], v[50:51], -v[44:45]
	v_mul_f64_e32 v[48:49], v[44:45], v[44:45]
	s_delay_alu instid0(VALU_DEP_2) | instskip(NEXT) | instid1(VALU_DEP_2)
	v_add_f64_e32 v[42:43], v[42:43], v[46:47]
	v_fma_f64 v[46:47], v[44:45], v[44:45], -v[48:49]
	s_delay_alu instid0(VALU_DEP_2) | instskip(NEXT) | instid1(VALU_DEP_1)
	v_add_f64_e32 v[50:51], v[42:43], v[42:43]
	v_fmac_f64_e32 v[46:47], v[44:45], v[50:51]
	v_fmamk_f64 v[50:51], v[44:45], 0x3e5ade156a5dcb37, v[4:5]
	s_delay_alu instid0(VALU_DEP_1) | instskip(NEXT) | instid1(VALU_DEP_1)
	v_fmaak_f64 v[50:51], v[44:45], v[50:51], 0x3ec71dee623fde64
	v_fmaak_f64 v[50:51], v[44:45], v[50:51], 0x3efa01997c89e6b0
	s_delay_alu instid0(VALU_DEP_1) | instskip(NEXT) | instid1(VALU_DEP_1)
	v_fmaak_f64 v[50:51], v[44:45], v[50:51], 0x3f2a01a014761f6e
	v_fmaak_f64 v[50:51], v[44:45], v[50:51], 0x3f56c16c1852b7b0
	v_add_f64_e32 v[52:53], v[48:49], v[46:47]
	s_delay_alu instid0(VALU_DEP_2) | instskip(NEXT) | instid1(VALU_DEP_1)
	v_fmaak_f64 v[50:51], v[44:45], v[50:51], 0x3f81111111122322
	v_fmaak_f64 v[50:51], v[44:45], v[50:51], 0x3fa55555555502a1
	s_delay_alu instid0(VALU_DEP_1) | instskip(NEXT) | instid1(VALU_DEP_1)
	v_fmaak_f64 v[50:51], v[44:45], v[50:51], 0x3fc5555555555511
	v_fmaak_f64 v[50:51], v[44:45], v[50:51], 0x3fe000000000000b
	v_add_f64_e64 v[48:49], v[52:53], -v[48:49]
	s_delay_alu instid0(VALU_DEP_2) | instskip(NEXT) | instid1(VALU_DEP_2)
	v_mul_f64_e32 v[54:55], v[52:53], v[50:51]
	v_add_f64_e64 v[46:47], v[46:47], -v[48:49]
	s_delay_alu instid0(VALU_DEP_2) | instskip(NEXT) | instid1(VALU_DEP_1)
	v_fma_f64 v[48:49], v[52:53], v[50:51], -v[54:55]
	v_fmac_f64_e32 v[48:49], v[46:47], v[50:51]
	s_delay_alu instid0(VALU_DEP_1) | instskip(NEXT) | instid1(VALU_DEP_1)
	v_add_f64_e32 v[46:47], v[54:55], v[48:49]
	v_add_f64_e32 v[50:51], v[44:45], v[46:47]
	v_add_f64_e64 v[52:53], v[46:47], -v[54:55]
	s_delay_alu instid0(VALU_DEP_2) | instskip(NEXT) | instid1(VALU_DEP_2)
	v_add_f64_e64 v[44:45], v[50:51], -v[44:45]
	v_add_f64_e64 v[48:49], v[48:49], -v[52:53]
	s_delay_alu instid0(VALU_DEP_2) | instskip(NEXT) | instid1(VALU_DEP_2)
	v_add_f64_e64 v[44:45], v[46:47], -v[44:45]
	v_add_f64_e32 v[42:43], v[42:43], v[48:49]
	s_delay_alu instid0(VALU_DEP_1) | instskip(NEXT) | instid1(VALU_DEP_1)
	v_add_f64_e32 v[42:43], v[42:43], v[44:45]
	v_add_f64_e32 v[44:45], v[50:51], v[42:43]
	s_delay_alu instid0(VALU_DEP_1) | instskip(SKIP_1) | instid1(VALU_DEP_2)
	v_add_f64_e32 v[46:47], 1.0, v[44:45]
	v_add_f64_e64 v[48:49], v[44:45], -v[50:51]
	v_add_f64_e32 v[50:51], -1.0, v[46:47]
	s_delay_alu instid0(VALU_DEP_2) | instskip(NEXT) | instid1(VALU_DEP_2)
	v_add_f64_e64 v[42:43], v[42:43], -v[48:49]
	v_add_f64_e64 v[44:45], v[44:45], -v[50:51]
	s_delay_alu instid0(VALU_DEP_1) | instskip(NEXT) | instid1(VALU_DEP_1)
	v_add_f64_e32 v[42:43], v[42:43], v[44:45]
	v_add_f64_e32 v[40:41], v[46:47], v[42:43]
	s_delay_alu instid0(VALU_DEP_1) | instskip(SKIP_1) | instid1(VALU_DEP_2)
	v_ldexp_f64 v[44:45], v[40:41], v3
	v_add_f64_e64 v[40:41], v[40:41], -v[46:47]
	v_rcp_f64_e32 v[48:49], v[44:45]
	s_delay_alu instid0(VALU_DEP_1) | instskip(NEXT) | instid1(VALU_DEP_1)
	v_add_f64_e64 v[40:41], v[42:43], -v[40:41]
	v_ldexp_f64 v[40:41], v[40:41], v3
	s_delay_alu instid0(TRANS32_DEP_1) | instskip(NEXT) | instid1(VALU_DEP_1)
	v_fma_f64 v[50:51], -v[44:45], v[48:49], 1.0
	v_fmac_f64_e32 v[48:49], v[50:51], v[48:49]
	s_delay_alu instid0(VALU_DEP_1) | instskip(NEXT) | instid1(VALU_DEP_1)
	v_fma_f64 v[50:51], -v[44:45], v[48:49], 1.0
	v_fmac_f64_e32 v[48:49], v[50:51], v[48:49]
	s_delay_alu instid0(VALU_DEP_1) | instskip(NEXT) | instid1(VALU_DEP_1)
	v_mul_f64_e32 v[42:43], v[44:45], v[48:49]
	v_fma_f64 v[46:47], v[48:49], v[44:45], -v[42:43]
	s_delay_alu instid0(VALU_DEP_1) | instskip(NEXT) | instid1(VALU_DEP_1)
	v_fmac_f64_e32 v[46:47], v[48:49], v[40:41]
	v_add_f64_e32 v[50:51], v[42:43], v[46:47]
	s_delay_alu instid0(VALU_DEP_1) | instskip(SKIP_1) | instid1(VALU_DEP_2)
	v_add_f64_e64 v[52:53], -v[50:51], 1.0
	v_add_f64_e64 v[42:43], v[50:51], -v[42:43]
	v_add_f64_e64 v[54:55], -v[52:53], 1.0
	s_delay_alu instid0(VALU_DEP_2) | instskip(NEXT) | instid1(VALU_DEP_2)
	v_add_f64_e64 v[42:43], v[42:43], -v[46:47]
	v_add_f64_e64 v[46:47], v[54:55], -v[50:51]
	s_delay_alu instid0(VALU_DEP_1) | instskip(NEXT) | instid1(VALU_DEP_1)
	v_add_f64_e32 v[42:43], v[42:43], v[46:47]
	v_add_f64_e32 v[46:47], v[52:53], v[42:43]
	s_delay_alu instid0(VALU_DEP_1) | instskip(SKIP_1) | instid1(VALU_DEP_2)
	v_mul_f64_e32 v[50:51], v[48:49], v[46:47]
	v_add_f64_e64 v[52:53], v[52:53], -v[46:47]
	v_mul_f64_e32 v[54:55], v[44:45], v[50:51]
	s_delay_alu instid0(VALU_DEP_2) | instskip(NEXT) | instid1(VALU_DEP_2)
	v_add_f64_e32 v[42:43], v[42:43], v[52:53]
	v_fma_f64 v[56:57], v[50:51], v[44:45], -v[54:55]
	s_delay_alu instid0(VALU_DEP_1) | instskip(NEXT) | instid1(VALU_DEP_1)
	v_fmac_f64_e32 v[56:57], v[50:51], v[40:41]
	v_add_f64_e32 v[58:59], v[54:55], v[56:57]
	s_delay_alu instid0(VALU_DEP_1) | instskip(SKIP_1) | instid1(VALU_DEP_2)
	v_add_f64_e64 v[60:61], v[46:47], -v[58:59]
	v_add_f64_e64 v[52:53], v[58:59], -v[54:55]
	;; [unrolled: 1-line block ×3, first 2 shown]
	s_delay_alu instid0(VALU_DEP_2) | instskip(NEXT) | instid1(VALU_DEP_2)
	v_add_f64_e64 v[52:53], v[52:53], -v[56:57]
	v_add_f64_e64 v[46:47], v[46:47], -v[58:59]
	s_delay_alu instid0(VALU_DEP_1) | instskip(SKIP_1) | instid1(VALU_DEP_2)
	v_add_f64_e32 v[42:43], v[42:43], v[46:47]
	v_add_f64_e32 v[46:47], v[48:49], v[50:51]
	;; [unrolled: 1-line block ×3, first 2 shown]
	s_delay_alu instid0(VALU_DEP_2) | instskip(NEXT) | instid1(VALU_DEP_2)
	v_add_f64_e64 v[52:53], v[46:47], -v[48:49]
	v_add_f64_e32 v[42:43], v[60:61], v[42:43]
	s_delay_alu instid0(VALU_DEP_2) | instskip(NEXT) | instid1(VALU_DEP_2)
	v_add_f64_e64 v[50:51], v[50:51], -v[52:53]
	v_mul_f64_e32 v[42:43], v[48:49], v[42:43]
	s_delay_alu instid0(VALU_DEP_1) | instskip(NEXT) | instid1(VALU_DEP_1)
	v_add_f64_e32 v[42:43], v[50:51], v[42:43]
	v_add_f64_e32 v[48:49], v[46:47], v[42:43]
	s_delay_alu instid0(VALU_DEP_1) | instskip(SKIP_2) | instid1(VALU_DEP_3)
	v_add_f64_e32 v[50:51], v[44:45], v[48:49]
	v_add_f64_e64 v[46:47], v[48:49], -v[46:47]
	v_add_f64_e64 v[54:55], v[44:45], -v[48:49]
	;; [unrolled: 1-line block ×3, first 2 shown]
	s_delay_alu instid0(VALU_DEP_3) | instskip(NEXT) | instid1(VALU_DEP_3)
	v_add_f64_e64 v[42:43], v[42:43], -v[46:47]
	v_add_f64_e64 v[44:45], v[44:45], -v[54:55]
	s_delay_alu instid0(VALU_DEP_3) | instskip(NEXT) | instid1(VALU_DEP_3)
	v_add_f64_e64 v[46:47], v[48:49], -v[52:53]
	v_add_f64_e32 v[52:53], v[40:41], v[42:43]
	s_delay_alu instid0(VALU_DEP_3) | instskip(NEXT) | instid1(VALU_DEP_2)
	v_add_f64_e64 v[44:45], v[44:45], -v[48:49]
	v_add_f64_e32 v[46:47], v[52:53], v[46:47]
	s_delay_alu instid0(VALU_DEP_2) | instskip(NEXT) | instid1(VALU_DEP_2)
	v_add_f64_e32 v[40:41], v[40:41], v[44:45]
	v_add_f64_e32 v[52:53], v[50:51], v[46:47]
	s_delay_alu instid0(VALU_DEP_2) | instskip(NEXT) | instid1(VALU_DEP_2)
	v_add_f64_e64 v[40:41], v[40:41], -v[42:43]
	v_rcp_f64_e32 v[56:57], v[52:53]
	s_delay_alu instid0(VALU_DEP_1) | instskip(NEXT) | instid1(TRANS32_DEP_1)
	v_add_f64_e32 v[44:45], v[54:55], v[40:41]
	v_fma_f64 v[48:49], -v[52:53], v[56:57], 1.0
	s_delay_alu instid0(VALU_DEP_1) | instskip(SKIP_1) | instid1(VALU_DEP_2)
	v_fmac_f64_e32 v[56:57], v[48:49], v[56:57]
	v_add_f64_e64 v[48:49], v[52:53], -v[50:51]
	v_fma_f64 v[42:43], -v[52:53], v[56:57], 1.0
	s_delay_alu instid0(VALU_DEP_2) | instskip(NEXT) | instid1(VALU_DEP_2)
	v_add_f64_e64 v[46:47], v[46:47], -v[48:49]
	v_fmac_f64_e32 v[56:57], v[42:43], v[56:57]
	s_delay_alu instid0(VALU_DEP_1) | instskip(NEXT) | instid1(VALU_DEP_1)
	v_mul_f64_e32 v[42:43], v[44:45], v[56:57]
	v_mul_f64_e32 v[50:51], v[52:53], v[42:43]
	s_delay_alu instid0(VALU_DEP_1) | instskip(NEXT) | instid1(VALU_DEP_1)
	v_fma_f64 v[48:49], v[42:43], v[52:53], -v[50:51]
	v_fmac_f64_e32 v[48:49], v[42:43], v[46:47]
	s_delay_alu instid0(VALU_DEP_1) | instskip(NEXT) | instid1(VALU_DEP_1)
	v_add_f64_e32 v[46:47], v[50:51], v[48:49]
	v_add_f64_e64 v[52:53], v[44:45], -v[46:47]
	v_add_f64_e64 v[50:51], v[46:47], -v[50:51]
	s_delay_alu instid0(VALU_DEP_2) | instskip(SKIP_1) | instid1(VALU_DEP_3)
	v_add_f64_e64 v[58:59], v[44:45], -v[52:53]
	v_add_f64_e64 v[44:45], v[44:45], -v[54:55]
	;; [unrolled: 1-line block ×3, first 2 shown]
	v_mul_u64_e32 v[50:51], s[52:53], v[26:27]
	v_mad_nc_u64_u32 v[54:55], s80, v34, v[0:1]
	v_mul_u64_e32 v[26:27], s[16:17], v[26:27]
	v_add_f64_e64 v[46:47], v[58:59], -v[46:47]
	v_add_f64_e64 v[40:41], v[40:41], -v[44:45]
	v_sub_nc_u64_e32 v[14:15], v[14:15], v[50:51]
	s_delay_alu instid0(VALU_DEP_4) | instskip(NEXT) | instid1(VALU_DEP_2)
	v_lshl_add_u64 v[26:27], v[26:27], 3, s[46:47]
	v_add_nc_u64_e32 v[14:15], v[0:1], v[14:15]
	s_delay_alu instid0(VALU_DEP_1)
	v_mul_u64_e32 v[14:15], s[18:19], v[14:15]
	v_add_f64_e64 v[44:45], v[46:47], -v[48:49]
	v_add_f64_e64 v[46:47], -v[20:21], 1.0
	v_mul_u64_e32 v[48:49], s[52:53], v[24:25]
	v_mul_u64_e32 v[24:25], s[16:17], v[24:25]
	v_lshl_add_u64 v[14:15], v[14:15], 3, v[26:27]
	v_add_f64_e32 v[40:41], v[40:41], v[44:45]
	s_delay_alu instid0(VALU_DEP_4) | instskip(NEXT) | instid1(VALU_DEP_4)
	v_sub_nc_u64_e32 v[10:11], v[10:11], v[48:49]
	v_lshl_add_u64 v[24:25], v[24:25], 3, s[46:47]
	s_delay_alu instid0(VALU_DEP_2) | instskip(NEXT) | instid1(VALU_DEP_1)
	v_add_nc_u64_e32 v[10:11], v[0:1], v[10:11]
	v_mul_u64_e32 v[10:11], s[18:19], v[10:11]
	v_add_f64_e32 v[40:41], v[52:53], v[40:41]
	v_mul_u64_e32 v[52:53], s[52:53], v[28:29]
	v_mul_u64_e32 v[28:29], s[16:17], v[28:29]
	s_delay_alu instid0(VALU_DEP_4) | instskip(NEXT) | instid1(VALU_DEP_4)
	v_lshl_add_u64 v[10:11], v[10:11], 3, v[24:25]
	v_mul_f64_e32 v[40:41], v[56:57], v[40:41]
	s_delay_alu instid0(VALU_DEP_4) | instskip(NEXT) | instid1(VALU_DEP_4)
	v_sub_nc_u64_e32 v[16:17], v[16:17], v[52:53]
	v_lshl_add_u64 v[28:29], v[28:29], 3, s[46:47]
	s_delay_alu instid0(VALU_DEP_2) | instskip(NEXT) | instid1(VALU_DEP_1)
	v_add_nc_u64_e32 v[16:17], v[0:1], v[16:17]
	v_mul_u64_e32 v[16:17], s[18:19], v[16:17]
	v_add_f64_e32 v[40:41], v[42:43], v[40:41]
	s_delay_alu instid0(VALU_DEP_2) | instskip(NEXT) | instid1(VALU_DEP_2)
	v_lshl_add_u64 v[16:17], v[16:17], 3, v[28:29]
	v_cndmask_b32_e32 v3, 0x3ff00000, v41, vcc_lo
	s_delay_alu instid0(VALU_DEP_3) | instskip(SKIP_2) | instid1(VALU_DEP_1)
	v_cndmask_b32_e32 v40, 0, v40, vcc_lo
	v_cmp_gt_f64_e64 vcc_lo, 0x3e400000, |v[32:33]|
	v_and_b32_e32 v41, 0x7fffffff, v33
	v_dual_cndmask_b32 v3, v3, v41 :: v_dual_cndmask_b32 v32, v40, v32
	v_mul_f64_e32 v[40:41], v[20:21], v[36:37]
	s_delay_alu instid0(VALU_DEP_2) | instskip(SKIP_1) | instid1(VALU_DEP_2)
	v_bfi_b32 v33, 0x7fffffff, v3, v33
	v_mad_u32 v3, s81, v34, v55
	v_fma_f64 v[42:43], -v[32:33], v[32:33], 1.0
	v_mul_f64_e32 v[32:33], v[32:33], v[36:37]
	s_wait_xcnt 0x0
	v_mul_u64_e32 v[36:37], s[52:53], v[22:23]
	v_mul_u64_e32 v[22:23], s[16:17], v[22:23]
	v_mad_u32 v55, s80, v35, v3
	v_fmac_f64_e32 v[38:39], v[42:43], v[40:41]
	v_add_f64_e64 v[40:41], -v[8:9], 1.0
	v_add_f64_e64 v[42:43], -v[12:13], 1.0
	v_mul_f64_e32 v[32:33], v[46:47], v[32:33]
	v_sub_nc_u64_e32 v[6:7], v[6:7], v[36:37]
	v_lshl_add_u64 v[22:23], v[22:23], 3, s[46:47]
	s_delay_alu instid0(VALU_DEP_2) | instskip(SKIP_1) | instid1(VALU_DEP_2)
	v_add_nc_u64_e32 v[6:7], v[0:1], v[6:7]
	v_add_nc_u64_e32 v[0:1], s[66:67], v[0:1]
	v_mul_u64_e32 v[6:7], s[18:19], v[6:7]
	s_delay_alu instid0(VALU_DEP_2)
	v_cmp_le_i64_e32 vcc_lo, s[6:7], v[0:1]
	s_or_b32 s90, vcc_lo, s90
	v_mul_f64_e32 v[44:45], v[18:19], v[38:39]
	v_mul_f64_e32 v[30:31], v[30:31], v[38:39]
	v_fma_f64 v[18:19], -v[18:19], v[18:19], 1.0
	v_mul_f64_e32 v[20:21], v[20:21], v[32:33]
	v_lshl_add_u64 v[6:7], v[6:7], 3, v[22:23]
	v_mul_f64_e32 v[40:41], v[40:41], v[44:45]
	v_mul_f64_e32 v[30:31], v[42:43], v[30:31]
	;; [unrolled: 1-line block ×3, first 2 shown]
	v_mul_u64_e32 v[44:45], s[36:37], v[34:35]
	v_mul_u64_e32 v[34:35], s[38:39], v[54:55]
	v_mul_f64_e32 v[8:9], v[8:9], v[40:41]
	v_mul_f64_e32 v[30:31], v[12:13], v[30:31]
	;; [unrolled: 1-line block ×4, first 2 shown]
	v_lshl_add_u64 v[32:33], v[44:45], 3, s[60:61]
	s_delay_alu instid0(VALU_DEP_1)
	v_lshl_add_u64 v[22:23], v[34:35], 3, v[32:33]
	s_clause 0x3
	global_store_b64 v[6:7], v[8:9], off
	global_store_b64 v[10:11], v[30:31], off
	;; [unrolled: 1-line block ×5, first 2 shown]
	s_wait_xcnt 0x0
	s_and_not1_b32 exec_lo, exec_lo, s90
	s_cbranch_execz .LBB19_64
.LBB19_4:                               ; =>This Inner Loop Header: Depth=1
	v_or_b32_e32 v3, s5, v1
                                        ; implicit-def: $vgpr10_vgpr11
	s_mov_b32 s0, exec_lo
	s_delay_alu instid0(VALU_DEP_1)
	v_cmpx_ne_u64_e32 0, v[2:3]
	s_xor_b32 s91, exec_lo, s0
	s_cbranch_execz .LBB19_6
; %bb.5:                                ;   in Loop: Header=BB19_4 Depth=1
	s_ashr_i32 s86, s5, 31
	v_dual_mov_b32 v11, v2 :: v_dual_ashrrev_i32 v6, 31, v1
	s_mov_b32 s87, s86
	v_mov_b32_e32 v19, v2
	s_add_nc_u64 s[88:89], s[4:5], s[86:87]
	s_delay_alu instid0(VALU_DEP_2) | instskip(SKIP_1) | instid1(SALU_CYCLE_1)
	v_mov_b32_e32 v7, v6
	s_xor_b64 s[88:89], s[88:89], s[86:87]
	s_cvt_f32_u32 s0, s88
	s_cvt_f32_u32 s2, s89
	s_sub_nc_u64 s[94:95], 0, s[88:89]
	v_add_nc_u64_e32 v[8:9], v[0:1], v[6:7]
	v_mov_b32_e32 v15, v2
	s_fmamk_f32 s0, s2, 0x4f800000, s0
	s_delay_alu instid0(SALU_CYCLE_3) | instskip(NEXT) | instid1(VALU_DEP_2)
	v_s_rcp_f32 s0, s0
	v_xor_b32_e32 v10, v8, v6
	s_delay_alu instid0(VALU_DEP_3) | instskip(NEXT) | instid1(TRANS32_DEP_1)
	v_xor_b32_e32 v14, v9, v6
	s_mul_f32 s0, s0, 0x5f7ffffc
	s_delay_alu instid0(SALU_CYCLE_3) | instskip(NEXT) | instid1(SALU_CYCLE_3)
	s_mul_f32 s2, s0, 0x2f800000
	s_trunc_f32 s2, s2
	s_delay_alu instid0(SALU_CYCLE_3) | instskip(SKIP_1) | instid1(SALU_CYCLE_2)
	s_fmamk_f32 s0, s2, 0xcf800000, s0
	s_cvt_u32_f32 s93, s2
	s_cvt_u32_f32 s92, s0
	s_delay_alu instid0(SALU_CYCLE_3) | instskip(NEXT) | instid1(SALU_CYCLE_1)
	s_mul_u64 s[96:97], s[94:95], s[92:93]
	s_mul_hi_u32 s99, s92, s97
	s_mul_i32 s98, s92, s97
	s_mul_hi_u32 s2, s92, s96
	s_mul_i32 s87, s93, s96
	s_add_nc_u64 s[98:99], s[2:3], s[98:99]
	s_mul_hi_u32 s0, s93, s96
	s_mul_hi_u32 s100, s93, s97
	s_add_co_u32 s2, s98, s87
	s_add_co_ci_u32 s2, s99, s0
	s_mul_i32 s96, s93, s97
	s_add_co_ci_u32 s97, s100, 0
	s_delay_alu instid0(SALU_CYCLE_1) | instskip(NEXT) | instid1(SALU_CYCLE_1)
	s_add_nc_u64 s[96:97], s[2:3], s[96:97]
	s_add_co_u32 s92, s92, s96
	s_cselect_b32 s0, -1, 0
	s_delay_alu instid0(SALU_CYCLE_1) | instskip(SKIP_1) | instid1(SALU_CYCLE_1)
	s_cmp_lg_u32 s0, 0
	s_add_co_ci_u32 s93, s93, s97
	s_mul_u64 s[94:95], s[94:95], s[92:93]
	s_delay_alu instid0(SALU_CYCLE_1)
	s_mul_hi_u32 s97, s92, s95
	s_mul_i32 s96, s92, s95
	s_mul_hi_u32 s2, s92, s94
	s_mul_i32 s87, s93, s94
	s_add_nc_u64 s[96:97], s[2:3], s[96:97]
	s_mul_hi_u32 s0, s93, s94
	s_mul_hi_u32 s98, s93, s95
	s_add_co_u32 s2, s96, s87
	s_add_co_ci_u32 s2, s97, s0
	s_mul_i32 s94, s93, s95
	s_add_co_ci_u32 s95, s98, 0
	s_delay_alu instid0(SALU_CYCLE_1) | instskip(NEXT) | instid1(SALU_CYCLE_1)
	s_add_nc_u64 s[94:95], s[2:3], s[94:95]
	s_add_co_u32 s0, s92, s94
	s_cselect_b32 s2, -1, 0
	v_mul_hi_u32 v18, v10, s0
	s_cmp_lg_u32 s2, 0
	s_add_co_ci_u32 s2, s93, s95
	s_and_b64 s[92:93], s[0:1], s[72:73]
	v_mul_u64_e32 v[12:13], s[2:3], v[10:11]
	v_mul_u64_e32 v[8:9], s[92:93], v[14:15]
	;; [unrolled: 1-line block ×3, first 2 shown]
	s_delay_alu instid0(VALU_DEP_3) | instskip(NEXT) | instid1(VALU_DEP_1)
	v_add_nc_u64_e32 v[12:13], v[18:19], v[12:13]
	v_add_co_u32 v3, vcc_lo, v12, v8
	s_delay_alu instid0(VALU_DEP_2) | instskip(NEXT) | instid1(VALU_DEP_4)
	v_add_co_ci_u32_e32 v18, vcc_lo, v13, v9, vcc_lo
	v_add_co_ci_u32_e32 v17, vcc_lo, 0, v17, vcc_lo
	s_delay_alu instid0(VALU_DEP_1) | instskip(NEXT) | instid1(VALU_DEP_1)
	v_add_nc_u64_e32 v[8:9], v[18:19], v[16:17]
	v_mul_u64_e32 v[12:13], s[88:89], v[8:9]
	s_delay_alu instid0(VALU_DEP_1) | instskip(NEXT) | instid1(VALU_DEP_2)
	v_sub_nc_u32_e32 v3, v14, v13
	v_sub_co_u32 v7, vcc_lo, v10, v12
	s_delay_alu instid0(VALU_DEP_1) | instskip(NEXT) | instid1(VALU_DEP_3)
	v_sub_co_ci_u32_e64 v14, null, v14, v13, vcc_lo
	v_subrev_co_ci_u32_e64 v3, null, s89, v3, vcc_lo
	s_delay_alu instid0(VALU_DEP_3) | instskip(SKIP_1) | instid1(VALU_DEP_3)
	v_sub_co_u32 v10, s0, v7, s88
	v_add_nc_u64_e32 v[12:13], 1, v[8:9]
	v_subrev_co_ci_u32_e64 v3, null, 0, v3, s0
	s_delay_alu instid0(VALU_DEP_3) | instskip(SKIP_1) | instid1(VALU_DEP_3)
	v_cmp_le_u32_e32 vcc_lo, s88, v10
	v_cndmask_b32_e64 v10, 0, -1, vcc_lo
	v_cmp_le_u32_e32 vcc_lo, s89, v3
	v_cndmask_b32_e64 v11, 0, -1, vcc_lo
	;; [unrolled: 2-line block ×4, first 2 shown]
	v_cmp_eq_u32_e32 vcc_lo, s89, v3
	v_cndmask_b32_e32 v3, v11, v10, vcc_lo
	v_cmp_eq_u32_e32 vcc_lo, s89, v14
	v_add_nc_u64_e32 v[10:11], 2, v[8:9]
	v_cndmask_b32_e32 v7, v15, v7, vcc_lo
	s_delay_alu instid0(VALU_DEP_4) | instskip(NEXT) | instid1(VALU_DEP_2)
	v_cmp_ne_u32_e32 vcc_lo, 0, v3
	v_cmp_ne_u32_e64 s0, 0, v7
	s_delay_alu instid0(VALU_DEP_4) | instskip(NEXT) | instid1(VALU_DEP_1)
	v_dual_cndmask_b32 v3, v13, v11, vcc_lo :: v_dual_cndmask_b32 v7, v12, v10, vcc_lo
	v_dual_cndmask_b32 v3, v9, v3, s0 :: v_dual_bitop2_b32 v6, s86, v6 bitop3:0x14
	s_delay_alu instid0(VALU_DEP_1) | instskip(NEXT) | instid1(VALU_DEP_2)
	v_dual_cndmask_b32 v8, v8, v7, s0 :: v_dual_mov_b32 v7, v6
	v_xor_b32_e32 v9, v3, v6
	s_delay_alu instid0(VALU_DEP_2) | instskip(NEXT) | instid1(VALU_DEP_1)
	v_xor_b32_e32 v8, v8, v6
	v_sub_nc_u64_e32 v[10:11], v[8:9], v[6:7]
.LBB19_6:                               ;   in Loop: Header=BB19_4 Depth=1
	s_and_not1_saveexec_b32 s0, s91
	s_cbranch_execz .LBB19_8
; %bb.7:                                ;   in Loop: Header=BB19_4 Depth=1
	v_cvt_f32_u32_e32 v3, s4
	s_sub_co_i32 s2, 0, s4
	v_mov_b32_e32 v11, v2
	s_delay_alu instid0(VALU_DEP_2) | instskip(SKIP_1) | instid1(TRANS32_DEP_1)
	v_rcp_iflag_f32_e32 v3, v3
	v_nop
	v_mul_f32_e32 v3, 0x4f7ffffe, v3
	s_delay_alu instid0(VALU_DEP_1) | instskip(NEXT) | instid1(VALU_DEP_1)
	v_cvt_u32_f32_e32 v3, v3
	v_mul_lo_u32 v6, s2, v3
	s_delay_alu instid0(VALU_DEP_1) | instskip(NEXT) | instid1(VALU_DEP_1)
	v_mul_hi_u32 v6, v3, v6
	v_add_nc_u32_e32 v3, v3, v6
	s_delay_alu instid0(VALU_DEP_1) | instskip(NEXT) | instid1(VALU_DEP_1)
	v_mul_hi_u32 v3, v0, v3
	v_mul_lo_u32 v6, v3, s4
	s_delay_alu instid0(VALU_DEP_1) | instskip(NEXT) | instid1(VALU_DEP_1)
	v_dual_add_nc_u32 v7, 1, v3 :: v_dual_sub_nc_u32 v6, v0, v6
	v_subrev_nc_u32_e32 v8, s4, v6
	v_cmp_le_u32_e32 vcc_lo, s4, v6
	s_delay_alu instid0(VALU_DEP_2) | instskip(NEXT) | instid1(VALU_DEP_1)
	v_dual_cndmask_b32 v6, v6, v8 :: v_dual_cndmask_b32 v3, v3, v7
	v_cmp_le_u32_e32 vcc_lo, s4, v6
	s_delay_alu instid0(VALU_DEP_2) | instskip(NEXT) | instid1(VALU_DEP_1)
	v_add_nc_u32_e32 v7, 1, v3
	v_cndmask_b32_e32 v10, v3, v7, vcc_lo
.LBB19_8:                               ;   in Loop: Header=BB19_4 Depth=1
	s_or_b32 exec_lo, exec_lo, s0
	s_delay_alu instid0(VALU_DEP_1) | instskip(SKIP_1) | instid1(VALU_DEP_1)
	v_mul_u64_e32 v[6:7], s[68:69], v[10:11]
                                        ; implicit-def: $vgpr8_vgpr9
	s_mov_b32 s0, exec_lo
	v_add_nc_u64_e32 v[32:33], v[0:1], v[6:7]
	s_delay_alu instid0(VALU_DEP_1) | instskip(NEXT) | instid1(VALU_DEP_1)
	v_dual_ashrrev_i32 v24, 31, v33 :: v_dual_bitop2_b32 v3, s43, v33 bitop3:0x54
	v_cmpx_ne_u64_e32 0, v[2:3]
	s_xor_b32 s91, exec_lo, s0
	s_cbranch_execz .LBB19_10
; %bb.9:                                ;   in Loop: Header=BB19_4 Depth=1
	s_ashr_i32 s86, s43, 31
	v_dual_mov_b32 v25, v24 :: v_dual_mov_b32 v13, v2
	s_mov_b32 s87, s86
	v_mov_b32_e32 v17, v2
	s_add_nc_u64 s[88:89], s[42:43], s[86:87]
	s_delay_alu instid0(VALU_DEP_2)
	v_add_nc_u64_e32 v[8:9], v[32:33], v[24:25]
	s_xor_b64 s[88:89], s[88:89], s[86:87]
	v_mov_b32_e32 v21, v2
	s_cvt_f32_u32 s0, s88
	s_cvt_f32_u32 s2, s89
	s_sub_nc_u64 s[94:95], 0, s[88:89]
	s_delay_alu instid0(VALU_DEP_2) | instskip(NEXT) | instid1(SALU_CYCLE_1)
	v_xor_b32_e32 v12, v8, v24
	s_fmamk_f32 s0, s2, 0x4f800000, s0
	v_xor_b32_e32 v16, v9, v24
	s_delay_alu instid0(SALU_CYCLE_2) | instskip(NEXT) | instid1(TRANS32_DEP_1)
	v_s_rcp_f32 s0, s0
	s_mul_f32 s0, s0, 0x5f7ffffc
	s_delay_alu instid0(SALU_CYCLE_3) | instskip(NEXT) | instid1(SALU_CYCLE_3)
	s_mul_f32 s2, s0, 0x2f800000
	s_trunc_f32 s2, s2
	s_delay_alu instid0(SALU_CYCLE_3) | instskip(SKIP_1) | instid1(SALU_CYCLE_2)
	s_fmamk_f32 s0, s2, 0xcf800000, s0
	s_cvt_u32_f32 s93, s2
	s_cvt_u32_f32 s92, s0
	s_delay_alu instid0(SALU_CYCLE_3) | instskip(NEXT) | instid1(SALU_CYCLE_1)
	s_mul_u64 s[96:97], s[94:95], s[92:93]
	s_mul_hi_u32 s99, s92, s97
	s_mul_i32 s98, s92, s97
	s_mul_hi_u32 s2, s92, s96
	s_mul_i32 s87, s93, s96
	s_add_nc_u64 s[98:99], s[2:3], s[98:99]
	s_mul_hi_u32 s0, s93, s96
	s_mul_hi_u32 s100, s93, s97
	s_add_co_u32 s2, s98, s87
	s_add_co_ci_u32 s2, s99, s0
	s_mul_i32 s96, s93, s97
	s_add_co_ci_u32 s97, s100, 0
	s_delay_alu instid0(SALU_CYCLE_1) | instskip(NEXT) | instid1(SALU_CYCLE_1)
	s_add_nc_u64 s[96:97], s[2:3], s[96:97]
	s_add_co_u32 s92, s92, s96
	s_cselect_b32 s0, -1, 0
	s_delay_alu instid0(SALU_CYCLE_1) | instskip(SKIP_1) | instid1(SALU_CYCLE_1)
	s_cmp_lg_u32 s0, 0
	s_add_co_ci_u32 s93, s93, s97
	s_mul_u64 s[94:95], s[94:95], s[92:93]
	s_delay_alu instid0(SALU_CYCLE_1)
	s_mul_hi_u32 s97, s92, s95
	s_mul_i32 s96, s92, s95
	s_mul_hi_u32 s2, s92, s94
	s_mul_i32 s87, s93, s94
	s_add_nc_u64 s[96:97], s[2:3], s[96:97]
	s_mul_hi_u32 s0, s93, s94
	s_mul_hi_u32 s98, s93, s95
	s_add_co_u32 s2, s96, s87
	s_add_co_ci_u32 s2, s97, s0
	s_mul_i32 s94, s93, s95
	s_add_co_ci_u32 s95, s98, 0
	s_delay_alu instid0(SALU_CYCLE_1) | instskip(NEXT) | instid1(SALU_CYCLE_1)
	s_add_nc_u64 s[94:95], s[2:3], s[94:95]
	s_add_co_u32 s0, s92, s94
	s_cselect_b32 s2, -1, 0
	v_nop
	v_mul_hi_u32 v20, v12, s0
	s_cmp_lg_u32 s2, 0
	s_add_co_ci_u32 s2, s93, s95
	s_and_b64 s[92:93], s[0:1], s[72:73]
	v_mul_u64_e32 v[14:15], s[2:3], v[12:13]
	v_mul_u64_e32 v[8:9], s[92:93], v[16:17]
	;; [unrolled: 1-line block ×3, first 2 shown]
	s_delay_alu instid0(VALU_DEP_3) | instskip(NEXT) | instid1(VALU_DEP_1)
	v_add_nc_u64_e32 v[14:15], v[20:21], v[14:15]
	v_add_co_u32 v3, vcc_lo, v14, v8
	s_delay_alu instid0(VALU_DEP_2) | instskip(NEXT) | instid1(VALU_DEP_4)
	v_add_co_ci_u32_e32 v20, vcc_lo, v15, v9, vcc_lo
	v_add_co_ci_u32_e32 v19, vcc_lo, 0, v19, vcc_lo
	s_delay_alu instid0(VALU_DEP_1) | instskip(NEXT) | instid1(VALU_DEP_1)
	v_add_nc_u64_e32 v[8:9], v[20:21], v[18:19]
	v_mul_u64_e32 v[14:15], s[88:89], v[8:9]
	s_delay_alu instid0(VALU_DEP_1) | instskip(NEXT) | instid1(VALU_DEP_2)
	v_sub_nc_u32_e32 v3, v16, v15
	v_sub_co_u32 v12, vcc_lo, v12, v14
	s_delay_alu instid0(VALU_DEP_1) | instskip(NEXT) | instid1(VALU_DEP_3)
	v_sub_co_ci_u32_e64 v16, null, v16, v15, vcc_lo
	v_subrev_co_ci_u32_e64 v3, null, s89, v3, vcc_lo
	s_delay_alu instid0(VALU_DEP_3) | instskip(NEXT) | instid1(VALU_DEP_1)
	v_sub_co_u32 v13, s0, v12, s88
	v_subrev_co_ci_u32_e64 v3, null, 0, v3, s0
	s_delay_alu instid0(VALU_DEP_2) | instskip(SKIP_1) | instid1(VALU_DEP_3)
	v_cmp_le_u32_e32 vcc_lo, s88, v13
	v_cndmask_b32_e64 v13, 0, -1, vcc_lo
	v_cmp_le_u32_e32 vcc_lo, s89, v3
	v_cndmask_b32_e64 v14, 0, -1, vcc_lo
	;; [unrolled: 2-line block ×4, first 2 shown]
	v_cmp_eq_u32_e32 vcc_lo, s89, v3
	v_cndmask_b32_e32 v3, v14, v13, vcc_lo
	v_cmp_eq_u32_e32 vcc_lo, s89, v16
	v_add_nc_u64_e32 v[12:13], 2, v[8:9]
	v_add_nc_u64_e32 v[14:15], 1, v[8:9]
	v_cndmask_b32_e32 v16, v18, v17, vcc_lo
	v_cmp_ne_u32_e32 vcc_lo, 0, v3
	s_delay_alu instid0(VALU_DEP_2) | instskip(NEXT) | instid1(VALU_DEP_4)
	v_cmp_ne_u32_e64 s0, 0, v16
	v_dual_cndmask_b32 v3, v15, v13, vcc_lo :: v_dual_cndmask_b32 v13, v14, v12, vcc_lo
	s_delay_alu instid0(VALU_DEP_1) | instskip(NEXT) | instid1(VALU_DEP_2)
	v_dual_cndmask_b32 v3, v9, v3, s0 :: v_dual_bitop2_b32 v12, s86, v24 bitop3:0x14
	v_cndmask_b32_e64 v8, v8, v13, s0
	s_delay_alu instid0(VALU_DEP_2) | instskip(NEXT) | instid1(VALU_DEP_2)
	v_dual_mov_b32 v13, v12 :: v_dual_bitop2_b32 v9, v3, v12 bitop3:0x14
	v_xor_b32_e32 v8, v8, v12
	s_delay_alu instid0(VALU_DEP_1)
	v_sub_nc_u64_e32 v[8:9], v[8:9], v[12:13]
.LBB19_10:                              ;   in Loop: Header=BB19_4 Depth=1
	s_or_saveexec_b32 s0, s91
	v_cvt_f32_u32_e32 v22, s42
	s_xor_b32 exec_lo, exec_lo, s0
	s_cbranch_execz .LBB19_12
; %bb.11:                               ;   in Loop: Header=BB19_4 Depth=1
	s_delay_alu instid0(VALU_DEP_1) | instskip(SKIP_2) | instid1(TRANS32_DEP_1)
	v_rcp_iflag_f32_e32 v3, v22
	s_sub_co_i32 s2, 0, s42
	v_nop
	v_mul_f32_e32 v3, 0x4f7ffffe, v3
	s_delay_alu instid0(VALU_DEP_1) | instskip(NEXT) | instid1(VALU_DEP_1)
	v_cvt_u32_f32_e32 v3, v3
	v_mul_lo_u32 v8, s2, v3
	s_delay_alu instid0(VALU_DEP_1) | instskip(NEXT) | instid1(VALU_DEP_1)
	v_mul_hi_u32 v8, v3, v8
	v_add_nc_u32_e32 v3, v3, v8
	s_delay_alu instid0(VALU_DEP_1) | instskip(NEXT) | instid1(VALU_DEP_1)
	v_mul_hi_u32 v3, v32, v3
	v_mul_lo_u32 v8, v3, s42
	s_delay_alu instid0(VALU_DEP_1) | instskip(NEXT) | instid1(VALU_DEP_1)
	v_sub_nc_u32_e32 v8, v32, v8
	v_subrev_nc_u32_e32 v12, s42, v8
	v_cmp_le_u32_e32 vcc_lo, s42, v8
	s_delay_alu instid0(VALU_DEP_2) | instskip(NEXT) | instid1(VALU_DEP_1)
	v_dual_cndmask_b32 v8, v8, v12 :: v_dual_add_nc_u32 v9, 1, v3
	v_cndmask_b32_e32 v3, v3, v9, vcc_lo
	s_delay_alu instid0(VALU_DEP_2) | instskip(NEXT) | instid1(VALU_DEP_2)
	v_cmp_le_u32_e32 vcc_lo, s42, v8
	v_add_nc_u32_e32 v9, 1, v3
	s_delay_alu instid0(VALU_DEP_1)
	v_dual_cndmask_b32 v8, v3, v9 :: v_dual_mov_b32 v9, v2
.LBB19_12:                              ;   in Loop: Header=BB19_4 Depth=1
	s_or_b32 exec_lo, exec_lo, s0
	s_delay_alu instid0(VALU_DEP_1) | instskip(SKIP_3) | instid1(VALU_DEP_3)
	v_mul_u64_e32 v[12:13], s[42:43], v[8:9]
	v_mul_u64_e32 v[8:9], s[12:13], v[8:9]
	;; [unrolled: 1-line block ×3, first 2 shown]
	s_mov_b32 s0, exec_lo
	v_sub_nc_u64_e32 v[12:13], v[6:7], v[12:13]
	s_delay_alu instid0(VALU_DEP_3) | instskip(NEXT) | instid1(VALU_DEP_3)
	v_lshl_add_u64 v[8:9], v[8:9], 3, s[40:41]
	v_mad_nc_u64_u32 v[10:11], s4, v16, s[4:5]
	s_delay_alu instid0(VALU_DEP_3) | instskip(NEXT) | instid1(VALU_DEP_2)
	v_add_nc_u64_e32 v[12:13], v[0:1], v[12:13]
	v_mad_u32 v3, s5, v16, v11
	s_delay_alu instid0(VALU_DEP_2) | instskip(NEXT) | instid1(VALU_DEP_2)
	v_mul_u64_e32 v[12:13], s[14:15], v[12:13]
	v_mad_u32 v11, s4, v17, v3
	s_delay_alu instid0(VALU_DEP_1) | instskip(NEXT) | instid1(VALU_DEP_1)
	v_add_nc_u64_e32 v[34:35], v[0:1], v[10:11]
	v_dual_ashrrev_i32 v26, 31, v35 :: v_dual_bitop2_b32 v3, s43, v35 bitop3:0x54
	s_delay_alu instid0(VALU_DEP_4)
	v_lshl_add_u64 v[8:9], v[12:13], 3, v[8:9]
                                        ; implicit-def: $vgpr12_vgpr13
	global_load_b64 v[8:9], v[8:9], off
	s_wait_xcnt 0x0
	v_cmpx_ne_u64_e32 0, v[2:3]
	s_xor_b32 s91, exec_lo, s0
	s_cbranch_execz .LBB19_14
; %bb.13:                               ;   in Loop: Header=BB19_4 Depth=1
	s_ashr_i32 s86, s43, 31
	v_dual_mov_b32 v27, v26 :: v_dual_mov_b32 v15, v2
	s_mov_b32 s87, s86
	v_mov_b32_e32 v21, v2
	s_add_nc_u64 s[88:89], s[42:43], s[86:87]
	s_delay_alu instid0(VALU_DEP_2)
	v_add_nc_u64_e32 v[12:13], v[34:35], v[26:27]
	s_xor_b64 s[88:89], s[88:89], s[86:87]
	v_mov_b32_e32 v31, v2
	s_cvt_f32_u32 s0, s88
	s_cvt_f32_u32 s2, s89
	s_sub_nc_u64 s[94:95], 0, s[88:89]
	s_delay_alu instid0(VALU_DEP_2) | instskip(NEXT) | instid1(SALU_CYCLE_1)
	v_xor_b32_e32 v14, v12, v26
	s_fmamk_f32 s0, s2, 0x4f800000, s0
	v_xor_b32_e32 v20, v13, v26
	s_delay_alu instid0(SALU_CYCLE_2) | instskip(NEXT) | instid1(TRANS32_DEP_1)
	v_s_rcp_f32 s0, s0
	s_mul_f32 s0, s0, 0x5f7ffffc
	s_delay_alu instid0(SALU_CYCLE_3) | instskip(NEXT) | instid1(SALU_CYCLE_3)
	s_mul_f32 s2, s0, 0x2f800000
	s_trunc_f32 s2, s2
	s_delay_alu instid0(SALU_CYCLE_3) | instskip(SKIP_1) | instid1(SALU_CYCLE_2)
	s_fmamk_f32 s0, s2, 0xcf800000, s0
	s_cvt_u32_f32 s93, s2
	s_cvt_u32_f32 s92, s0
	s_delay_alu instid0(SALU_CYCLE_3) | instskip(NEXT) | instid1(SALU_CYCLE_1)
	s_mul_u64 s[96:97], s[94:95], s[92:93]
	s_mul_hi_u32 s99, s92, s97
	s_mul_i32 s98, s92, s97
	s_mul_hi_u32 s2, s92, s96
	s_mul_i32 s87, s93, s96
	s_add_nc_u64 s[98:99], s[2:3], s[98:99]
	s_mul_hi_u32 s0, s93, s96
	s_mul_hi_u32 s100, s93, s97
	s_add_co_u32 s2, s98, s87
	s_add_co_ci_u32 s2, s99, s0
	s_mul_i32 s96, s93, s97
	s_add_co_ci_u32 s97, s100, 0
	s_delay_alu instid0(SALU_CYCLE_1) | instskip(NEXT) | instid1(SALU_CYCLE_1)
	s_add_nc_u64 s[96:97], s[2:3], s[96:97]
	s_add_co_u32 s92, s92, s96
	s_cselect_b32 s0, -1, 0
	s_delay_alu instid0(SALU_CYCLE_1) | instskip(SKIP_1) | instid1(SALU_CYCLE_1)
	s_cmp_lg_u32 s0, 0
	s_add_co_ci_u32 s93, s93, s97
	s_mul_u64 s[94:95], s[94:95], s[92:93]
	s_delay_alu instid0(SALU_CYCLE_1)
	s_mul_hi_u32 s97, s92, s95
	s_mul_i32 s96, s92, s95
	s_mul_hi_u32 s2, s92, s94
	s_mul_i32 s87, s93, s94
	s_add_nc_u64 s[96:97], s[2:3], s[96:97]
	s_mul_hi_u32 s0, s93, s94
	s_mul_hi_u32 s98, s93, s95
	s_add_co_u32 s2, s96, s87
	s_add_co_ci_u32 s2, s97, s0
	s_mul_i32 s94, s93, s95
	s_add_co_ci_u32 s95, s98, 0
	s_delay_alu instid0(SALU_CYCLE_1) | instskip(NEXT) | instid1(SALU_CYCLE_1)
	s_add_nc_u64 s[94:95], s[2:3], s[94:95]
	s_add_co_u32 s0, s92, s94
	s_cselect_b32 s2, -1, 0
	v_nop
	v_mul_hi_u32 v30, v14, s0
	s_cmp_lg_u32 s2, 0
	s_add_co_ci_u32 s2, s93, s95
	s_and_b64 s[92:93], s[0:1], s[72:73]
	v_mul_u64_e32 v[18:19], s[2:3], v[14:15]
	v_mul_u64_e32 v[12:13], s[92:93], v[20:21]
	v_mul_u64_e32 v[28:29], s[2:3], v[20:21]
	s_delay_alu instid0(VALU_DEP_3) | instskip(NEXT) | instid1(VALU_DEP_1)
	v_add_nc_u64_e32 v[18:19], v[30:31], v[18:19]
	v_add_co_u32 v3, vcc_lo, v18, v12
	s_delay_alu instid0(VALU_DEP_2) | instskip(NEXT) | instid1(VALU_DEP_4)
	v_add_co_ci_u32_e32 v30, vcc_lo, v19, v13, vcc_lo
	v_add_co_ci_u32_e32 v29, vcc_lo, 0, v29, vcc_lo
	s_delay_alu instid0(VALU_DEP_1) | instskip(NEXT) | instid1(VALU_DEP_1)
	v_add_nc_u64_e32 v[12:13], v[30:31], v[28:29]
	v_mul_u64_e32 v[18:19], s[88:89], v[12:13]
	s_delay_alu instid0(VALU_DEP_1) | instskip(NEXT) | instid1(VALU_DEP_2)
	v_sub_nc_u32_e32 v3, v20, v19
	v_sub_co_u32 v14, vcc_lo, v14, v18
	s_delay_alu instid0(VALU_DEP_1) | instskip(NEXT) | instid1(VALU_DEP_3)
	v_sub_co_ci_u32_e64 v20, null, v20, v19, vcc_lo
	v_subrev_co_ci_u32_e64 v3, null, s89, v3, vcc_lo
	s_delay_alu instid0(VALU_DEP_3) | instskip(NEXT) | instid1(VALU_DEP_1)
	v_sub_co_u32 v15, s0, v14, s88
	v_subrev_co_ci_u32_e64 v3, null, 0, v3, s0
	s_delay_alu instid0(VALU_DEP_2) | instskip(SKIP_1) | instid1(VALU_DEP_3)
	v_cmp_le_u32_e32 vcc_lo, s88, v15
	v_cndmask_b32_e64 v15, 0, -1, vcc_lo
	v_cmp_le_u32_e32 vcc_lo, s89, v3
	v_cndmask_b32_e64 v18, 0, -1, vcc_lo
	;; [unrolled: 2-line block ×4, first 2 shown]
	v_cmp_eq_u32_e32 vcc_lo, s89, v3
	v_cndmask_b32_e32 v3, v18, v15, vcc_lo
	v_cmp_eq_u32_e32 vcc_lo, s89, v20
	v_add_nc_u64_e32 v[14:15], 2, v[12:13]
	v_add_nc_u64_e32 v[18:19], 1, v[12:13]
	v_cndmask_b32_e32 v20, v23, v21, vcc_lo
	v_cmp_ne_u32_e32 vcc_lo, 0, v3
	s_delay_alu instid0(VALU_DEP_2) | instskip(NEXT) | instid1(VALU_DEP_4)
	v_cmp_ne_u32_e64 s0, 0, v20
	v_dual_cndmask_b32 v3, v19, v15, vcc_lo :: v_dual_cndmask_b32 v15, v18, v14, vcc_lo
	s_delay_alu instid0(VALU_DEP_1) | instskip(NEXT) | instid1(VALU_DEP_1)
	v_dual_cndmask_b32 v3, v13, v3, s0 :: v_dual_bitop2_b32 v14, s86, v26 bitop3:0x14
	v_dual_cndmask_b32 v12, v12, v15, s0 :: v_dual_mov_b32 v15, v14
	s_delay_alu instid0(VALU_DEP_2) | instskip(NEXT) | instid1(VALU_DEP_2)
	v_xor_b32_e32 v13, v3, v14
	v_xor_b32_e32 v12, v12, v14
	s_delay_alu instid0(VALU_DEP_1)
	v_sub_nc_u64_e32 v[12:13], v[12:13], v[14:15]
.LBB19_14:                              ;   in Loop: Header=BB19_4 Depth=1
	s_and_not1_saveexec_b32 s0, s91
	s_cbranch_execz .LBB19_16
; %bb.15:                               ;   in Loop: Header=BB19_4 Depth=1
	v_rcp_iflag_f32_e32 v3, v22
	s_sub_co_i32 s2, 0, s42
	v_nop
	s_delay_alu instid0(TRANS32_DEP_1) | instskip(NEXT) | instid1(VALU_DEP_1)
	v_mul_f32_e32 v3, 0x4f7ffffe, v3
	v_cvt_u32_f32_e32 v3, v3
	s_delay_alu instid0(VALU_DEP_1) | instskip(NEXT) | instid1(VALU_DEP_1)
	v_mul_lo_u32 v12, s2, v3
	v_mul_hi_u32 v12, v3, v12
	s_delay_alu instid0(VALU_DEP_1) | instskip(NEXT) | instid1(VALU_DEP_1)
	v_add_nc_u32_e32 v3, v3, v12
	v_mul_hi_u32 v3, v34, v3
	s_delay_alu instid0(VALU_DEP_1) | instskip(NEXT) | instid1(VALU_DEP_1)
	v_mul_lo_u32 v12, v3, s42
	v_dual_add_nc_u32 v13, 1, v3 :: v_dual_sub_nc_u32 v12, v34, v12
	s_delay_alu instid0(VALU_DEP_1) | instskip(SKIP_1) | instid1(VALU_DEP_2)
	v_subrev_nc_u32_e32 v14, s42, v12
	v_cmp_le_u32_e32 vcc_lo, s42, v12
	v_dual_cndmask_b32 v12, v12, v14 :: v_dual_cndmask_b32 v3, v3, v13
	s_delay_alu instid0(VALU_DEP_1) | instskip(NEXT) | instid1(VALU_DEP_2)
	v_cmp_le_u32_e32 vcc_lo, s42, v12
	v_add_nc_u32_e32 v13, 1, v3
	s_delay_alu instid0(VALU_DEP_1)
	v_dual_cndmask_b32 v12, v3, v13 :: v_dual_mov_b32 v13, v2
.LBB19_16:                              ;   in Loop: Header=BB19_4 Depth=1
	s_or_b32 exec_lo, exec_lo, s0
	s_delay_alu instid0(VALU_DEP_1) | instskip(SKIP_2) | instid1(VALU_DEP_2)
	v_mul_u64_e32 v[14:15], s[42:43], v[12:13]
	v_mul_u64_e32 v[12:13], s[12:13], v[12:13]
                                        ; implicit-def: $vgpr18_vgpr19
	s_mov_b32 s0, exec_lo
	v_sub_nc_u64_e32 v[14:15], v[10:11], v[14:15]
	s_delay_alu instid0(VALU_DEP_2) | instskip(NEXT) | instid1(VALU_DEP_2)
	v_lshl_add_u64 v[12:13], v[12:13], 3, s[40:41]
	v_add_nc_u64_e32 v[14:15], v[0:1], v[14:15]
	s_delay_alu instid0(VALU_DEP_1) | instskip(NEXT) | instid1(VALU_DEP_1)
	v_mul_u64_e32 v[14:15], s[14:15], v[14:15]
	v_lshl_add_u64 v[12:13], v[14:15], 3, v[12:13]
	v_add_nc_u64_e32 v[14:15], 2, v[16:17]
	global_load_b64 v[12:13], v[12:13], off
	v_mul_u64_e32 v[14:15], s[4:5], v[14:15]
	s_delay_alu instid0(VALU_DEP_1) | instskip(NEXT) | instid1(VALU_DEP_1)
	v_add_nc_u64_e32 v[36:37], v[0:1], v[14:15]
	v_dual_ashrrev_i32 v28, 31, v37 :: v_dual_bitop2_b32 v3, s43, v37 bitop3:0x54
	s_wait_xcnt 0x0
	s_delay_alu instid0(VALU_DEP_1)
	v_cmpx_ne_u64_e32 0, v[2:3]
	s_xor_b32 s91, exec_lo, s0
	s_cbranch_execz .LBB19_18
; %bb.17:                               ;   in Loop: Header=BB19_4 Depth=1
	s_ashr_i32 s86, s43, 31
	v_dual_mov_b32 v29, v28 :: v_dual_mov_b32 v21, v2
	s_mov_b32 s87, s86
	v_mov_b32_e32 v43, v2
	s_add_nc_u64 s[88:89], s[42:43], s[86:87]
	s_delay_alu instid0(VALU_DEP_2)
	v_add_nc_u64_e32 v[18:19], v[36:37], v[28:29]
	s_xor_b64 s[88:89], s[88:89], s[86:87]
	v_mov_b32_e32 v39, v2
	s_cvt_f32_u32 s0, s88
	s_cvt_f32_u32 s2, s89
	s_sub_nc_u64 s[94:95], 0, s[88:89]
	s_delay_alu instid0(VALU_DEP_2) | instskip(NEXT) | instid1(SALU_CYCLE_1)
	v_xor_b32_e32 v20, v18, v28
	s_fmamk_f32 s0, s2, 0x4f800000, s0
	v_xor_b32_e32 v38, v19, v28
	s_delay_alu instid0(SALU_CYCLE_2) | instskip(NEXT) | instid1(TRANS32_DEP_1)
	v_s_rcp_f32 s0, s0
	s_mul_f32 s0, s0, 0x5f7ffffc
	s_delay_alu instid0(SALU_CYCLE_3) | instskip(NEXT) | instid1(SALU_CYCLE_3)
	s_mul_f32 s2, s0, 0x2f800000
	s_trunc_f32 s2, s2
	s_delay_alu instid0(SALU_CYCLE_3) | instskip(SKIP_1) | instid1(SALU_CYCLE_2)
	s_fmamk_f32 s0, s2, 0xcf800000, s0
	s_cvt_u32_f32 s93, s2
	s_cvt_u32_f32 s92, s0
	s_delay_alu instid0(SALU_CYCLE_3) | instskip(NEXT) | instid1(SALU_CYCLE_1)
	s_mul_u64 s[96:97], s[94:95], s[92:93]
	s_mul_hi_u32 s99, s92, s97
	s_mul_i32 s98, s92, s97
	s_mul_hi_u32 s2, s92, s96
	s_mul_i32 s87, s93, s96
	s_add_nc_u64 s[98:99], s[2:3], s[98:99]
	s_mul_hi_u32 s0, s93, s96
	s_mul_hi_u32 s100, s93, s97
	s_add_co_u32 s2, s98, s87
	s_add_co_ci_u32 s2, s99, s0
	s_mul_i32 s96, s93, s97
	s_add_co_ci_u32 s97, s100, 0
	s_delay_alu instid0(SALU_CYCLE_1) | instskip(NEXT) | instid1(SALU_CYCLE_1)
	s_add_nc_u64 s[96:97], s[2:3], s[96:97]
	s_add_co_u32 s92, s92, s96
	s_cselect_b32 s0, -1, 0
	s_delay_alu instid0(SALU_CYCLE_1) | instskip(SKIP_1) | instid1(SALU_CYCLE_1)
	s_cmp_lg_u32 s0, 0
	s_add_co_ci_u32 s93, s93, s97
	s_mul_u64 s[94:95], s[94:95], s[92:93]
	s_delay_alu instid0(SALU_CYCLE_1)
	s_mul_hi_u32 s97, s92, s95
	s_mul_i32 s96, s92, s95
	s_mul_hi_u32 s2, s92, s94
	s_mul_i32 s87, s93, s94
	s_add_nc_u64 s[96:97], s[2:3], s[96:97]
	s_mul_hi_u32 s0, s93, s94
	s_mul_hi_u32 s98, s93, s95
	s_add_co_u32 s2, s96, s87
	s_add_co_ci_u32 s2, s97, s0
	s_mul_i32 s94, s93, s95
	s_add_co_ci_u32 s95, s98, 0
	s_delay_alu instid0(SALU_CYCLE_1) | instskip(NEXT) | instid1(SALU_CYCLE_1)
	s_add_nc_u64 s[94:95], s[2:3], s[94:95]
	s_add_co_u32 s0, s92, s94
	s_cselect_b32 s2, -1, 0
	v_nop
	v_mul_hi_u32 v42, v20, s0
	s_cmp_lg_u32 s2, 0
	s_add_co_ci_u32 s2, s93, s95
	s_and_b64 s[92:93], s[0:1], s[72:73]
	v_mul_u64_e32 v[30:31], s[2:3], v[20:21]
	v_mul_u64_e32 v[18:19], s[92:93], v[38:39]
	;; [unrolled: 1-line block ×3, first 2 shown]
	s_delay_alu instid0(VALU_DEP_3) | instskip(NEXT) | instid1(VALU_DEP_1)
	v_add_nc_u64_e32 v[30:31], v[42:43], v[30:31]
	v_add_co_u32 v3, vcc_lo, v30, v18
	s_delay_alu instid0(VALU_DEP_2) | instskip(NEXT) | instid1(VALU_DEP_4)
	v_add_co_ci_u32_e32 v42, vcc_lo, v31, v19, vcc_lo
	v_add_co_ci_u32_e32 v41, vcc_lo, 0, v41, vcc_lo
	s_delay_alu instid0(VALU_DEP_1) | instskip(NEXT) | instid1(VALU_DEP_1)
	v_add_nc_u64_e32 v[18:19], v[42:43], v[40:41]
	v_mul_u64_e32 v[30:31], s[88:89], v[18:19]
	s_delay_alu instid0(VALU_DEP_1) | instskip(NEXT) | instid1(VALU_DEP_2)
	v_sub_nc_u32_e32 v3, v38, v31
	v_sub_co_u32 v20, vcc_lo, v20, v30
	s_delay_alu instid0(VALU_DEP_1) | instskip(NEXT) | instid1(VALU_DEP_3)
	v_sub_co_ci_u32_e64 v23, null, v38, v31, vcc_lo
	v_subrev_co_ci_u32_e64 v3, null, s89, v3, vcc_lo
	s_delay_alu instid0(VALU_DEP_3) | instskip(SKIP_1) | instid1(VALU_DEP_3)
	v_sub_co_u32 v21, s0, v20, s88
	v_add_nc_u64_e32 v[30:31], 1, v[18:19]
	v_subrev_co_ci_u32_e64 v3, null, 0, v3, s0
	s_delay_alu instid0(VALU_DEP_3) | instskip(SKIP_1) | instid1(VALU_DEP_3)
	v_cmp_le_u32_e32 vcc_lo, s88, v21
	v_cndmask_b32_e64 v21, 0, -1, vcc_lo
	v_cmp_le_u32_e32 vcc_lo, s89, v3
	v_cndmask_b32_e64 v25, 0, -1, vcc_lo
	;; [unrolled: 2-line block ×4, first 2 shown]
	v_cmp_eq_u32_e32 vcc_lo, s89, v3
	v_cndmask_b32_e32 v3, v25, v21, vcc_lo
	v_cmp_eq_u32_e32 vcc_lo, s89, v23
	v_add_nc_u64_e32 v[20:21], 2, v[18:19]
	v_cndmask_b32_e32 v23, v29, v27, vcc_lo
	s_delay_alu instid0(VALU_DEP_4) | instskip(NEXT) | instid1(VALU_DEP_2)
	v_cmp_ne_u32_e32 vcc_lo, 0, v3
	v_cmp_ne_u32_e64 s0, 0, v23
	s_delay_alu instid0(VALU_DEP_4) | instskip(NEXT) | instid1(VALU_DEP_1)
	v_dual_cndmask_b32 v3, v31, v21, vcc_lo :: v_dual_cndmask_b32 v21, v30, v20, vcc_lo
	v_dual_cndmask_b32 v3, v19, v3, s0 :: v_dual_bitop2_b32 v20, s86, v28 bitop3:0x14
	s_delay_alu instid0(VALU_DEP_1) | instskip(NEXT) | instid1(VALU_DEP_2)
	v_dual_cndmask_b32 v18, v18, v21, s0 :: v_dual_mov_b32 v21, v20
	v_xor_b32_e32 v19, v3, v20
	s_delay_alu instid0(VALU_DEP_2) | instskip(NEXT) | instid1(VALU_DEP_1)
	v_xor_b32_e32 v18, v18, v20
	v_sub_nc_u64_e32 v[18:19], v[18:19], v[20:21]
.LBB19_18:                              ;   in Loop: Header=BB19_4 Depth=1
	s_and_not1_saveexec_b32 s0, s91
	s_cbranch_execz .LBB19_20
; %bb.19:                               ;   in Loop: Header=BB19_4 Depth=1
	v_rcp_iflag_f32_e32 v3, v22
	s_sub_co_i32 s2, 0, s42
	v_nop
	s_delay_alu instid0(TRANS32_DEP_1) | instskip(NEXT) | instid1(VALU_DEP_1)
	v_mul_f32_e32 v3, 0x4f7ffffe, v3
	v_cvt_u32_f32_e32 v3, v3
	s_delay_alu instid0(VALU_DEP_1) | instskip(NEXT) | instid1(VALU_DEP_1)
	v_mul_lo_u32 v18, s2, v3
	v_mul_hi_u32 v18, v3, v18
	s_delay_alu instid0(VALU_DEP_1) | instskip(NEXT) | instid1(VALU_DEP_1)
	v_add_nc_u32_e32 v3, v3, v18
	v_mul_hi_u32 v3, v36, v3
	s_delay_alu instid0(VALU_DEP_1) | instskip(NEXT) | instid1(VALU_DEP_1)
	v_mul_lo_u32 v18, v3, s42
	v_dual_add_nc_u32 v19, 1, v3 :: v_dual_sub_nc_u32 v18, v36, v18
	s_delay_alu instid0(VALU_DEP_1) | instskip(SKIP_1) | instid1(VALU_DEP_2)
	v_subrev_nc_u32_e32 v20, s42, v18
	v_cmp_le_u32_e32 vcc_lo, s42, v18
	v_dual_cndmask_b32 v18, v18, v20 :: v_dual_cndmask_b32 v3, v3, v19
	s_delay_alu instid0(VALU_DEP_1) | instskip(NEXT) | instid1(VALU_DEP_2)
	v_cmp_le_u32_e32 vcc_lo, s42, v18
	v_add_nc_u32_e32 v19, 1, v3
	s_delay_alu instid0(VALU_DEP_1)
	v_dual_cndmask_b32 v18, v3, v19 :: v_dual_mov_b32 v19, v2
.LBB19_20:                              ;   in Loop: Header=BB19_4 Depth=1
	s_or_b32 exec_lo, exec_lo, s0
	s_delay_alu instid0(VALU_DEP_1) | instskip(SKIP_3) | instid1(VALU_DEP_1)
	v_mul_u64_e32 v[20:21], s[42:43], v[18:19]
	v_mul_u64_e32 v[18:19], s[12:13], v[18:19]
	v_add_nc_u64_e32 v[16:17], 3, v[16:17]
	s_mov_b32 s0, exec_lo
	v_mul_u64_e32 v[16:17], s[4:5], v[16:17]
	s_delay_alu instid0(VALU_DEP_4) | instskip(NEXT) | instid1(VALU_DEP_4)
	v_sub_nc_u64_e32 v[20:21], v[14:15], v[20:21]
	v_lshl_add_u64 v[18:19], v[18:19], 3, s[40:41]
	s_delay_alu instid0(VALU_DEP_2) | instskip(NEXT) | instid1(VALU_DEP_4)
	v_add_nc_u64_e32 v[20:21], v[0:1], v[20:21]
	v_add_nc_u64_e32 v[38:39], v[0:1], v[16:17]
	s_delay_alu instid0(VALU_DEP_2) | instskip(NEXT) | instid1(VALU_DEP_2)
	v_mul_u64_e32 v[20:21], s[14:15], v[20:21]
	v_dual_ashrrev_i32 v30, 31, v39 :: v_dual_bitop2_b32 v3, s43, v39 bitop3:0x54
	s_delay_alu instid0(VALU_DEP_2)
	v_lshl_add_u64 v[18:19], v[20:21], 3, v[18:19]
                                        ; implicit-def: $vgpr20_vgpr21
	global_load_b64 v[18:19], v[18:19], off
	s_wait_xcnt 0x0
	v_cmpx_ne_u64_e32 0, v[2:3]
	s_xor_b32 s91, exec_lo, s0
	s_cbranch_execz .LBB19_22
; %bb.21:                               ;   in Loop: Header=BB19_4 Depth=1
	s_ashr_i32 s86, s43, 31
	v_dual_mov_b32 v31, v30 :: v_dual_mov_b32 v23, v2
	s_mov_b32 s87, s86
	v_mov_b32_e32 v43, v2
	s_add_nc_u64 s[88:89], s[42:43], s[86:87]
	s_delay_alu instid0(VALU_DEP_2)
	v_add_nc_u64_e32 v[20:21], v[38:39], v[30:31]
	s_xor_b64 s[88:89], s[88:89], s[86:87]
	v_mov_b32_e32 v47, v2
	s_cvt_f32_u32 s0, s88
	s_cvt_f32_u32 s2, s89
	s_sub_nc_u64 s[94:95], 0, s[88:89]
	s_delay_alu instid0(VALU_DEP_2) | instskip(NEXT) | instid1(SALU_CYCLE_1)
	v_xor_b32_e32 v22, v20, v30
	s_fmamk_f32 s0, s2, 0x4f800000, s0
	v_xor_b32_e32 v42, v21, v30
	s_delay_alu instid0(SALU_CYCLE_2) | instskip(NEXT) | instid1(TRANS32_DEP_1)
	v_s_rcp_f32 s0, s0
	s_mul_f32 s0, s0, 0x5f7ffffc
	s_delay_alu instid0(SALU_CYCLE_3) | instskip(NEXT) | instid1(SALU_CYCLE_3)
	s_mul_f32 s2, s0, 0x2f800000
	s_trunc_f32 s2, s2
	s_delay_alu instid0(SALU_CYCLE_3) | instskip(SKIP_1) | instid1(SALU_CYCLE_2)
	s_fmamk_f32 s0, s2, 0xcf800000, s0
	s_cvt_u32_f32 s93, s2
	s_cvt_u32_f32 s92, s0
	s_delay_alu instid0(SALU_CYCLE_3) | instskip(NEXT) | instid1(SALU_CYCLE_1)
	s_mul_u64 s[96:97], s[94:95], s[92:93]
	s_mul_hi_u32 s99, s92, s97
	s_mul_i32 s98, s92, s97
	s_mul_hi_u32 s2, s92, s96
	s_mul_i32 s87, s93, s96
	s_add_nc_u64 s[98:99], s[2:3], s[98:99]
	s_mul_hi_u32 s0, s93, s96
	s_mul_hi_u32 s100, s93, s97
	s_add_co_u32 s2, s98, s87
	s_add_co_ci_u32 s2, s99, s0
	s_mul_i32 s96, s93, s97
	s_add_co_ci_u32 s97, s100, 0
	s_delay_alu instid0(SALU_CYCLE_1) | instskip(NEXT) | instid1(SALU_CYCLE_1)
	s_add_nc_u64 s[96:97], s[2:3], s[96:97]
	s_add_co_u32 s92, s92, s96
	s_cselect_b32 s0, -1, 0
	s_delay_alu instid0(SALU_CYCLE_1) | instskip(SKIP_1) | instid1(SALU_CYCLE_1)
	s_cmp_lg_u32 s0, 0
	s_add_co_ci_u32 s93, s93, s97
	s_mul_u64 s[94:95], s[94:95], s[92:93]
	s_delay_alu instid0(SALU_CYCLE_1)
	s_mul_hi_u32 s97, s92, s95
	s_mul_i32 s96, s92, s95
	s_mul_hi_u32 s2, s92, s94
	s_mul_i32 s87, s93, s94
	s_add_nc_u64 s[96:97], s[2:3], s[96:97]
	s_mul_hi_u32 s0, s93, s94
	s_mul_hi_u32 s98, s93, s95
	s_add_co_u32 s2, s96, s87
	s_add_co_ci_u32 s2, s97, s0
	s_mul_i32 s94, s93, s95
	s_add_co_ci_u32 s95, s98, 0
	s_delay_alu instid0(SALU_CYCLE_1) | instskip(NEXT) | instid1(SALU_CYCLE_1)
	s_add_nc_u64 s[94:95], s[2:3], s[94:95]
	s_add_co_u32 s0, s92, s94
	s_cselect_b32 s2, -1, 0
	v_nop
	v_mul_hi_u32 v46, v22, s0
	s_cmp_lg_u32 s2, 0
	s_add_co_ci_u32 s2, s93, s95
	s_and_b64 s[92:93], s[0:1], s[72:73]
	v_mul_u64_e32 v[40:41], s[2:3], v[22:23]
	v_mul_u64_e32 v[20:21], s[92:93], v[42:43]
	;; [unrolled: 1-line block ×3, first 2 shown]
	s_delay_alu instid0(VALU_DEP_3) | instskip(NEXT) | instid1(VALU_DEP_1)
	v_add_nc_u64_e32 v[40:41], v[46:47], v[40:41]
	v_add_co_u32 v3, vcc_lo, v40, v20
	s_delay_alu instid0(VALU_DEP_2) | instskip(NEXT) | instid1(VALU_DEP_4)
	v_add_co_ci_u32_e32 v46, vcc_lo, v41, v21, vcc_lo
	v_add_co_ci_u32_e32 v45, vcc_lo, 0, v45, vcc_lo
	s_delay_alu instid0(VALU_DEP_1) | instskip(NEXT) | instid1(VALU_DEP_1)
	v_add_nc_u64_e32 v[20:21], v[46:47], v[44:45]
	v_mul_u64_e32 v[40:41], s[88:89], v[20:21]
	s_delay_alu instid0(VALU_DEP_1) | instskip(NEXT) | instid1(VALU_DEP_2)
	v_sub_nc_u32_e32 v3, v42, v41
	v_sub_co_u32 v22, vcc_lo, v22, v40
	s_delay_alu instid0(VALU_DEP_1) | instskip(NEXT) | instid1(VALU_DEP_3)
	v_sub_co_ci_u32_e64 v25, null, v42, v41, vcc_lo
	v_subrev_co_ci_u32_e64 v3, null, s89, v3, vcc_lo
	s_delay_alu instid0(VALU_DEP_3) | instskip(SKIP_1) | instid1(VALU_DEP_3)
	v_sub_co_u32 v23, s0, v22, s88
	v_add_nc_u64_e32 v[40:41], 1, v[20:21]
	v_subrev_co_ci_u32_e64 v3, null, 0, v3, s0
	s_delay_alu instid0(VALU_DEP_3) | instskip(SKIP_1) | instid1(VALU_DEP_3)
	v_cmp_le_u32_e32 vcc_lo, s88, v23
	v_cndmask_b32_e64 v23, 0, -1, vcc_lo
	v_cmp_le_u32_e32 vcc_lo, s89, v3
	v_cndmask_b32_e64 v27, 0, -1, vcc_lo
	;; [unrolled: 2-line block ×4, first 2 shown]
	v_cmp_eq_u32_e32 vcc_lo, s89, v3
	v_cndmask_b32_e32 v3, v27, v23, vcc_lo
	v_cmp_eq_u32_e32 vcc_lo, s89, v25
	v_add_nc_u64_e32 v[22:23], 2, v[20:21]
	v_cndmask_b32_e32 v25, v31, v29, vcc_lo
	s_delay_alu instid0(VALU_DEP_4) | instskip(NEXT) | instid1(VALU_DEP_3)
	v_cmp_ne_u32_e32 vcc_lo, 0, v3
	v_cndmask_b32_e32 v3, v41, v23, vcc_lo
	s_delay_alu instid0(VALU_DEP_3) | instskip(SKIP_1) | instid1(VALU_DEP_2)
	v_cmp_ne_u32_e64 s0, 0, v25
	v_cndmask_b32_e32 v23, v40, v22, vcc_lo
	v_dual_cndmask_b32 v3, v21, v3, s0 :: v_dual_bitop2_b32 v22, s86, v30 bitop3:0x14
	s_delay_alu instid0(VALU_DEP_1) | instskip(NEXT) | instid1(VALU_DEP_2)
	v_dual_cndmask_b32 v20, v20, v23, s0 :: v_dual_mov_b32 v23, v22
	v_xor_b32_e32 v21, v3, v22
	s_delay_alu instid0(VALU_DEP_2) | instskip(NEXT) | instid1(VALU_DEP_1)
	v_xor_b32_e32 v20, v20, v22
	v_sub_nc_u64_e32 v[20:21], v[20:21], v[22:23]
                                        ; implicit-def: $vgpr22
.LBB19_22:                              ;   in Loop: Header=BB19_4 Depth=1
	s_and_not1_saveexec_b32 s0, s91
	s_cbranch_execz .LBB19_24
; %bb.23:                               ;   in Loop: Header=BB19_4 Depth=1
	v_rcp_iflag_f32_e32 v3, v22
	s_sub_co_i32 s2, 0, s42
	v_nop
	s_delay_alu instid0(TRANS32_DEP_1) | instskip(NEXT) | instid1(VALU_DEP_1)
	v_mul_f32_e32 v3, 0x4f7ffffe, v3
	v_cvt_u32_f32_e32 v3, v3
	s_delay_alu instid0(VALU_DEP_1) | instskip(NEXT) | instid1(VALU_DEP_1)
	v_mul_lo_u32 v20, s2, v3
	v_mul_hi_u32 v20, v3, v20
	s_delay_alu instid0(VALU_DEP_1) | instskip(NEXT) | instid1(VALU_DEP_1)
	v_add_nc_u32_e32 v3, v3, v20
	v_mul_hi_u32 v3, v38, v3
	s_delay_alu instid0(VALU_DEP_1) | instskip(NEXT) | instid1(VALU_DEP_1)
	v_mul_lo_u32 v20, v3, s42
	v_dual_add_nc_u32 v21, 1, v3 :: v_dual_sub_nc_u32 v20, v38, v20
	s_delay_alu instid0(VALU_DEP_1) | instskip(SKIP_1) | instid1(VALU_DEP_2)
	v_subrev_nc_u32_e32 v22, s42, v20
	v_cmp_le_u32_e32 vcc_lo, s42, v20
	v_dual_cndmask_b32 v20, v20, v22 :: v_dual_cndmask_b32 v3, v3, v21
	s_delay_alu instid0(VALU_DEP_1) | instskip(NEXT) | instid1(VALU_DEP_2)
	v_cmp_le_u32_e32 vcc_lo, s42, v20
	v_add_nc_u32_e32 v21, 1, v3
	s_delay_alu instid0(VALU_DEP_1)
	v_dual_cndmask_b32 v20, v3, v21 :: v_dual_mov_b32 v21, v2
.LBB19_24:                              ;   in Loop: Header=BB19_4 Depth=1
	s_or_b32 exec_lo, exec_lo, s0
	s_delay_alu instid0(VALU_DEP_1) | instskip(SKIP_3) | instid1(VALU_DEP_3)
	v_mul_u64_e32 v[22:23], s[42:43], v[20:21]
	v_mul_u64_e32 v[20:21], s[12:13], v[20:21]
	v_or_b32_e32 v3, s53, v33
	s_mov_b32 s0, exec_lo
	v_sub_nc_u64_e32 v[22:23], v[16:17], v[22:23]
	s_delay_alu instid0(VALU_DEP_3) | instskip(NEXT) | instid1(VALU_DEP_2)
	v_lshl_add_u64 v[20:21], v[20:21], 3, s[40:41]
	v_add_nc_u64_e32 v[22:23], v[0:1], v[22:23]
	s_delay_alu instid0(VALU_DEP_1) | instskip(NEXT) | instid1(VALU_DEP_1)
	v_mul_u64_e32 v[22:23], s[14:15], v[22:23]
	v_lshl_add_u64 v[20:21], v[22:23], 3, v[20:21]
                                        ; implicit-def: $vgpr22_vgpr23
	global_load_b64 v[20:21], v[20:21], off
	s_wait_xcnt 0x0
	v_cmpx_ne_u64_e32 0, v[2:3]
	s_xor_b32 s91, exec_lo, s0
	s_cbranch_execz .LBB19_26
; %bb.25:                               ;   in Loop: Header=BB19_4 Depth=1
	s_ashr_i32 s86, s53, 31
	v_mov_b32_e32 v25, v24
	s_mov_b32 s87, s86
	v_mov_b32_e32 v47, v2
	s_add_nc_u64 s[88:89], s[52:53], s[86:87]
	s_delay_alu instid0(VALU_DEP_2)
	v_add_nc_u64_e32 v[22:23], v[32:33], v[24:25]
	s_xor_b64 s[88:89], s[88:89], s[86:87]
	v_mov_b32_e32 v33, v2
	s_cvt_f32_u32 s0, s88
	s_cvt_f32_u32 s2, s89
	s_sub_nc_u64 s[94:95], 0, s[88:89]
	s_delay_alu instid0(VALU_DEP_2) | instskip(NEXT) | instid1(SALU_CYCLE_1)
	v_dual_mov_b32 v43, v2 :: v_dual_bitop2_b32 v42, v23, v24 bitop3:0x14
	s_fmamk_f32 s0, s2, 0x4f800000, s0
	v_xor_b32_e32 v32, v22, v24
	v_xor_b32_e32 v24, s86, v24
	s_delay_alu instid0(SALU_CYCLE_1) | instskip(NEXT) | instid1(TRANS32_DEP_1)
	v_s_rcp_f32 s0, s0
	s_mul_f32 s0, s0, 0x5f7ffffc
	s_delay_alu instid0(SALU_CYCLE_3) | instskip(NEXT) | instid1(SALU_CYCLE_3)
	s_mul_f32 s2, s0, 0x2f800000
	s_trunc_f32 s2, s2
	s_delay_alu instid0(SALU_CYCLE_3) | instskip(SKIP_1) | instid1(SALU_CYCLE_2)
	s_fmamk_f32 s0, s2, 0xcf800000, s0
	s_cvt_u32_f32 s93, s2
	s_cvt_u32_f32 s92, s0
	s_delay_alu instid0(SALU_CYCLE_3) | instskip(NEXT) | instid1(SALU_CYCLE_1)
	s_mul_u64 s[96:97], s[94:95], s[92:93]
	s_mul_hi_u32 s99, s92, s97
	s_mul_i32 s98, s92, s97
	s_mul_hi_u32 s2, s92, s96
	s_mul_i32 s87, s93, s96
	s_add_nc_u64 s[98:99], s[2:3], s[98:99]
	s_mul_hi_u32 s0, s93, s96
	s_mul_hi_u32 s100, s93, s97
	s_add_co_u32 s2, s98, s87
	s_add_co_ci_u32 s2, s99, s0
	s_mul_i32 s96, s93, s97
	s_add_co_ci_u32 s97, s100, 0
	s_delay_alu instid0(SALU_CYCLE_1) | instskip(NEXT) | instid1(SALU_CYCLE_1)
	s_add_nc_u64 s[96:97], s[2:3], s[96:97]
	s_add_co_u32 s92, s92, s96
	s_cselect_b32 s0, -1, 0
	s_delay_alu instid0(SALU_CYCLE_1) | instskip(SKIP_1) | instid1(SALU_CYCLE_1)
	s_cmp_lg_u32 s0, 0
	s_add_co_ci_u32 s93, s93, s97
	s_mul_u64 s[94:95], s[94:95], s[92:93]
	s_delay_alu instid0(SALU_CYCLE_1)
	s_mul_hi_u32 s97, s92, s95
	s_mul_i32 s96, s92, s95
	s_mul_hi_u32 s2, s92, s94
	s_mul_i32 s87, s93, s94
	s_add_nc_u64 s[96:97], s[2:3], s[96:97]
	s_mul_hi_u32 s0, s93, s94
	s_mul_hi_u32 s98, s93, s95
	s_add_co_u32 s2, s96, s87
	s_add_co_ci_u32 s2, s97, s0
	s_mul_i32 s94, s93, s95
	s_add_co_ci_u32 s95, s98, 0
	s_delay_alu instid0(SALU_CYCLE_1) | instskip(NEXT) | instid1(SALU_CYCLE_1)
	s_add_nc_u64 s[94:95], s[2:3], s[94:95]
	s_add_co_u32 s0, s92, s94
	s_cselect_b32 s2, -1, 0
	v_nop
	v_mul_hi_u32 v46, v32, s0
	s_cmp_lg_u32 s2, 0
	s_add_co_ci_u32 s2, s93, s95
	s_and_b64 s[92:93], s[0:1], s[72:73]
	v_mul_u64_e32 v[40:41], s[2:3], v[32:33]
	v_mul_u64_e32 v[22:23], s[92:93], v[42:43]
	v_mul_u64_e32 v[44:45], s[2:3], v[42:43]
	s_delay_alu instid0(VALU_DEP_3) | instskip(NEXT) | instid1(VALU_DEP_1)
	v_add_nc_u64_e32 v[40:41], v[46:47], v[40:41]
	v_add_co_u32 v3, vcc_lo, v40, v22
	s_delay_alu instid0(VALU_DEP_2) | instskip(NEXT) | instid1(VALU_DEP_4)
	v_add_co_ci_u32_e32 v46, vcc_lo, v41, v23, vcc_lo
	v_add_co_ci_u32_e32 v45, vcc_lo, 0, v45, vcc_lo
	s_delay_alu instid0(VALU_DEP_1) | instskip(NEXT) | instid1(VALU_DEP_1)
	v_add_nc_u64_e32 v[22:23], v[46:47], v[44:45]
	v_mul_u64_e32 v[40:41], s[88:89], v[22:23]
	s_delay_alu instid0(VALU_DEP_1) | instskip(SKIP_1) | instid1(VALU_DEP_3)
	v_sub_co_u32 v25, vcc_lo, v32, v40
	v_add_nc_u64_e32 v[32:33], 2, v[22:23]
	v_sub_nc_u32_e32 v3, v42, v41
	v_sub_co_ci_u32_e64 v29, null, v42, v41, vcc_lo
	s_delay_alu instid0(VALU_DEP_4) | instskip(NEXT) | instid1(VALU_DEP_3)
	v_sub_co_u32 v27, s0, v25, s88
	v_subrev_co_ci_u32_e64 v3, null, s89, v3, vcc_lo
	v_add_nc_u64_e32 v[40:41], 1, v[22:23]
	s_delay_alu instid0(VALU_DEP_3) | instskip(NEXT) | instid1(VALU_DEP_3)
	v_cmp_le_u32_e32 vcc_lo, s88, v27
	v_subrev_co_ci_u32_e64 v3, null, 0, v3, s0
	v_cndmask_b32_e64 v27, 0, -1, vcc_lo
	s_delay_alu instid0(VALU_DEP_2)
	v_cmp_le_u32_e32 vcc_lo, s89, v3
	v_cndmask_b32_e64 v31, 0, -1, vcc_lo
	v_cmp_le_u32_e32 vcc_lo, s88, v25
	v_cndmask_b32_e64 v25, 0, -1, vcc_lo
	;; [unrolled: 2-line block ×3, first 2 shown]
	v_cmp_eq_u32_e32 vcc_lo, s89, v3
	v_cndmask_b32_e32 v3, v31, v27, vcc_lo
	v_cmp_eq_u32_e32 vcc_lo, s89, v29
	s_delay_alu instid0(VALU_DEP_4) | instskip(NEXT) | instid1(VALU_DEP_3)
	v_cndmask_b32_e32 v25, v42, v25, vcc_lo
	v_cmp_ne_u32_e32 vcc_lo, 0, v3
	s_delay_alu instid0(VALU_DEP_2) | instskip(SKIP_1) | instid1(VALU_DEP_1)
	v_cmp_ne_u32_e64 s0, 0, v25
	v_dual_cndmask_b32 v3, v41, v33, vcc_lo :: v_dual_cndmask_b32 v25, v40, v32, vcc_lo
                                        ; implicit-def: $vgpr32_vgpr33
	v_dual_cndmask_b32 v3, v23, v3, s0 :: v_dual_cndmask_b32 v22, v22, v25, s0
	s_delay_alu instid0(VALU_DEP_1) | instskip(NEXT) | instid1(VALU_DEP_2)
	v_dual_mov_b32 v25, v24 :: v_dual_bitop2_b32 v23, v3, v24 bitop3:0x14
	v_xor_b32_e32 v22, v22, v24
	s_delay_alu instid0(VALU_DEP_1)
	v_sub_nc_u64_e32 v[22:23], v[22:23], v[24:25]
.LBB19_26:                              ;   in Loop: Header=BB19_4 Depth=1
	s_or_saveexec_b32 s0, s91
	v_cvt_f32_u32_e32 v31, s52
	s_xor_b32 exec_lo, exec_lo, s0
	s_cbranch_execz .LBB19_28
; %bb.27:                               ;   in Loop: Header=BB19_4 Depth=1
	s_delay_alu instid0(VALU_DEP_1) | instskip(SKIP_2) | instid1(TRANS32_DEP_1)
	v_rcp_iflag_f32_e32 v3, v31
	s_sub_co_i32 s2, 0, s52
	v_nop
	v_mul_f32_e32 v3, 0x4f7ffffe, v3
	s_delay_alu instid0(VALU_DEP_1) | instskip(NEXT) | instid1(VALU_DEP_1)
	v_cvt_u32_f32_e32 v3, v3
	v_mul_lo_u32 v22, s2, v3
	s_delay_alu instid0(VALU_DEP_1) | instskip(NEXT) | instid1(VALU_DEP_1)
	v_mul_hi_u32 v22, v3, v22
	v_add_nc_u32_e32 v3, v3, v22
	s_delay_alu instid0(VALU_DEP_1) | instskip(NEXT) | instid1(VALU_DEP_1)
	v_mul_hi_u32 v3, v32, v3
	v_mul_lo_u32 v22, v3, s52
	s_delay_alu instid0(VALU_DEP_1) | instskip(NEXT) | instid1(VALU_DEP_1)
	v_dual_add_nc_u32 v23, 1, v3 :: v_dual_sub_nc_u32 v22, v32, v22
	v_subrev_nc_u32_e32 v24, s52, v22
	v_cmp_le_u32_e32 vcc_lo, s52, v22
	s_delay_alu instid0(VALU_DEP_2) | instskip(NEXT) | instid1(VALU_DEP_1)
	v_dual_cndmask_b32 v22, v22, v24 :: v_dual_cndmask_b32 v3, v3, v23
	v_cmp_le_u32_e32 vcc_lo, s52, v22
	s_delay_alu instid0(VALU_DEP_2) | instskip(NEXT) | instid1(VALU_DEP_1)
	v_add_nc_u32_e32 v23, 1, v3
	v_dual_cndmask_b32 v22, v3, v23 :: v_dual_mov_b32 v23, v2
.LBB19_28:                              ;   in Loop: Header=BB19_4 Depth=1
	s_or_b32 exec_lo, exec_lo, s0
	v_or_b32_e32 v3, s53, v35
                                        ; implicit-def: $vgpr24_vgpr25
	s_mov_b32 s0, exec_lo
	s_delay_alu instid0(VALU_DEP_1)
	v_cmpx_ne_u64_e32 0, v[2:3]
	s_xor_b32 s91, exec_lo, s0
	s_cbranch_execz .LBB19_30
; %bb.29:                               ;   in Loop: Header=BB19_4 Depth=1
	s_ashr_i32 s86, s53, 31
	v_dual_mov_b32 v27, v26 :: v_dual_mov_b32 v33, v2
	s_mov_b32 s87, s86
	v_mov_b32_e32 v41, v2
	s_add_nc_u64 s[88:89], s[52:53], s[86:87]
	s_delay_alu instid0(VALU_DEP_2)
	v_add_nc_u64_e32 v[24:25], v[34:35], v[26:27]
	s_xor_b64 s[88:89], s[88:89], s[86:87]
	v_mov_b32_e32 v45, v2
	s_cvt_f32_u32 s0, s88
	s_cvt_f32_u32 s2, s89
	s_sub_nc_u64 s[94:95], 0, s[88:89]
	s_delay_alu instid0(VALU_DEP_2) | instskip(NEXT) | instid1(SALU_CYCLE_1)
	v_xor_b32_e32 v32, v24, v26
	s_fmamk_f32 s0, s2, 0x4f800000, s0
	v_xor_b32_e32 v40, v25, v26
	v_xor_b32_e32 v26, s86, v26
	s_delay_alu instid0(SALU_CYCLE_1) | instskip(NEXT) | instid1(TRANS32_DEP_1)
	v_s_rcp_f32 s0, s0
	s_mul_f32 s0, s0, 0x5f7ffffc
	s_delay_alu instid0(SALU_CYCLE_3) | instskip(NEXT) | instid1(SALU_CYCLE_3)
	s_mul_f32 s2, s0, 0x2f800000
	s_trunc_f32 s2, s2
	s_delay_alu instid0(SALU_CYCLE_3) | instskip(SKIP_1) | instid1(SALU_CYCLE_2)
	s_fmamk_f32 s0, s2, 0xcf800000, s0
	s_cvt_u32_f32 s93, s2
	s_cvt_u32_f32 s92, s0
	s_delay_alu instid0(SALU_CYCLE_3) | instskip(NEXT) | instid1(SALU_CYCLE_1)
	s_mul_u64 s[96:97], s[94:95], s[92:93]
	s_mul_hi_u32 s99, s92, s97
	s_mul_i32 s98, s92, s97
	s_mul_hi_u32 s2, s92, s96
	s_mul_i32 s87, s93, s96
	s_add_nc_u64 s[98:99], s[2:3], s[98:99]
	s_mul_hi_u32 s0, s93, s96
	s_mul_hi_u32 s100, s93, s97
	s_add_co_u32 s2, s98, s87
	s_add_co_ci_u32 s2, s99, s0
	s_mul_i32 s96, s93, s97
	s_add_co_ci_u32 s97, s100, 0
	s_delay_alu instid0(SALU_CYCLE_1) | instskip(NEXT) | instid1(SALU_CYCLE_1)
	s_add_nc_u64 s[96:97], s[2:3], s[96:97]
	s_add_co_u32 s92, s92, s96
	s_cselect_b32 s0, -1, 0
	s_delay_alu instid0(SALU_CYCLE_1) | instskip(SKIP_1) | instid1(SALU_CYCLE_1)
	s_cmp_lg_u32 s0, 0
	s_add_co_ci_u32 s93, s93, s97
	s_mul_u64 s[94:95], s[94:95], s[92:93]
	s_delay_alu instid0(SALU_CYCLE_1)
	s_mul_hi_u32 s97, s92, s95
	s_mul_i32 s96, s92, s95
	s_mul_hi_u32 s2, s92, s94
	s_mul_i32 s87, s93, s94
	s_add_nc_u64 s[96:97], s[2:3], s[96:97]
	s_mul_hi_u32 s0, s93, s94
	s_mul_hi_u32 s98, s93, s95
	s_add_co_u32 s2, s96, s87
	s_add_co_ci_u32 s2, s97, s0
	s_mul_i32 s94, s93, s95
	s_add_co_ci_u32 s95, s98, 0
	s_delay_alu instid0(SALU_CYCLE_1) | instskip(NEXT) | instid1(SALU_CYCLE_1)
	s_add_nc_u64 s[94:95], s[2:3], s[94:95]
	s_add_co_u32 s0, s92, s94
	s_cselect_b32 s2, -1, 0
	v_nop
	v_mul_hi_u32 v44, v32, s0
	s_cmp_lg_u32 s2, 0
	s_add_co_ci_u32 s2, s93, s95
	s_and_b64 s[92:93], s[0:1], s[72:73]
	v_mul_u64_e32 v[34:35], s[2:3], v[32:33]
	v_mul_u64_e32 v[24:25], s[92:93], v[40:41]
	;; [unrolled: 1-line block ×3, first 2 shown]
	s_delay_alu instid0(VALU_DEP_3) | instskip(NEXT) | instid1(VALU_DEP_1)
	v_add_nc_u64_e32 v[34:35], v[44:45], v[34:35]
	v_add_co_u32 v3, vcc_lo, v34, v24
	s_delay_alu instid0(VALU_DEP_2) | instskip(NEXT) | instid1(VALU_DEP_4)
	v_add_co_ci_u32_e32 v44, vcc_lo, v35, v25, vcc_lo
	v_add_co_ci_u32_e32 v43, vcc_lo, 0, v43, vcc_lo
	s_delay_alu instid0(VALU_DEP_1) | instskip(NEXT) | instid1(VALU_DEP_1)
	v_add_nc_u64_e32 v[24:25], v[44:45], v[42:43]
	v_mul_u64_e32 v[34:35], s[88:89], v[24:25]
	s_delay_alu instid0(VALU_DEP_1) | instskip(NEXT) | instid1(VALU_DEP_2)
	v_sub_nc_u32_e32 v3, v40, v35
	v_sub_co_u32 v27, vcc_lo, v32, v34
	s_delay_alu instid0(VALU_DEP_1) | instskip(NEXT) | instid1(VALU_DEP_3)
	v_sub_co_ci_u32_e64 v40, null, v40, v35, vcc_lo
	v_subrev_co_ci_u32_e64 v3, null, s89, v3, vcc_lo
	s_delay_alu instid0(VALU_DEP_3) | instskip(SKIP_1) | instid1(VALU_DEP_3)
	v_sub_co_u32 v29, s0, v27, s88
	v_add_nc_u64_e32 v[34:35], 1, v[24:25]
	v_subrev_co_ci_u32_e64 v3, null, 0, v3, s0
	s_delay_alu instid0(VALU_DEP_3) | instskip(SKIP_1) | instid1(VALU_DEP_3)
	v_cmp_le_u32_e32 vcc_lo, s88, v29
	v_cndmask_b32_e64 v29, 0, -1, vcc_lo
	v_cmp_le_u32_e32 vcc_lo, s89, v3
	v_cndmask_b32_e64 v32, 0, -1, vcc_lo
	;; [unrolled: 2-line block ×4, first 2 shown]
	v_cmp_eq_u32_e32 vcc_lo, s89, v3
	v_cndmask_b32_e32 v3, v32, v29, vcc_lo
	v_cmp_eq_u32_e32 vcc_lo, s89, v40
	v_add_nc_u64_e32 v[32:33], 2, v[24:25]
	v_cndmask_b32_e32 v27, v41, v27, vcc_lo
	s_delay_alu instid0(VALU_DEP_4) | instskip(NEXT) | instid1(VALU_DEP_2)
	v_cmp_ne_u32_e32 vcc_lo, 0, v3
	v_cmp_ne_u32_e64 s0, 0, v27
	s_delay_alu instid0(VALU_DEP_4) | instskip(NEXT) | instid1(VALU_DEP_1)
	v_dual_cndmask_b32 v3, v35, v33, vcc_lo :: v_dual_cndmask_b32 v27, v34, v32, vcc_lo
                                        ; implicit-def: $vgpr34_vgpr35
	v_cndmask_b32_e64 v3, v25, v3, s0
	s_delay_alu instid0(VALU_DEP_2) | instskip(NEXT) | instid1(VALU_DEP_2)
	v_dual_cndmask_b32 v24, v24, v27, s0 :: v_dual_mov_b32 v27, v26
	v_xor_b32_e32 v25, v3, v26
	s_delay_alu instid0(VALU_DEP_2) | instskip(NEXT) | instid1(VALU_DEP_1)
	v_xor_b32_e32 v24, v24, v26
	v_sub_nc_u64_e32 v[24:25], v[24:25], v[26:27]
.LBB19_30:                              ;   in Loop: Header=BB19_4 Depth=1
	s_and_not1_saveexec_b32 s0, s91
	s_cbranch_execz .LBB19_32
; %bb.31:                               ;   in Loop: Header=BB19_4 Depth=1
	v_rcp_iflag_f32_e32 v3, v31
	s_sub_co_i32 s2, 0, s52
	v_nop
	s_delay_alu instid0(TRANS32_DEP_1) | instskip(NEXT) | instid1(VALU_DEP_1)
	v_mul_f32_e32 v3, 0x4f7ffffe, v3
	v_cvt_u32_f32_e32 v3, v3
	s_delay_alu instid0(VALU_DEP_1) | instskip(NEXT) | instid1(VALU_DEP_1)
	v_mul_lo_u32 v24, s2, v3
	v_mul_hi_u32 v24, v3, v24
	s_delay_alu instid0(VALU_DEP_1) | instskip(NEXT) | instid1(VALU_DEP_1)
	v_add_nc_u32_e32 v3, v3, v24
	v_mul_hi_u32 v3, v34, v3
	s_delay_alu instid0(VALU_DEP_1) | instskip(NEXT) | instid1(VALU_DEP_1)
	v_mul_lo_u32 v24, v3, s52
	v_dual_add_nc_u32 v25, 1, v3 :: v_dual_sub_nc_u32 v24, v34, v24
	s_delay_alu instid0(VALU_DEP_1) | instskip(SKIP_1) | instid1(VALU_DEP_2)
	v_subrev_nc_u32_e32 v26, s52, v24
	v_cmp_le_u32_e32 vcc_lo, s52, v24
	v_dual_cndmask_b32 v24, v24, v26 :: v_dual_cndmask_b32 v3, v3, v25
	s_delay_alu instid0(VALU_DEP_1) | instskip(NEXT) | instid1(VALU_DEP_2)
	v_cmp_le_u32_e32 vcc_lo, s52, v24
	v_add_nc_u32_e32 v25, 1, v3
	s_delay_alu instid0(VALU_DEP_1)
	v_dual_cndmask_b32 v24, v3, v25 :: v_dual_mov_b32 v25, v2
.LBB19_32:                              ;   in Loop: Header=BB19_4 Depth=1
	s_or_b32 exec_lo, exec_lo, s0
	v_or_b32_e32 v3, s53, v37
                                        ; implicit-def: $vgpr26_vgpr27
	s_mov_b32 s0, exec_lo
	s_delay_alu instid0(VALU_DEP_1)
	v_cmpx_ne_u64_e32 0, v[2:3]
	s_xor_b32 s91, exec_lo, s0
	s_cbranch_execz .LBB19_34
; %bb.33:                               ;   in Loop: Header=BB19_4 Depth=1
	s_ashr_i32 s86, s53, 31
	v_dual_mov_b32 v29, v28 :: v_dual_mov_b32 v33, v2
	s_mov_b32 s87, s86
	v_mov_b32_e32 v43, v2
	s_add_nc_u64 s[88:89], s[52:53], s[86:87]
	s_delay_alu instid0(VALU_DEP_2)
	v_add_nc_u64_e32 v[26:27], v[36:37], v[28:29]
	s_xor_b64 s[88:89], s[88:89], s[86:87]
	v_mov_b32_e32 v37, v2
	s_cvt_f32_u32 s0, s88
	s_cvt_f32_u32 s2, s89
	s_sub_nc_u64 s[94:95], 0, s[88:89]
	s_delay_alu instid0(VALU_DEP_2) | instskip(NEXT) | instid1(SALU_CYCLE_1)
	v_xor_b32_e32 v36, v27, v28
	s_fmamk_f32 s0, s2, 0x4f800000, s0
	v_xor_b32_e32 v32, v26, v28
	v_xor_b32_e32 v28, s86, v28
	s_delay_alu instid0(SALU_CYCLE_1) | instskip(NEXT) | instid1(TRANS32_DEP_1)
	v_s_rcp_f32 s0, s0
	s_mul_f32 s0, s0, 0x5f7ffffc
	s_delay_alu instid0(SALU_CYCLE_3) | instskip(NEXT) | instid1(SALU_CYCLE_3)
	s_mul_f32 s2, s0, 0x2f800000
	s_trunc_f32 s2, s2
	s_delay_alu instid0(SALU_CYCLE_3) | instskip(SKIP_1) | instid1(SALU_CYCLE_2)
	s_fmamk_f32 s0, s2, 0xcf800000, s0
	s_cvt_u32_f32 s93, s2
	s_cvt_u32_f32 s92, s0
	s_delay_alu instid0(SALU_CYCLE_3) | instskip(NEXT) | instid1(SALU_CYCLE_1)
	s_mul_u64 s[96:97], s[94:95], s[92:93]
	s_mul_hi_u32 s99, s92, s97
	s_mul_i32 s98, s92, s97
	s_mul_hi_u32 s2, s92, s96
	s_mul_i32 s87, s93, s96
	s_add_nc_u64 s[98:99], s[2:3], s[98:99]
	s_mul_hi_u32 s0, s93, s96
	s_mul_hi_u32 s100, s93, s97
	s_add_co_u32 s2, s98, s87
	s_add_co_ci_u32 s2, s99, s0
	s_mul_i32 s96, s93, s97
	s_add_co_ci_u32 s97, s100, 0
	s_delay_alu instid0(SALU_CYCLE_1) | instskip(NEXT) | instid1(SALU_CYCLE_1)
	s_add_nc_u64 s[96:97], s[2:3], s[96:97]
	s_add_co_u32 s92, s92, s96
	s_cselect_b32 s0, -1, 0
	s_delay_alu instid0(SALU_CYCLE_1) | instskip(SKIP_1) | instid1(SALU_CYCLE_1)
	s_cmp_lg_u32 s0, 0
	s_add_co_ci_u32 s93, s93, s97
	s_mul_u64 s[94:95], s[94:95], s[92:93]
	s_delay_alu instid0(SALU_CYCLE_1)
	s_mul_hi_u32 s97, s92, s95
	s_mul_i32 s96, s92, s95
	s_mul_hi_u32 s2, s92, s94
	s_mul_i32 s87, s93, s94
	s_add_nc_u64 s[96:97], s[2:3], s[96:97]
	s_mul_hi_u32 s0, s93, s94
	s_mul_hi_u32 s98, s93, s95
	s_add_co_u32 s2, s96, s87
	s_add_co_ci_u32 s2, s97, s0
	s_mul_i32 s94, s93, s95
	s_add_co_ci_u32 s95, s98, 0
	s_delay_alu instid0(SALU_CYCLE_1) | instskip(NEXT) | instid1(SALU_CYCLE_1)
	s_add_nc_u64 s[94:95], s[2:3], s[94:95]
	s_add_co_u32 s0, s92, s94
	s_cselect_b32 s2, -1, 0
	v_nop
	v_mul_hi_u32 v42, v32, s0
	s_cmp_lg_u32 s2, 0
	s_add_co_ci_u32 s2, s93, s95
	s_and_b64 s[92:93], s[0:1], s[72:73]
	v_mul_u64_e32 v[34:35], s[2:3], v[32:33]
	v_mul_u64_e32 v[26:27], s[92:93], v[36:37]
	;; [unrolled: 1-line block ×3, first 2 shown]
	s_delay_alu instid0(VALU_DEP_3) | instskip(NEXT) | instid1(VALU_DEP_1)
	v_add_nc_u64_e32 v[34:35], v[42:43], v[34:35]
	v_add_co_u32 v3, vcc_lo, v34, v26
	s_delay_alu instid0(VALU_DEP_2) | instskip(NEXT) | instid1(VALU_DEP_4)
	v_add_co_ci_u32_e32 v42, vcc_lo, v35, v27, vcc_lo
	v_add_co_ci_u32_e32 v41, vcc_lo, 0, v41, vcc_lo
	s_delay_alu instid0(VALU_DEP_1) | instskip(NEXT) | instid1(VALU_DEP_1)
	v_add_nc_u64_e32 v[26:27], v[42:43], v[40:41]
	v_mul_u64_e32 v[34:35], s[88:89], v[26:27]
	s_delay_alu instid0(VALU_DEP_1) | instskip(NEXT) | instid1(VALU_DEP_2)
	v_sub_nc_u32_e32 v3, v36, v35
	v_sub_co_u32 v29, vcc_lo, v32, v34
	s_delay_alu instid0(VALU_DEP_1) | instskip(NEXT) | instid1(VALU_DEP_3)
	v_sub_co_ci_u32_e64 v36, null, v36, v35, vcc_lo
	v_subrev_co_ci_u32_e64 v3, null, s89, v3, vcc_lo
	s_delay_alu instid0(VALU_DEP_3) | instskip(SKIP_1) | instid1(VALU_DEP_3)
	v_sub_co_u32 v32, s0, v29, s88
	v_add_nc_u64_e32 v[34:35], 1, v[26:27]
	v_subrev_co_ci_u32_e64 v3, null, 0, v3, s0
	s_delay_alu instid0(VALU_DEP_3) | instskip(SKIP_1) | instid1(VALU_DEP_3)
	v_cmp_le_u32_e32 vcc_lo, s88, v32
	v_cndmask_b32_e64 v32, 0, -1, vcc_lo
	v_cmp_le_u32_e32 vcc_lo, s89, v3
	v_cndmask_b32_e64 v33, 0, -1, vcc_lo
	;; [unrolled: 2-line block ×4, first 2 shown]
	v_cmp_eq_u32_e32 vcc_lo, s89, v3
	v_cndmask_b32_e32 v3, v33, v32, vcc_lo
	v_cmp_eq_u32_e32 vcc_lo, s89, v36
	v_add_nc_u64_e32 v[32:33], 2, v[26:27]
	v_cndmask_b32_e32 v29, v37, v29, vcc_lo
	s_delay_alu instid0(VALU_DEP_4) | instskip(NEXT) | instid1(VALU_DEP_2)
	v_cmp_ne_u32_e32 vcc_lo, 0, v3
                                        ; implicit-def: $vgpr36_vgpr37
	v_cmp_ne_u32_e64 s0, 0, v29
	s_delay_alu instid0(VALU_DEP_4) | instskip(NEXT) | instid1(VALU_DEP_1)
	v_dual_cndmask_b32 v3, v35, v33, vcc_lo :: v_dual_cndmask_b32 v29, v34, v32, vcc_lo
	v_dual_cndmask_b32 v3, v27, v3, s0 :: v_dual_cndmask_b32 v26, v26, v29, s0
	s_delay_alu instid0(VALU_DEP_1) | instskip(NEXT) | instid1(VALU_DEP_2)
	v_dual_mov_b32 v29, v28 :: v_dual_bitop2_b32 v27, v3, v28 bitop3:0x14
	v_xor_b32_e32 v26, v26, v28
	s_delay_alu instid0(VALU_DEP_1)
	v_sub_nc_u64_e32 v[26:27], v[26:27], v[28:29]
.LBB19_34:                              ;   in Loop: Header=BB19_4 Depth=1
	s_and_not1_saveexec_b32 s0, s91
	s_cbranch_execz .LBB19_36
; %bb.35:                               ;   in Loop: Header=BB19_4 Depth=1
	v_rcp_iflag_f32_e32 v3, v31
	s_sub_co_i32 s2, 0, s52
	v_nop
	s_delay_alu instid0(TRANS32_DEP_1) | instskip(NEXT) | instid1(VALU_DEP_1)
	v_mul_f32_e32 v3, 0x4f7ffffe, v3
	v_cvt_u32_f32_e32 v3, v3
	s_delay_alu instid0(VALU_DEP_1) | instskip(NEXT) | instid1(VALU_DEP_1)
	v_mul_lo_u32 v26, s2, v3
	v_mul_hi_u32 v26, v3, v26
	s_delay_alu instid0(VALU_DEP_1) | instskip(NEXT) | instid1(VALU_DEP_1)
	v_add_nc_u32_e32 v3, v3, v26
	v_mul_hi_u32 v3, v36, v3
	s_delay_alu instid0(VALU_DEP_1) | instskip(NEXT) | instid1(VALU_DEP_1)
	v_mul_lo_u32 v26, v3, s52
	v_dual_add_nc_u32 v27, 1, v3 :: v_dual_sub_nc_u32 v26, v36, v26
	s_delay_alu instid0(VALU_DEP_1) | instskip(SKIP_1) | instid1(VALU_DEP_2)
	v_subrev_nc_u32_e32 v28, s52, v26
	v_cmp_le_u32_e32 vcc_lo, s52, v26
	v_dual_cndmask_b32 v26, v26, v28 :: v_dual_cndmask_b32 v3, v3, v27
	s_delay_alu instid0(VALU_DEP_1) | instskip(NEXT) | instid1(VALU_DEP_2)
	v_cmp_le_u32_e32 vcc_lo, s52, v26
	v_add_nc_u32_e32 v27, 1, v3
	s_delay_alu instid0(VALU_DEP_1)
	v_dual_cndmask_b32 v26, v3, v27 :: v_dual_mov_b32 v27, v2
.LBB19_36:                              ;   in Loop: Header=BB19_4 Depth=1
	s_or_b32 exec_lo, exec_lo, s0
	v_or_b32_e32 v3, s53, v39
                                        ; implicit-def: $vgpr28_vgpr29
	s_mov_b32 s0, exec_lo
	s_delay_alu instid0(VALU_DEP_1)
	v_cmpx_ne_u64_e32 0, v[2:3]
	s_xor_b32 s91, exec_lo, s0
	s_cbranch_execz .LBB19_38
; %bb.37:                               ;   in Loop: Header=BB19_4 Depth=1
	s_ashr_i32 s86, s53, 31
	v_dual_mov_b32 v31, v30 :: v_dual_mov_b32 v33, v2
	s_mov_b32 s87, s86
	v_mov_b32_e32 v37, v2
	s_add_nc_u64 s[88:89], s[52:53], s[86:87]
	s_delay_alu instid0(VALU_DEP_2)
	v_add_nc_u64_e32 v[28:29], v[38:39], v[30:31]
	s_xor_b64 s[88:89], s[88:89], s[86:87]
	v_mov_b32_e32 v41, v2
	s_cvt_f32_u32 s0, s88
	s_cvt_f32_u32 s2, s89
	s_sub_nc_u64 s[94:95], 0, s[88:89]
	s_delay_alu instid0(VALU_DEP_2) | instskip(NEXT) | instid1(SALU_CYCLE_1)
	v_xor_b32_e32 v32, v28, v30
	s_fmamk_f32 s0, s2, 0x4f800000, s0
	v_xor_b32_e32 v36, v29, v30
	v_xor_b32_e32 v30, s86, v30
	s_delay_alu instid0(SALU_CYCLE_1) | instskip(NEXT) | instid1(TRANS32_DEP_1)
	v_s_rcp_f32 s0, s0
	s_mul_f32 s0, s0, 0x5f7ffffc
	s_delay_alu instid0(SALU_CYCLE_3) | instskip(NEXT) | instid1(SALU_CYCLE_3)
	s_mul_f32 s2, s0, 0x2f800000
	s_trunc_f32 s2, s2
	s_delay_alu instid0(SALU_CYCLE_3) | instskip(SKIP_1) | instid1(SALU_CYCLE_2)
	s_fmamk_f32 s0, s2, 0xcf800000, s0
	s_cvt_u32_f32 s93, s2
	s_cvt_u32_f32 s92, s0
	s_delay_alu instid0(SALU_CYCLE_3) | instskip(NEXT) | instid1(SALU_CYCLE_1)
	s_mul_u64 s[96:97], s[94:95], s[92:93]
	s_mul_hi_u32 s99, s92, s97
	s_mul_i32 s98, s92, s97
	s_mul_hi_u32 s2, s92, s96
	s_mul_i32 s87, s93, s96
	s_add_nc_u64 s[98:99], s[2:3], s[98:99]
	s_mul_hi_u32 s0, s93, s96
	s_mul_hi_u32 s100, s93, s97
	s_add_co_u32 s2, s98, s87
	s_add_co_ci_u32 s2, s99, s0
	s_mul_i32 s96, s93, s97
	s_add_co_ci_u32 s97, s100, 0
	s_delay_alu instid0(SALU_CYCLE_1) | instskip(NEXT) | instid1(SALU_CYCLE_1)
	s_add_nc_u64 s[96:97], s[2:3], s[96:97]
	s_add_co_u32 s92, s92, s96
	s_cselect_b32 s0, -1, 0
	s_delay_alu instid0(SALU_CYCLE_1) | instskip(SKIP_1) | instid1(SALU_CYCLE_1)
	s_cmp_lg_u32 s0, 0
	s_add_co_ci_u32 s93, s93, s97
	s_mul_u64 s[94:95], s[94:95], s[92:93]
	s_delay_alu instid0(SALU_CYCLE_1)
	s_mul_hi_u32 s97, s92, s95
	s_mul_i32 s96, s92, s95
	s_mul_hi_u32 s2, s92, s94
	s_mul_i32 s87, s93, s94
	s_add_nc_u64 s[96:97], s[2:3], s[96:97]
	s_mul_hi_u32 s0, s93, s94
	s_mul_hi_u32 s98, s93, s95
	s_add_co_u32 s2, s96, s87
	s_add_co_ci_u32 s2, s97, s0
	s_mul_i32 s94, s93, s95
	s_add_co_ci_u32 s95, s98, 0
	s_delay_alu instid0(SALU_CYCLE_1) | instskip(NEXT) | instid1(SALU_CYCLE_1)
	s_add_nc_u64 s[94:95], s[2:3], s[94:95]
	s_add_co_u32 s0, s92, s94
	s_cselect_b32 s2, -1, 0
	v_nop
	v_mul_hi_u32 v40, v32, s0
	s_cmp_lg_u32 s2, 0
	s_add_co_ci_u32 s2, s93, s95
	s_and_b64 s[92:93], s[0:1], s[72:73]
	v_mul_u64_e32 v[34:35], s[2:3], v[32:33]
	v_mul_u64_e32 v[28:29], s[92:93], v[36:37]
	;; [unrolled: 1-line block ×3, first 2 shown]
	s_delay_alu instid0(VALU_DEP_3) | instskip(NEXT) | instid1(VALU_DEP_1)
	v_add_nc_u64_e32 v[34:35], v[40:41], v[34:35]
	v_add_co_u32 v3, vcc_lo, v34, v28
	s_delay_alu instid0(VALU_DEP_2) | instskip(NEXT) | instid1(VALU_DEP_4)
	v_add_co_ci_u32_e32 v40, vcc_lo, v35, v29, vcc_lo
	v_add_co_ci_u32_e32 v39, vcc_lo, 0, v39, vcc_lo
	s_delay_alu instid0(VALU_DEP_1) | instskip(NEXT) | instid1(VALU_DEP_1)
	v_add_nc_u64_e32 v[28:29], v[40:41], v[38:39]
                                        ; implicit-def: $vgpr38_vgpr39
	v_mul_u64_e32 v[34:35], s[88:89], v[28:29]
	s_delay_alu instid0(VALU_DEP_1) | instskip(NEXT) | instid1(VALU_DEP_2)
	v_sub_nc_u32_e32 v3, v36, v35
	v_sub_co_u32 v31, vcc_lo, v32, v34
	s_delay_alu instid0(VALU_DEP_1) | instskip(NEXT) | instid1(VALU_DEP_3)
	v_sub_co_ci_u32_e64 v36, null, v36, v35, vcc_lo
	v_subrev_co_ci_u32_e64 v3, null, s89, v3, vcc_lo
	s_delay_alu instid0(VALU_DEP_3) | instskip(SKIP_1) | instid1(VALU_DEP_3)
	v_sub_co_u32 v32, s0, v31, s88
	v_add_nc_u64_e32 v[34:35], 1, v[28:29]
	v_subrev_co_ci_u32_e64 v3, null, 0, v3, s0
	s_delay_alu instid0(VALU_DEP_3) | instskip(SKIP_1) | instid1(VALU_DEP_3)
	v_cmp_le_u32_e32 vcc_lo, s88, v32
	v_cndmask_b32_e64 v32, 0, -1, vcc_lo
	v_cmp_le_u32_e32 vcc_lo, s89, v3
	v_cndmask_b32_e64 v33, 0, -1, vcc_lo
	;; [unrolled: 2-line block ×4, first 2 shown]
	v_cmp_eq_u32_e32 vcc_lo, s89, v3
	v_cndmask_b32_e32 v3, v33, v32, vcc_lo
	v_cmp_eq_u32_e32 vcc_lo, s89, v36
	v_add_nc_u64_e32 v[32:33], 2, v[28:29]
	v_cndmask_b32_e32 v31, v37, v31, vcc_lo
	s_delay_alu instid0(VALU_DEP_4) | instskip(NEXT) | instid1(VALU_DEP_3)
	v_cmp_ne_u32_e32 vcc_lo, 0, v3
	v_cndmask_b32_e32 v3, v35, v33, vcc_lo
	s_delay_alu instid0(VALU_DEP_3) | instskip(NEXT) | instid1(VALU_DEP_1)
	v_cmp_ne_u32_e64 s0, 0, v31
	v_dual_cndmask_b32 v31, v34, v32, vcc_lo :: v_dual_cndmask_b32 v3, v29, v3, s0
	s_delay_alu instid0(VALU_DEP_1) | instskip(NEXT) | instid1(VALU_DEP_2)
	v_dual_cndmask_b32 v28, v28, v31, s0 :: v_dual_mov_b32 v31, v30
	v_xor_b32_e32 v29, v3, v30
	s_delay_alu instid0(VALU_DEP_2) | instskip(NEXT) | instid1(VALU_DEP_1)
	v_xor_b32_e32 v28, v28, v30
	v_sub_nc_u64_e32 v[28:29], v[28:29], v[30:31]
                                        ; implicit-def: $vgpr31
.LBB19_38:                              ;   in Loop: Header=BB19_4 Depth=1
	s_and_not1_saveexec_b32 s0, s91
	s_cbranch_execz .LBB19_40
; %bb.39:                               ;   in Loop: Header=BB19_4 Depth=1
	v_rcp_iflag_f32_e32 v3, v31
	s_sub_co_i32 s2, 0, s52
	v_nop
	s_delay_alu instid0(TRANS32_DEP_1) | instskip(NEXT) | instid1(VALU_DEP_1)
	v_mul_f32_e32 v3, 0x4f7ffffe, v3
	v_cvt_u32_f32_e32 v3, v3
	s_delay_alu instid0(VALU_DEP_1) | instskip(NEXT) | instid1(VALU_DEP_1)
	v_mul_lo_u32 v28, s2, v3
	v_mul_hi_u32 v28, v3, v28
	s_delay_alu instid0(VALU_DEP_1) | instskip(NEXT) | instid1(VALU_DEP_1)
	v_add_nc_u32_e32 v3, v3, v28
	v_mul_hi_u32 v3, v38, v3
	s_delay_alu instid0(VALU_DEP_1) | instskip(NEXT) | instid1(VALU_DEP_1)
	v_mul_lo_u32 v28, v3, s52
	v_dual_add_nc_u32 v29, 1, v3 :: v_dual_sub_nc_u32 v28, v38, v28
	s_delay_alu instid0(VALU_DEP_1) | instskip(SKIP_1) | instid1(VALU_DEP_2)
	v_subrev_nc_u32_e32 v30, s52, v28
	v_cmp_le_u32_e32 vcc_lo, s52, v28
	v_dual_cndmask_b32 v28, v28, v30 :: v_dual_cndmask_b32 v3, v3, v29
	s_delay_alu instid0(VALU_DEP_1) | instskip(NEXT) | instid1(VALU_DEP_2)
	v_cmp_le_u32_e32 vcc_lo, s52, v28
	v_add_nc_u32_e32 v29, 1, v3
	s_delay_alu instid0(VALU_DEP_1)
	v_dual_cndmask_b32 v28, v3, v29 :: v_dual_mov_b32 v29, v2
.LBB19_40:                              ;   in Loop: Header=BB19_4 Depth=1
	s_or_b32 exec_lo, exec_lo, s0
	v_or_b32_e32 v3, s51, v1
                                        ; implicit-def: $vgpr30_vgpr31
	s_mov_b32 s0, exec_lo
	s_delay_alu instid0(VALU_DEP_1)
	v_cmpx_ne_u64_e32 0, v[2:3]
	s_xor_b32 s91, exec_lo, s0
	s_cbranch_execz .LBB19_42
; %bb.41:                               ;   in Loop: Header=BB19_4 Depth=1
	s_ashr_i32 s86, s51, 31
	v_dual_mov_b32 v35, v2 :: v_dual_ashrrev_i32 v30, 31, v1
	s_mov_b32 s87, s86
	v_mov_b32_e32 v43, v2
	s_add_nc_u64 s[88:89], s[50:51], s[86:87]
	s_delay_alu instid0(VALU_DEP_2) | instskip(SKIP_1) | instid1(SALU_CYCLE_1)
	v_mov_b32_e32 v31, v30
	s_xor_b64 s[88:89], s[88:89], s[86:87]
	s_cvt_f32_u32 s0, s88
	s_cvt_f32_u32 s2, s89
	s_sub_nc_u64 s[94:95], 0, s[88:89]
	v_add_nc_u64_e32 v[32:33], v[0:1], v[30:31]
	v_mov_b32_e32 v39, v2
	s_fmamk_f32 s0, s2, 0x4f800000, s0
	s_delay_alu instid0(SALU_CYCLE_3) | instskip(NEXT) | instid1(VALU_DEP_2)
	v_s_rcp_f32 s0, s0
	v_xor_b32_e32 v34, v32, v30
	s_delay_alu instid0(VALU_DEP_3) | instskip(NEXT) | instid1(TRANS32_DEP_1)
	v_xor_b32_e32 v38, v33, v30
	s_mul_f32 s0, s0, 0x5f7ffffc
	s_delay_alu instid0(SALU_CYCLE_3) | instskip(NEXT) | instid1(SALU_CYCLE_3)
	s_mul_f32 s2, s0, 0x2f800000
	s_trunc_f32 s2, s2
	s_delay_alu instid0(SALU_CYCLE_3) | instskip(SKIP_1) | instid1(SALU_CYCLE_2)
	s_fmamk_f32 s0, s2, 0xcf800000, s0
	s_cvt_u32_f32 s93, s2
	s_cvt_u32_f32 s92, s0
	s_delay_alu instid0(SALU_CYCLE_3) | instskip(NEXT) | instid1(SALU_CYCLE_1)
	s_mul_u64 s[96:97], s[94:95], s[92:93]
	s_mul_hi_u32 s99, s92, s97
	s_mul_i32 s98, s92, s97
	s_mul_hi_u32 s2, s92, s96
	s_mul_i32 s87, s93, s96
	s_add_nc_u64 s[98:99], s[2:3], s[98:99]
	s_mul_hi_u32 s0, s93, s96
	s_mul_hi_u32 s100, s93, s97
	s_add_co_u32 s2, s98, s87
	s_add_co_ci_u32 s2, s99, s0
	s_mul_i32 s96, s93, s97
	s_add_co_ci_u32 s97, s100, 0
	s_delay_alu instid0(SALU_CYCLE_1) | instskip(NEXT) | instid1(SALU_CYCLE_1)
	s_add_nc_u64 s[96:97], s[2:3], s[96:97]
	s_add_co_u32 s92, s92, s96
	s_cselect_b32 s0, -1, 0
	s_delay_alu instid0(SALU_CYCLE_1) | instskip(SKIP_1) | instid1(SALU_CYCLE_1)
	s_cmp_lg_u32 s0, 0
	s_add_co_ci_u32 s93, s93, s97
	s_mul_u64 s[94:95], s[94:95], s[92:93]
	s_delay_alu instid0(SALU_CYCLE_1)
	s_mul_hi_u32 s97, s92, s95
	s_mul_i32 s96, s92, s95
	s_mul_hi_u32 s2, s92, s94
	s_mul_i32 s87, s93, s94
	s_add_nc_u64 s[96:97], s[2:3], s[96:97]
	s_mul_hi_u32 s0, s93, s94
	s_mul_hi_u32 s98, s93, s95
	s_add_co_u32 s2, s96, s87
	s_add_co_ci_u32 s2, s97, s0
	s_mul_i32 s94, s93, s95
	s_add_co_ci_u32 s95, s98, 0
	s_delay_alu instid0(SALU_CYCLE_1) | instskip(NEXT) | instid1(SALU_CYCLE_1)
	s_add_nc_u64 s[94:95], s[2:3], s[94:95]
	s_add_co_u32 s0, s92, s94
	s_cselect_b32 s2, -1, 0
	v_mul_hi_u32 v42, v34, s0
	s_cmp_lg_u32 s2, 0
	s_add_co_ci_u32 s2, s93, s95
	s_and_b64 s[92:93], s[0:1], s[72:73]
	v_mul_u64_e32 v[36:37], s[2:3], v[34:35]
	v_mul_u64_e32 v[32:33], s[92:93], v[38:39]
	;; [unrolled: 1-line block ×3, first 2 shown]
	s_delay_alu instid0(VALU_DEP_3) | instskip(NEXT) | instid1(VALU_DEP_1)
	v_add_nc_u64_e32 v[36:37], v[42:43], v[36:37]
	v_add_co_u32 v3, vcc_lo, v36, v32
	s_delay_alu instid0(VALU_DEP_2) | instskip(NEXT) | instid1(VALU_DEP_4)
	v_add_co_ci_u32_e32 v42, vcc_lo, v37, v33, vcc_lo
	v_add_co_ci_u32_e32 v41, vcc_lo, 0, v41, vcc_lo
	s_delay_alu instid0(VALU_DEP_1) | instskip(NEXT) | instid1(VALU_DEP_1)
	v_add_nc_u64_e32 v[32:33], v[42:43], v[40:41]
	v_mul_u64_e32 v[36:37], s[88:89], v[32:33]
	s_delay_alu instid0(VALU_DEP_1) | instskip(NEXT) | instid1(VALU_DEP_2)
	v_sub_nc_u32_e32 v3, v38, v37
	v_sub_co_u32 v31, vcc_lo, v34, v36
	s_delay_alu instid0(VALU_DEP_1) | instskip(NEXT) | instid1(VALU_DEP_3)
	v_sub_co_ci_u32_e64 v38, null, v38, v37, vcc_lo
	v_subrev_co_ci_u32_e64 v3, null, s89, v3, vcc_lo
	s_delay_alu instid0(VALU_DEP_3) | instskip(SKIP_1) | instid1(VALU_DEP_3)
	v_sub_co_u32 v34, s0, v31, s88
	v_add_nc_u64_e32 v[36:37], 1, v[32:33]
	v_subrev_co_ci_u32_e64 v3, null, 0, v3, s0
	s_delay_alu instid0(VALU_DEP_3) | instskip(SKIP_1) | instid1(VALU_DEP_3)
	v_cmp_le_u32_e32 vcc_lo, s88, v34
	v_cndmask_b32_e64 v34, 0, -1, vcc_lo
	v_cmp_le_u32_e32 vcc_lo, s89, v3
	v_cndmask_b32_e64 v35, 0, -1, vcc_lo
	;; [unrolled: 2-line block ×4, first 2 shown]
	v_cmp_eq_u32_e32 vcc_lo, s89, v3
	v_cndmask_b32_e32 v3, v35, v34, vcc_lo
	v_cmp_eq_u32_e32 vcc_lo, s89, v38
	v_add_nc_u64_e32 v[34:35], 2, v[32:33]
	v_cndmask_b32_e32 v31, v39, v31, vcc_lo
	s_delay_alu instid0(VALU_DEP_4) | instskip(NEXT) | instid1(VALU_DEP_2)
	v_cmp_ne_u32_e32 vcc_lo, 0, v3
	v_cmp_ne_u32_e64 s0, 0, v31
	s_delay_alu instid0(VALU_DEP_4) | instskip(NEXT) | instid1(VALU_DEP_1)
	v_dual_cndmask_b32 v3, v37, v35, vcc_lo :: v_dual_cndmask_b32 v31, v36, v34, vcc_lo
	v_dual_cndmask_b32 v3, v33, v3, s0 :: v_dual_bitop2_b32 v30, s86, v30 bitop3:0x14
	s_delay_alu instid0(VALU_DEP_1) | instskip(NEXT) | instid1(VALU_DEP_2)
	v_dual_cndmask_b32 v32, v32, v31, s0 :: v_dual_mov_b32 v31, v30
	v_xor_b32_e32 v33, v3, v30
	s_delay_alu instid0(VALU_DEP_2) | instskip(NEXT) | instid1(VALU_DEP_1)
	v_xor_b32_e32 v32, v32, v30
	v_sub_nc_u64_e32 v[30:31], v[32:33], v[30:31]
.LBB19_42:                              ;   in Loop: Header=BB19_4 Depth=1
	s_and_not1_saveexec_b32 s0, s91
	s_cbranch_execz .LBB19_44
; %bb.43:                               ;   in Loop: Header=BB19_4 Depth=1
	v_cvt_f32_u32_e32 v3, s50
	s_sub_co_i32 s2, 0, s50
	s_delay_alu instid0(VALU_DEP_1) | instskip(SKIP_1) | instid1(TRANS32_DEP_1)
	v_rcp_iflag_f32_e32 v3, v3
	v_nop
	v_mul_f32_e32 v3, 0x4f7ffffe, v3
	s_delay_alu instid0(VALU_DEP_1) | instskip(NEXT) | instid1(VALU_DEP_1)
	v_cvt_u32_f32_e32 v3, v3
	v_mul_lo_u32 v30, s2, v3
	s_delay_alu instid0(VALU_DEP_1) | instskip(NEXT) | instid1(VALU_DEP_1)
	v_mul_hi_u32 v30, v3, v30
	v_add_nc_u32_e32 v3, v3, v30
	s_delay_alu instid0(VALU_DEP_1) | instskip(NEXT) | instid1(VALU_DEP_1)
	v_mul_hi_u32 v3, v0, v3
	v_mul_lo_u32 v30, v3, s50
	s_delay_alu instid0(VALU_DEP_1) | instskip(NEXT) | instid1(VALU_DEP_1)
	v_dual_add_nc_u32 v31, 1, v3 :: v_dual_sub_nc_u32 v30, v0, v30
	v_subrev_nc_u32_e32 v32, s50, v30
	v_cmp_le_u32_e32 vcc_lo, s50, v30
	s_delay_alu instid0(VALU_DEP_2) | instskip(NEXT) | instid1(VALU_DEP_1)
	v_dual_cndmask_b32 v30, v30, v32 :: v_dual_cndmask_b32 v3, v3, v31
	v_cmp_le_u32_e32 vcc_lo, s50, v30
	s_delay_alu instid0(VALU_DEP_2) | instskip(NEXT) | instid1(VALU_DEP_1)
	v_add_nc_u32_e32 v31, 1, v3
	v_dual_cndmask_b32 v30, v3, v31 :: v_dual_mov_b32 v31, v2
.LBB19_44:                              ;   in Loop: Header=BB19_4 Depth=1
	s_or_b32 exec_lo, exec_lo, s0
	s_delay_alu instid0(VALU_DEP_1) | instskip(SKIP_1) | instid1(VALU_DEP_1)
	v_mad_nc_u64_u32 v[32:33], s70, v30, v[0:1]
	s_mov_b32 s0, exec_lo
	v_mad_u32 v3, s71, v30, v33
	s_delay_alu instid0(VALU_DEP_1) | instskip(SKIP_2) | instid1(VALU_DEP_3)
	v_mad_u32 v33, s70, v31, v3
	v_mul_u64_e32 v[30:31], s[20:21], v[30:31]
	v_or_b32_e32 v3, s57, v1
	v_mul_u64_e32 v[32:33], s[22:23], v[32:33]
	s_delay_alu instid0(VALU_DEP_3) | instskip(NEXT) | instid1(VALU_DEP_1)
	v_lshl_add_u64 v[30:31], v[30:31], 3, s[48:49]
	v_lshl_add_u64 v[30:31], v[32:33], 3, v[30:31]
                                        ; implicit-def: $vgpr32_vgpr33
	global_load_b64 v[30:31], v[30:31], off
	s_wait_xcnt 0x0
	v_cmpx_ne_u64_e32 0, v[2:3]
	s_xor_b32 s91, exec_lo, s0
	s_cbranch_execz .LBB19_46
; %bb.45:                               ;   in Loop: Header=BB19_4 Depth=1
	s_ashr_i32 s86, s57, 31
	v_dual_mov_b32 v37, v2 :: v_dual_ashrrev_i32 v32, 31, v1
	s_mov_b32 s87, s86
	s_delay_alu instid0(SALU_CYCLE_1) | instskip(NEXT) | instid1(VALU_DEP_1)
	s_add_nc_u64 s[88:89], s[56:57], s[86:87]
	v_mov_b32_e32 v33, v32
	s_xor_b64 s[88:89], s[88:89], s[86:87]
	s_delay_alu instid0(SALU_CYCLE_1)
	s_cvt_f32_u32 s0, s88
	s_cvt_f32_u32 s2, s89
	s_sub_nc_u64 s[94:95], 0, s[88:89]
	v_add_nc_u64_e32 v[34:35], v[0:1], v[32:33]
	v_mov_b32_e32 v41, v2
	s_fmamk_f32 s0, s2, 0x4f800000, s0
	s_delay_alu instid0(SALU_CYCLE_3) | instskip(NEXT) | instid1(VALU_DEP_2)
	v_s_rcp_f32 s0, s0
	v_xor_b32_e32 v36, v34, v32
	s_delay_alu instid0(VALU_DEP_3) | instskip(SKIP_1) | instid1(TRANS32_DEP_1)
	v_dual_mov_b32 v45, v2 :: v_dual_bitop2_b32 v40, v35, v32 bitop3:0x14
	v_xor_b32_e32 v32, s86, v32
	s_mul_f32 s0, s0, 0x5f7ffffc
	s_delay_alu instid0(SALU_CYCLE_3) | instskip(NEXT) | instid1(SALU_CYCLE_3)
	s_mul_f32 s2, s0, 0x2f800000
	s_trunc_f32 s2, s2
	s_delay_alu instid0(SALU_CYCLE_3) | instskip(SKIP_1) | instid1(SALU_CYCLE_2)
	s_fmamk_f32 s0, s2, 0xcf800000, s0
	s_cvt_u32_f32 s93, s2
	s_cvt_u32_f32 s92, s0
	s_delay_alu instid0(SALU_CYCLE_3) | instskip(NEXT) | instid1(SALU_CYCLE_1)
	s_mul_u64 s[96:97], s[94:95], s[92:93]
	s_mul_hi_u32 s99, s92, s97
	s_mul_i32 s98, s92, s97
	s_mul_hi_u32 s2, s92, s96
	s_mul_i32 s87, s93, s96
	s_add_nc_u64 s[98:99], s[2:3], s[98:99]
	s_mul_hi_u32 s0, s93, s96
	s_mul_hi_u32 s100, s93, s97
	s_add_co_u32 s2, s98, s87
	s_add_co_ci_u32 s2, s99, s0
	s_mul_i32 s96, s93, s97
	s_add_co_ci_u32 s97, s100, 0
	s_delay_alu instid0(SALU_CYCLE_1) | instskip(NEXT) | instid1(SALU_CYCLE_1)
	s_add_nc_u64 s[96:97], s[2:3], s[96:97]
	s_add_co_u32 s92, s92, s96
	s_cselect_b32 s0, -1, 0
	s_delay_alu instid0(SALU_CYCLE_1) | instskip(SKIP_1) | instid1(SALU_CYCLE_1)
	s_cmp_lg_u32 s0, 0
	s_add_co_ci_u32 s93, s93, s97
	s_mul_u64 s[94:95], s[94:95], s[92:93]
	s_delay_alu instid0(SALU_CYCLE_1)
	s_mul_hi_u32 s97, s92, s95
	s_mul_i32 s96, s92, s95
	s_mul_hi_u32 s2, s92, s94
	s_mul_i32 s87, s93, s94
	s_add_nc_u64 s[96:97], s[2:3], s[96:97]
	s_mul_hi_u32 s0, s93, s94
	s_mul_hi_u32 s98, s93, s95
	s_add_co_u32 s2, s96, s87
	s_add_co_ci_u32 s2, s97, s0
	s_mul_i32 s94, s93, s95
	s_add_co_ci_u32 s95, s98, 0
	s_delay_alu instid0(SALU_CYCLE_1) | instskip(NEXT) | instid1(SALU_CYCLE_1)
	s_add_nc_u64 s[94:95], s[2:3], s[94:95]
	s_add_co_u32 s0, s92, s94
	s_cselect_b32 s2, -1, 0
	v_mul_hi_u32 v44, v36, s0
	s_cmp_lg_u32 s2, 0
	s_add_co_ci_u32 s2, s93, s95
	s_and_b64 s[92:93], s[0:1], s[72:73]
	v_mul_u64_e32 v[38:39], s[2:3], v[36:37]
	v_mul_u64_e32 v[34:35], s[92:93], v[40:41]
	;; [unrolled: 1-line block ×3, first 2 shown]
	s_delay_alu instid0(VALU_DEP_3) | instskip(NEXT) | instid1(VALU_DEP_1)
	v_add_nc_u64_e32 v[38:39], v[44:45], v[38:39]
	v_add_co_u32 v3, vcc_lo, v38, v34
	s_delay_alu instid0(VALU_DEP_2) | instskip(NEXT) | instid1(VALU_DEP_4)
	v_add_co_ci_u32_e32 v44, vcc_lo, v39, v35, vcc_lo
	v_add_co_ci_u32_e32 v43, vcc_lo, 0, v43, vcc_lo
	s_delay_alu instid0(VALU_DEP_1) | instskip(NEXT) | instid1(VALU_DEP_1)
	v_add_nc_u64_e32 v[34:35], v[44:45], v[42:43]
	v_mul_u64_e32 v[38:39], s[88:89], v[34:35]
	s_delay_alu instid0(VALU_DEP_1) | instskip(NEXT) | instid1(VALU_DEP_2)
	v_sub_nc_u32_e32 v3, v40, v39
	v_sub_co_u32 v33, vcc_lo, v36, v38
	s_delay_alu instid0(VALU_DEP_1) | instskip(NEXT) | instid1(VALU_DEP_3)
	v_sub_co_ci_u32_e64 v40, null, v40, v39, vcc_lo
	v_subrev_co_ci_u32_e64 v3, null, s89, v3, vcc_lo
	s_delay_alu instid0(VALU_DEP_3) | instskip(SKIP_1) | instid1(VALU_DEP_3)
	v_sub_co_u32 v36, s0, v33, s88
	v_add_nc_u64_e32 v[38:39], 1, v[34:35]
	v_subrev_co_ci_u32_e64 v3, null, 0, v3, s0
	s_delay_alu instid0(VALU_DEP_3) | instskip(SKIP_1) | instid1(VALU_DEP_3)
	v_cmp_le_u32_e32 vcc_lo, s88, v36
	v_cndmask_b32_e64 v36, 0, -1, vcc_lo
	v_cmp_le_u32_e32 vcc_lo, s89, v3
	v_cndmask_b32_e64 v37, 0, -1, vcc_lo
	;; [unrolled: 2-line block ×4, first 2 shown]
	v_cmp_eq_u32_e32 vcc_lo, s89, v3
	v_cndmask_b32_e32 v3, v37, v36, vcc_lo
	v_cmp_eq_u32_e32 vcc_lo, s89, v40
	v_add_nc_u64_e32 v[36:37], 2, v[34:35]
	v_cndmask_b32_e32 v33, v41, v33, vcc_lo
	s_delay_alu instid0(VALU_DEP_4) | instskip(NEXT) | instid1(VALU_DEP_2)
	v_cmp_ne_u32_e32 vcc_lo, 0, v3
	v_cmp_ne_u32_e64 s0, 0, v33
	s_delay_alu instid0(VALU_DEP_4) | instskip(NEXT) | instid1(VALU_DEP_1)
	v_dual_cndmask_b32 v3, v39, v37, vcc_lo :: v_dual_cndmask_b32 v33, v38, v36, vcc_lo
	v_dual_cndmask_b32 v34, v34, v33, s0 :: v_dual_mov_b32 v33, v32
	s_delay_alu instid0(VALU_DEP_1) | instskip(NEXT) | instid1(VALU_DEP_1)
	v_dual_cndmask_b32 v3, v35, v3, s0 :: v_dual_bitop2_b32 v34, v34, v32 bitop3:0x14
	v_xor_b32_e32 v35, v3, v32
	s_delay_alu instid0(VALU_DEP_1)
	v_sub_nc_u64_e32 v[32:33], v[34:35], v[32:33]
.LBB19_46:                              ;   in Loop: Header=BB19_4 Depth=1
	s_and_not1_saveexec_b32 s0, s91
	s_cbranch_execz .LBB19_48
; %bb.47:                               ;   in Loop: Header=BB19_4 Depth=1
	v_cvt_f32_u32_e32 v3, s56
	s_sub_co_i32 s2, 0, s56
	s_delay_alu instid0(VALU_DEP_1) | instskip(SKIP_1) | instid1(TRANS32_DEP_1)
	v_rcp_iflag_f32_e32 v3, v3
	v_nop
	v_mul_f32_e32 v3, 0x4f7ffffe, v3
	s_delay_alu instid0(VALU_DEP_1) | instskip(NEXT) | instid1(VALU_DEP_1)
	v_cvt_u32_f32_e32 v3, v3
	v_mul_lo_u32 v32, s2, v3
	s_delay_alu instid0(VALU_DEP_1) | instskip(NEXT) | instid1(VALU_DEP_1)
	v_mul_hi_u32 v32, v3, v32
	v_add_nc_u32_e32 v3, v3, v32
	s_delay_alu instid0(VALU_DEP_1) | instskip(NEXT) | instid1(VALU_DEP_1)
	v_mul_hi_u32 v3, v0, v3
	v_mul_lo_u32 v32, v3, s56
	s_delay_alu instid0(VALU_DEP_1) | instskip(NEXT) | instid1(VALU_DEP_1)
	v_dual_add_nc_u32 v33, 1, v3 :: v_dual_sub_nc_u32 v32, v0, v32
	v_subrev_nc_u32_e32 v34, s56, v32
	v_cmp_le_u32_e32 vcc_lo, s56, v32
	s_delay_alu instid0(VALU_DEP_2) | instskip(NEXT) | instid1(VALU_DEP_1)
	v_dual_cndmask_b32 v32, v32, v34 :: v_dual_cndmask_b32 v3, v3, v33
	v_cmp_le_u32_e32 vcc_lo, s56, v32
	s_delay_alu instid0(VALU_DEP_2) | instskip(NEXT) | instid1(VALU_DEP_1)
	v_add_nc_u32_e32 v33, 1, v3
	v_dual_cndmask_b32 v32, v3, v33 :: v_dual_mov_b32 v33, v2
.LBB19_48:                              ;   in Loop: Header=BB19_4 Depth=1
	s_or_b32 exec_lo, exec_lo, s0
	s_delay_alu instid0(VALU_DEP_1) | instskip(SKIP_1) | instid1(VALU_DEP_1)
	v_mad_nc_u64_u32 v[34:35], s78, v32, v[0:1]
	s_mov_b32 s0, exec_lo
	v_mad_u32 v3, s79, v32, v35
	s_delay_alu instid0(VALU_DEP_1) | instskip(SKIP_2) | instid1(VALU_DEP_3)
	v_mad_u32 v35, s78, v33, v3
	v_mul_u64_e32 v[32:33], s[24:25], v[32:33]
	v_or_b32_e32 v3, s63, v1
	v_mul_u64_e32 v[34:35], s[26:27], v[34:35]
	s_delay_alu instid0(VALU_DEP_3) | instskip(NEXT) | instid1(VALU_DEP_1)
	v_lshl_add_u64 v[32:33], v[32:33], 3, s[54:55]
	v_lshl_add_u64 v[32:33], v[34:35], 3, v[32:33]
                                        ; implicit-def: $vgpr34_vgpr35
	global_load_b64 v[32:33], v[32:33], off
	s_wait_xcnt 0x0
	v_cmpx_ne_u64_e32 0, v[2:3]
	s_xor_b32 s91, exec_lo, s0
	s_cbranch_execnz .LBB19_60
; %bb.49:                               ;   in Loop: Header=BB19_4 Depth=1
	s_and_not1_saveexec_b32 s0, s91
	s_cbranch_execnz .LBB19_61
.LBB19_50:                              ;   in Loop: Header=BB19_4 Depth=1
	s_or_b32 exec_lo, exec_lo, s0
	s_delay_alu instid0(SALU_CYCLE_1)
	s_and_not1_b32 vcc_lo, exec_lo, s1
	s_cbranch_vccnz .LBB19_62
.LBB19_51:                              ;   in Loop: Header=BB19_4 Depth=1
	v_or_b32_e32 v3, s59, v1
                                        ; implicit-def: $vgpr36_vgpr37
	s_mov_b32 s0, exec_lo
	s_delay_alu instid0(VALU_DEP_1)
	v_cmpx_ne_u64_e32 0, v[2:3]
	s_xor_b32 s91, exec_lo, s0
	s_cbranch_execz .LBB19_53
; %bb.52:                               ;   in Loop: Header=BB19_4 Depth=1
	s_ashr_i32 s86, s59, 31
	v_dual_mov_b32 v41, v2 :: v_dual_ashrrev_i32 v36, 31, v1
	s_mov_b32 s87, s86
	s_delay_alu instid0(SALU_CYCLE_1) | instskip(NEXT) | instid1(VALU_DEP_1)
	s_add_nc_u64 s[88:89], s[58:59], s[86:87]
	v_mov_b32_e32 v37, v36
	s_xor_b64 s[88:89], s[88:89], s[86:87]
	s_delay_alu instid0(SALU_CYCLE_1)
	s_cvt_f32_u32 s0, s88
	s_cvt_f32_u32 s2, s89
	s_sub_nc_u64 s[94:95], 0, s[88:89]
	v_add_nc_u64_e32 v[38:39], v[0:1], v[36:37]
	v_mov_b32_e32 v45, v2
	s_fmamk_f32 s0, s2, 0x4f800000, s0
	s_delay_alu instid0(SALU_CYCLE_3) | instskip(NEXT) | instid1(VALU_DEP_2)
	v_s_rcp_f32 s0, s0
	v_xor_b32_e32 v40, v38, v36
	s_delay_alu instid0(VALU_DEP_3) | instskip(SKIP_1) | instid1(TRANS32_DEP_1)
	v_dual_mov_b32 v49, v2 :: v_dual_bitop2_b32 v44, v39, v36 bitop3:0x14
	v_xor_b32_e32 v36, s86, v36
	s_mul_f32 s0, s0, 0x5f7ffffc
	s_delay_alu instid0(SALU_CYCLE_3) | instskip(NEXT) | instid1(SALU_CYCLE_3)
	s_mul_f32 s2, s0, 0x2f800000
	s_trunc_f32 s2, s2
	s_delay_alu instid0(SALU_CYCLE_3) | instskip(SKIP_1) | instid1(SALU_CYCLE_2)
	s_fmamk_f32 s0, s2, 0xcf800000, s0
	s_cvt_u32_f32 s93, s2
	s_cvt_u32_f32 s92, s0
	s_delay_alu instid0(SALU_CYCLE_3) | instskip(NEXT) | instid1(SALU_CYCLE_1)
	s_mul_u64 s[96:97], s[94:95], s[92:93]
	s_mul_hi_u32 s99, s92, s97
	s_mul_i32 s98, s92, s97
	s_mul_hi_u32 s2, s92, s96
	s_mul_i32 s87, s93, s96
	s_add_nc_u64 s[98:99], s[2:3], s[98:99]
	s_mul_hi_u32 s0, s93, s96
	s_mul_hi_u32 s100, s93, s97
	s_add_co_u32 s2, s98, s87
	s_add_co_ci_u32 s2, s99, s0
	s_mul_i32 s96, s93, s97
	s_add_co_ci_u32 s97, s100, 0
	s_delay_alu instid0(SALU_CYCLE_1) | instskip(NEXT) | instid1(SALU_CYCLE_1)
	s_add_nc_u64 s[96:97], s[2:3], s[96:97]
	s_add_co_u32 s92, s92, s96
	s_cselect_b32 s0, -1, 0
	s_delay_alu instid0(SALU_CYCLE_1) | instskip(SKIP_1) | instid1(SALU_CYCLE_1)
	s_cmp_lg_u32 s0, 0
	s_add_co_ci_u32 s93, s93, s97
	s_mul_u64 s[94:95], s[94:95], s[92:93]
	s_delay_alu instid0(SALU_CYCLE_1)
	s_mul_hi_u32 s97, s92, s95
	s_mul_i32 s96, s92, s95
	s_mul_hi_u32 s2, s92, s94
	s_mul_i32 s87, s93, s94
	s_add_nc_u64 s[96:97], s[2:3], s[96:97]
	s_mul_hi_u32 s0, s93, s94
	s_mul_hi_u32 s98, s93, s95
	s_add_co_u32 s2, s96, s87
	s_add_co_ci_u32 s2, s97, s0
	s_mul_i32 s94, s93, s95
	s_add_co_ci_u32 s95, s98, 0
	s_delay_alu instid0(SALU_CYCLE_1) | instskip(NEXT) | instid1(SALU_CYCLE_1)
	s_add_nc_u64 s[94:95], s[2:3], s[94:95]
	s_add_co_u32 s0, s92, s94
	s_cselect_b32 s2, -1, 0
	v_mul_hi_u32 v48, v40, s0
	s_cmp_lg_u32 s2, 0
	s_add_co_ci_u32 s2, s93, s95
	s_and_b64 s[92:93], s[0:1], s[72:73]
	v_mul_u64_e32 v[42:43], s[2:3], v[40:41]
	v_mul_u64_e32 v[38:39], s[92:93], v[44:45]
	;; [unrolled: 1-line block ×3, first 2 shown]
	s_delay_alu instid0(VALU_DEP_3) | instskip(NEXT) | instid1(VALU_DEP_1)
	v_add_nc_u64_e32 v[42:43], v[48:49], v[42:43]
	v_add_co_u32 v3, vcc_lo, v42, v38
	s_delay_alu instid0(VALU_DEP_2) | instskip(NEXT) | instid1(VALU_DEP_4)
	v_add_co_ci_u32_e32 v48, vcc_lo, v43, v39, vcc_lo
	v_add_co_ci_u32_e32 v47, vcc_lo, 0, v47, vcc_lo
	s_delay_alu instid0(VALU_DEP_1) | instskip(NEXT) | instid1(VALU_DEP_1)
	v_add_nc_u64_e32 v[38:39], v[48:49], v[46:47]
	v_mul_u64_e32 v[42:43], s[88:89], v[38:39]
	s_delay_alu instid0(VALU_DEP_1) | instskip(NEXT) | instid1(VALU_DEP_2)
	v_sub_nc_u32_e32 v3, v44, v43
	v_sub_co_u32 v37, vcc_lo, v40, v42
	s_delay_alu instid0(VALU_DEP_1) | instskip(NEXT) | instid1(VALU_DEP_3)
	v_sub_co_ci_u32_e64 v44, null, v44, v43, vcc_lo
	v_subrev_co_ci_u32_e64 v3, null, s89, v3, vcc_lo
	s_delay_alu instid0(VALU_DEP_3) | instskip(SKIP_1) | instid1(VALU_DEP_3)
	v_sub_co_u32 v40, s0, v37, s88
	v_add_nc_u64_e32 v[42:43], 1, v[38:39]
	v_subrev_co_ci_u32_e64 v3, null, 0, v3, s0
	s_delay_alu instid0(VALU_DEP_3) | instskip(SKIP_1) | instid1(VALU_DEP_3)
	v_cmp_le_u32_e32 vcc_lo, s88, v40
	v_cndmask_b32_e64 v40, 0, -1, vcc_lo
	v_cmp_le_u32_e32 vcc_lo, s89, v3
	v_cndmask_b32_e64 v41, 0, -1, vcc_lo
	;; [unrolled: 2-line block ×4, first 2 shown]
	v_cmp_eq_u32_e32 vcc_lo, s89, v3
	v_cndmask_b32_e32 v3, v41, v40, vcc_lo
	v_cmp_eq_u32_e32 vcc_lo, s89, v44
	v_add_nc_u64_e32 v[40:41], 2, v[38:39]
	v_cndmask_b32_e32 v37, v45, v37, vcc_lo
	s_delay_alu instid0(VALU_DEP_4) | instskip(NEXT) | instid1(VALU_DEP_2)
	v_cmp_ne_u32_e32 vcc_lo, 0, v3
	v_cmp_ne_u32_e64 s0, 0, v37
	s_delay_alu instid0(VALU_DEP_4) | instskip(NEXT) | instid1(VALU_DEP_1)
	v_dual_cndmask_b32 v3, v43, v41, vcc_lo :: v_dual_cndmask_b32 v37, v42, v40, vcc_lo
	v_dual_cndmask_b32 v38, v38, v37, s0 :: v_dual_mov_b32 v37, v36
	s_delay_alu instid0(VALU_DEP_1) | instskip(NEXT) | instid1(VALU_DEP_1)
	v_dual_cndmask_b32 v3, v39, v3, s0 :: v_dual_bitop2_b32 v38, v38, v36 bitop3:0x14
	v_xor_b32_e32 v39, v3, v36
	s_delay_alu instid0(VALU_DEP_1)
	v_sub_nc_u64_e32 v[36:37], v[38:39], v[36:37]
.LBB19_53:                              ;   in Loop: Header=BB19_4 Depth=1
	s_and_not1_saveexec_b32 s0, s91
	s_cbranch_execz .LBB19_55
; %bb.54:                               ;   in Loop: Header=BB19_4 Depth=1
	v_cvt_f32_u32_e32 v3, s58
	s_sub_co_i32 s2, 0, s58
	s_delay_alu instid0(VALU_DEP_1) | instskip(SKIP_1) | instid1(TRANS32_DEP_1)
	v_rcp_iflag_f32_e32 v3, v3
	v_nop
	v_mul_f32_e32 v3, 0x4f7ffffe, v3
	s_delay_alu instid0(VALU_DEP_1) | instskip(NEXT) | instid1(VALU_DEP_1)
	v_cvt_u32_f32_e32 v3, v3
	v_mul_lo_u32 v36, s2, v3
	s_delay_alu instid0(VALU_DEP_1) | instskip(NEXT) | instid1(VALU_DEP_1)
	v_mul_hi_u32 v36, v3, v36
	v_add_nc_u32_e32 v3, v3, v36
	s_delay_alu instid0(VALU_DEP_1) | instskip(NEXT) | instid1(VALU_DEP_1)
	v_mul_hi_u32 v3, v0, v3
	v_mul_lo_u32 v36, v3, s58
	s_delay_alu instid0(VALU_DEP_1) | instskip(NEXT) | instid1(VALU_DEP_1)
	v_dual_add_nc_u32 v37, 1, v3 :: v_dual_sub_nc_u32 v36, v0, v36
	v_subrev_nc_u32_e32 v38, s58, v36
	v_cmp_le_u32_e32 vcc_lo, s58, v36
	s_delay_alu instid0(VALU_DEP_2) | instskip(NEXT) | instid1(VALU_DEP_1)
	v_dual_cndmask_b32 v36, v36, v38 :: v_dual_cndmask_b32 v3, v3, v37
	v_cmp_le_u32_e32 vcc_lo, s58, v36
	s_delay_alu instid0(VALU_DEP_2) | instskip(NEXT) | instid1(VALU_DEP_1)
	v_add_nc_u32_e32 v37, 1, v3
	v_dual_cndmask_b32 v36, v3, v37 :: v_dual_mov_b32 v37, v2
.LBB19_55:                              ;   in Loop: Header=BB19_4 Depth=1
	s_or_b32 exec_lo, exec_lo, s0
	s_delay_alu instid0(VALU_DEP_1) | instskip(NEXT) | instid1(VALU_DEP_1)
	v_mad_nc_u64_u32 v[38:39], s82, v36, v[0:1]
	v_mad_u32 v3, s83, v36, v39
	s_delay_alu instid0(VALU_DEP_1) | instskip(SKIP_1) | instid1(VALU_DEP_2)
	v_mad_u32 v39, s82, v37, v3
	v_mul_u64_e32 v[36:37], s[8:9], v[36:37]
	v_mul_u64_e32 v[38:39], s[10:11], v[38:39]
	s_delay_alu instid0(VALU_DEP_2) | instskip(NEXT) | instid1(VALU_DEP_1)
	v_lshl_add_u64 v[36:37], v[36:37], 3, s[34:35]
	v_lshl_add_u64 v[36:37], v[38:39], 3, v[36:37]
	global_load_b64 v[36:37], v[36:37], off
	s_and_not1_b32 vcc_lo, exec_lo, s33
	s_cbranch_vccnz .LBB19_63
.LBB19_56:                              ;   in Loop: Header=BB19_4 Depth=1
	v_or_b32_e32 v3, s65, v1
                                        ; implicit-def: $vgpr38_vgpr39
	s_mov_b32 s0, exec_lo
	s_wait_xcnt 0x0
	s_delay_alu instid0(VALU_DEP_1)
	v_cmpx_ne_u64_e32 0, v[2:3]
	s_xor_b32 s91, exec_lo, s0
	s_cbranch_execz .LBB19_58
; %bb.57:                               ;   in Loop: Header=BB19_4 Depth=1
	s_ashr_i32 s86, s65, 31
	v_dual_mov_b32 v43, v2 :: v_dual_ashrrev_i32 v38, 31, v1
	s_mov_b32 s87, s86
	v_mov_b32_e32 v51, v2
	s_add_nc_u64 s[88:89], s[64:65], s[86:87]
	s_delay_alu instid0(VALU_DEP_2) | instskip(SKIP_1) | instid1(SALU_CYCLE_1)
	v_mov_b32_e32 v39, v38
	s_xor_b64 s[88:89], s[88:89], s[86:87]
	s_cvt_f32_u32 s0, s88
	s_cvt_f32_u32 s2, s89
	s_sub_nc_u64 s[94:95], 0, s[88:89]
	v_add_nc_u64_e32 v[40:41], v[0:1], v[38:39]
	v_mov_b32_e32 v47, v2
	s_fmamk_f32 s0, s2, 0x4f800000, s0
	s_delay_alu instid0(SALU_CYCLE_3) | instskip(NEXT) | instid1(VALU_DEP_2)
	v_s_rcp_f32 s0, s0
	v_xor_b32_e32 v42, v40, v38
	s_delay_alu instid0(VALU_DEP_3) | instskip(NEXT) | instid1(TRANS32_DEP_1)
	v_xor_b32_e32 v46, v41, v38
	s_mul_f32 s0, s0, 0x5f7ffffc
	s_delay_alu instid0(SALU_CYCLE_3) | instskip(NEXT) | instid1(SALU_CYCLE_3)
	s_mul_f32 s2, s0, 0x2f800000
	s_trunc_f32 s2, s2
	s_delay_alu instid0(SALU_CYCLE_3) | instskip(SKIP_1) | instid1(SALU_CYCLE_2)
	s_fmamk_f32 s0, s2, 0xcf800000, s0
	s_cvt_u32_f32 s93, s2
	s_cvt_u32_f32 s92, s0
	s_delay_alu instid0(SALU_CYCLE_3) | instskip(NEXT) | instid1(SALU_CYCLE_1)
	s_mul_u64 s[96:97], s[94:95], s[92:93]
	s_mul_hi_u32 s99, s92, s97
	s_mul_i32 s98, s92, s97
	s_mul_hi_u32 s2, s92, s96
	s_mul_i32 s87, s93, s96
	s_add_nc_u64 s[98:99], s[2:3], s[98:99]
	s_mul_hi_u32 s0, s93, s96
	s_mul_hi_u32 s100, s93, s97
	s_add_co_u32 s2, s98, s87
	s_add_co_ci_u32 s2, s99, s0
	s_mul_i32 s96, s93, s97
	s_add_co_ci_u32 s97, s100, 0
	s_delay_alu instid0(SALU_CYCLE_1) | instskip(NEXT) | instid1(SALU_CYCLE_1)
	s_add_nc_u64 s[96:97], s[2:3], s[96:97]
	s_add_co_u32 s92, s92, s96
	s_cselect_b32 s0, -1, 0
	s_delay_alu instid0(SALU_CYCLE_1) | instskip(SKIP_1) | instid1(SALU_CYCLE_1)
	s_cmp_lg_u32 s0, 0
	s_add_co_ci_u32 s93, s93, s97
	s_mul_u64 s[94:95], s[94:95], s[92:93]
	s_delay_alu instid0(SALU_CYCLE_1)
	s_mul_hi_u32 s97, s92, s95
	s_mul_i32 s96, s92, s95
	s_mul_hi_u32 s2, s92, s94
	s_mul_i32 s87, s93, s94
	s_add_nc_u64 s[96:97], s[2:3], s[96:97]
	s_mul_hi_u32 s0, s93, s94
	s_mul_hi_u32 s98, s93, s95
	s_add_co_u32 s2, s96, s87
	s_add_co_ci_u32 s2, s97, s0
	s_mul_i32 s94, s93, s95
	s_add_co_ci_u32 s95, s98, 0
	s_delay_alu instid0(SALU_CYCLE_1) | instskip(NEXT) | instid1(SALU_CYCLE_1)
	s_add_nc_u64 s[94:95], s[2:3], s[94:95]
	s_add_co_u32 s0, s92, s94
	s_cselect_b32 s2, -1, 0
	v_mul_hi_u32 v50, v42, s0
	s_cmp_lg_u32 s2, 0
	s_add_co_ci_u32 s2, s93, s95
	s_and_b64 s[92:93], s[0:1], s[72:73]
	v_mul_u64_e32 v[44:45], s[2:3], v[42:43]
	v_mul_u64_e32 v[40:41], s[92:93], v[46:47]
	;; [unrolled: 1-line block ×3, first 2 shown]
	s_delay_alu instid0(VALU_DEP_3) | instskip(NEXT) | instid1(VALU_DEP_1)
	v_add_nc_u64_e32 v[44:45], v[50:51], v[44:45]
	v_add_co_u32 v3, vcc_lo, v44, v40
	s_delay_alu instid0(VALU_DEP_2) | instskip(NEXT) | instid1(VALU_DEP_4)
	v_add_co_ci_u32_e32 v50, vcc_lo, v45, v41, vcc_lo
	v_add_co_ci_u32_e32 v49, vcc_lo, 0, v49, vcc_lo
	s_delay_alu instid0(VALU_DEP_1) | instskip(NEXT) | instid1(VALU_DEP_1)
	v_add_nc_u64_e32 v[40:41], v[50:51], v[48:49]
	v_mul_u64_e32 v[44:45], s[88:89], v[40:41]
	s_delay_alu instid0(VALU_DEP_1) | instskip(NEXT) | instid1(VALU_DEP_2)
	v_sub_nc_u32_e32 v3, v46, v45
	v_sub_co_u32 v39, vcc_lo, v42, v44
	s_delay_alu instid0(VALU_DEP_1) | instskip(NEXT) | instid1(VALU_DEP_3)
	v_sub_co_ci_u32_e64 v46, null, v46, v45, vcc_lo
	v_subrev_co_ci_u32_e64 v3, null, s89, v3, vcc_lo
	s_delay_alu instid0(VALU_DEP_3) | instskip(SKIP_1) | instid1(VALU_DEP_3)
	v_sub_co_u32 v42, s0, v39, s88
	v_add_nc_u64_e32 v[44:45], 1, v[40:41]
	v_subrev_co_ci_u32_e64 v3, null, 0, v3, s0
	s_delay_alu instid0(VALU_DEP_3) | instskip(SKIP_1) | instid1(VALU_DEP_3)
	v_cmp_le_u32_e32 vcc_lo, s88, v42
	v_cndmask_b32_e64 v42, 0, -1, vcc_lo
	v_cmp_le_u32_e32 vcc_lo, s89, v3
	v_cndmask_b32_e64 v43, 0, -1, vcc_lo
	v_cmp_le_u32_e32 vcc_lo, s88, v39
	v_cndmask_b32_e64 v39, 0, -1, vcc_lo
	v_cmp_le_u32_e32 vcc_lo, s89, v46
	v_cndmask_b32_e64 v47, 0, -1, vcc_lo
	v_cmp_eq_u32_e32 vcc_lo, s89, v3
	v_cndmask_b32_e32 v3, v43, v42, vcc_lo
	v_cmp_eq_u32_e32 vcc_lo, s89, v46
	v_add_nc_u64_e32 v[42:43], 2, v[40:41]
	v_cndmask_b32_e32 v39, v47, v39, vcc_lo
	s_delay_alu instid0(VALU_DEP_4) | instskip(NEXT) | instid1(VALU_DEP_2)
	v_cmp_ne_u32_e32 vcc_lo, 0, v3
	v_cmp_ne_u32_e64 s0, 0, v39
	s_delay_alu instid0(VALU_DEP_4) | instskip(NEXT) | instid1(VALU_DEP_1)
	v_dual_cndmask_b32 v3, v45, v43, vcc_lo :: v_dual_cndmask_b32 v39, v44, v42, vcc_lo
	v_dual_cndmask_b32 v3, v41, v3, s0 :: v_dual_bitop2_b32 v38, s86, v38 bitop3:0x14
	s_delay_alu instid0(VALU_DEP_1) | instskip(NEXT) | instid1(VALU_DEP_2)
	v_dual_cndmask_b32 v40, v40, v39, s0 :: v_dual_mov_b32 v39, v38
	v_xor_b32_e32 v41, v3, v38
	s_delay_alu instid0(VALU_DEP_2) | instskip(NEXT) | instid1(VALU_DEP_1)
	v_xor_b32_e32 v40, v40, v38
	v_sub_nc_u64_e32 v[38:39], v[40:41], v[38:39]
.LBB19_58:                              ;   in Loop: Header=BB19_4 Depth=1
	s_and_not1_saveexec_b32 s0, s91
	s_cbranch_execz .LBB19_2
; %bb.59:                               ;   in Loop: Header=BB19_4 Depth=1
	v_cvt_f32_u32_e32 v3, s64
	s_sub_co_i32 s2, 0, s64
	s_delay_alu instid0(VALU_DEP_1) | instskip(SKIP_1) | instid1(TRANS32_DEP_1)
	v_rcp_iflag_f32_e32 v3, v3
	v_nop
	v_mul_f32_e32 v3, 0x4f7ffffe, v3
	s_delay_alu instid0(VALU_DEP_1) | instskip(NEXT) | instid1(VALU_DEP_1)
	v_cvt_u32_f32_e32 v3, v3
	v_mul_lo_u32 v38, s2, v3
	s_delay_alu instid0(VALU_DEP_1) | instskip(NEXT) | instid1(VALU_DEP_1)
	v_mul_hi_u32 v38, v3, v38
	v_add_nc_u32_e32 v3, v3, v38
	s_delay_alu instid0(VALU_DEP_1) | instskip(NEXT) | instid1(VALU_DEP_1)
	v_mul_hi_u32 v3, v0, v3
	v_mul_lo_u32 v38, v3, s64
	s_delay_alu instid0(VALU_DEP_1) | instskip(NEXT) | instid1(VALU_DEP_1)
	v_dual_add_nc_u32 v39, 1, v3 :: v_dual_sub_nc_u32 v38, v0, v38
	v_subrev_nc_u32_e32 v40, s64, v38
	v_cmp_le_u32_e32 vcc_lo, s64, v38
	s_delay_alu instid0(VALU_DEP_2) | instskip(NEXT) | instid1(VALU_DEP_1)
	v_dual_cndmask_b32 v38, v38, v40 :: v_dual_cndmask_b32 v3, v3, v39
	v_cmp_le_u32_e32 vcc_lo, s64, v38
	s_delay_alu instid0(VALU_DEP_2) | instskip(NEXT) | instid1(VALU_DEP_1)
	v_add_nc_u32_e32 v39, 1, v3
	v_dual_cndmask_b32 v38, v3, v39 :: v_dual_mov_b32 v39, v2
	s_branch .LBB19_2
.LBB19_60:                              ;   in Loop: Header=BB19_4 Depth=1
	s_ashr_i32 s86, s63, 31
	v_dual_mov_b32 v39, v2 :: v_dual_ashrrev_i32 v34, 31, v1
	s_mov_b32 s87, s86
	v_mov_b32_e32 v47, v2
	s_add_nc_u64 s[88:89], s[62:63], s[86:87]
	s_delay_alu instid0(VALU_DEP_2) | instskip(SKIP_1) | instid1(SALU_CYCLE_1)
	v_mov_b32_e32 v35, v34
	s_xor_b64 s[88:89], s[88:89], s[86:87]
	s_cvt_f32_u32 s0, s88
	s_cvt_f32_u32 s2, s89
	s_sub_nc_u64 s[94:95], 0, s[88:89]
	v_add_nc_u64_e32 v[36:37], v[0:1], v[34:35]
	v_mov_b32_e32 v43, v2
	s_fmamk_f32 s0, s2, 0x4f800000, s0
	s_delay_alu instid0(SALU_CYCLE_3) | instskip(NEXT) | instid1(VALU_DEP_2)
	v_s_rcp_f32 s0, s0
	v_xor_b32_e32 v38, v36, v34
	s_delay_alu instid0(VALU_DEP_3) | instskip(NEXT) | instid1(TRANS32_DEP_1)
	v_xor_b32_e32 v42, v37, v34
	s_mul_f32 s0, s0, 0x5f7ffffc
	s_delay_alu instid0(SALU_CYCLE_3) | instskip(NEXT) | instid1(SALU_CYCLE_3)
	s_mul_f32 s2, s0, 0x2f800000
	s_trunc_f32 s2, s2
	s_delay_alu instid0(SALU_CYCLE_3) | instskip(SKIP_1) | instid1(SALU_CYCLE_2)
	s_fmamk_f32 s0, s2, 0xcf800000, s0
	s_cvt_u32_f32 s93, s2
	s_cvt_u32_f32 s92, s0
	s_delay_alu instid0(SALU_CYCLE_3) | instskip(NEXT) | instid1(SALU_CYCLE_1)
	s_mul_u64 s[96:97], s[94:95], s[92:93]
	s_mul_hi_u32 s99, s92, s97
	s_mul_i32 s98, s92, s97
	s_mul_hi_u32 s2, s92, s96
	s_mul_i32 s87, s93, s96
	s_add_nc_u64 s[98:99], s[2:3], s[98:99]
	s_mul_hi_u32 s0, s93, s96
	s_mul_hi_u32 s100, s93, s97
	s_add_co_u32 s2, s98, s87
	s_add_co_ci_u32 s2, s99, s0
	s_mul_i32 s96, s93, s97
	s_add_co_ci_u32 s97, s100, 0
	s_delay_alu instid0(SALU_CYCLE_1) | instskip(NEXT) | instid1(SALU_CYCLE_1)
	s_add_nc_u64 s[96:97], s[2:3], s[96:97]
	s_add_co_u32 s92, s92, s96
	s_cselect_b32 s0, -1, 0
	s_delay_alu instid0(SALU_CYCLE_1) | instskip(SKIP_1) | instid1(SALU_CYCLE_1)
	s_cmp_lg_u32 s0, 0
	s_add_co_ci_u32 s93, s93, s97
	s_mul_u64 s[94:95], s[94:95], s[92:93]
	s_delay_alu instid0(SALU_CYCLE_1)
	s_mul_hi_u32 s97, s92, s95
	s_mul_i32 s96, s92, s95
	s_mul_hi_u32 s2, s92, s94
	s_mul_i32 s87, s93, s94
	s_add_nc_u64 s[96:97], s[2:3], s[96:97]
	s_mul_hi_u32 s0, s93, s94
	s_mul_hi_u32 s98, s93, s95
	s_add_co_u32 s2, s96, s87
	s_add_co_ci_u32 s2, s97, s0
	s_mul_i32 s94, s93, s95
	s_add_co_ci_u32 s95, s98, 0
	s_delay_alu instid0(SALU_CYCLE_1) | instskip(NEXT) | instid1(SALU_CYCLE_1)
	s_add_nc_u64 s[94:95], s[2:3], s[94:95]
	s_add_co_u32 s0, s92, s94
	s_cselect_b32 s2, -1, 0
	v_mul_hi_u32 v46, v38, s0
	s_cmp_lg_u32 s2, 0
	s_add_co_ci_u32 s2, s93, s95
	s_and_b64 s[92:93], s[0:1], s[72:73]
	v_mul_u64_e32 v[40:41], s[2:3], v[38:39]
	v_mul_u64_e32 v[36:37], s[92:93], v[42:43]
	v_mul_u64_e32 v[44:45], s[2:3], v[42:43]
	s_delay_alu instid0(VALU_DEP_3) | instskip(NEXT) | instid1(VALU_DEP_1)
	v_add_nc_u64_e32 v[40:41], v[46:47], v[40:41]
	v_add_co_u32 v3, vcc_lo, v40, v36
	s_delay_alu instid0(VALU_DEP_2) | instskip(NEXT) | instid1(VALU_DEP_4)
	v_add_co_ci_u32_e32 v46, vcc_lo, v41, v37, vcc_lo
	v_add_co_ci_u32_e32 v45, vcc_lo, 0, v45, vcc_lo
	s_delay_alu instid0(VALU_DEP_1) | instskip(NEXT) | instid1(VALU_DEP_1)
	v_add_nc_u64_e32 v[36:37], v[46:47], v[44:45]
	v_mul_u64_e32 v[40:41], s[88:89], v[36:37]
	s_delay_alu instid0(VALU_DEP_1) | instskip(NEXT) | instid1(VALU_DEP_2)
	v_sub_nc_u32_e32 v3, v42, v41
	v_sub_co_u32 v35, vcc_lo, v38, v40
	s_delay_alu instid0(VALU_DEP_1) | instskip(NEXT) | instid1(VALU_DEP_3)
	v_sub_co_ci_u32_e64 v42, null, v42, v41, vcc_lo
	v_subrev_co_ci_u32_e64 v3, null, s89, v3, vcc_lo
	s_delay_alu instid0(VALU_DEP_3) | instskip(SKIP_1) | instid1(VALU_DEP_3)
	v_sub_co_u32 v38, s0, v35, s88
	v_add_nc_u64_e32 v[40:41], 1, v[36:37]
	v_subrev_co_ci_u32_e64 v3, null, 0, v3, s0
	s_delay_alu instid0(VALU_DEP_3) | instskip(SKIP_1) | instid1(VALU_DEP_3)
	v_cmp_le_u32_e32 vcc_lo, s88, v38
	v_cndmask_b32_e64 v38, 0, -1, vcc_lo
	v_cmp_le_u32_e32 vcc_lo, s89, v3
	v_cndmask_b32_e64 v39, 0, -1, vcc_lo
	;; [unrolled: 2-line block ×4, first 2 shown]
	v_cmp_eq_u32_e32 vcc_lo, s89, v3
	v_cndmask_b32_e32 v3, v39, v38, vcc_lo
	v_cmp_eq_u32_e32 vcc_lo, s89, v42
	v_add_nc_u64_e32 v[38:39], 2, v[36:37]
	v_cndmask_b32_e32 v35, v43, v35, vcc_lo
	s_delay_alu instid0(VALU_DEP_4) | instskip(NEXT) | instid1(VALU_DEP_2)
	v_cmp_ne_u32_e32 vcc_lo, 0, v3
	v_cmp_ne_u32_e64 s0, 0, v35
	s_delay_alu instid0(VALU_DEP_4) | instskip(NEXT) | instid1(VALU_DEP_1)
	v_dual_cndmask_b32 v3, v41, v39, vcc_lo :: v_dual_cndmask_b32 v35, v40, v38, vcc_lo
	v_dual_cndmask_b32 v3, v37, v3, s0 :: v_dual_bitop2_b32 v34, s86, v34 bitop3:0x14
	s_delay_alu instid0(VALU_DEP_1) | instskip(NEXT) | instid1(VALU_DEP_2)
	v_dual_cndmask_b32 v36, v36, v35, s0 :: v_dual_mov_b32 v35, v34
	v_xor_b32_e32 v37, v3, v34
	s_delay_alu instid0(VALU_DEP_2) | instskip(NEXT) | instid1(VALU_DEP_1)
	v_xor_b32_e32 v36, v36, v34
	v_sub_nc_u64_e32 v[34:35], v[36:37], v[34:35]
	s_and_not1_saveexec_b32 s0, s91
	s_cbranch_execz .LBB19_50
.LBB19_61:                              ;   in Loop: Header=BB19_4 Depth=1
	v_cvt_f32_u32_e32 v3, s62
	s_sub_co_i32 s2, 0, s62
	s_delay_alu instid0(VALU_DEP_1) | instskip(SKIP_1) | instid1(TRANS32_DEP_1)
	v_rcp_iflag_f32_e32 v3, v3
	v_nop
	v_mul_f32_e32 v3, 0x4f7ffffe, v3
	s_delay_alu instid0(VALU_DEP_1) | instskip(NEXT) | instid1(VALU_DEP_1)
	v_cvt_u32_f32_e32 v3, v3
	v_mul_lo_u32 v34, s2, v3
	s_delay_alu instid0(VALU_DEP_1) | instskip(NEXT) | instid1(VALU_DEP_1)
	v_mul_hi_u32 v34, v3, v34
	v_add_nc_u32_e32 v3, v3, v34
	s_delay_alu instid0(VALU_DEP_1) | instskip(NEXT) | instid1(VALU_DEP_1)
	v_mul_hi_u32 v3, v0, v3
	v_mul_lo_u32 v34, v3, s62
	s_delay_alu instid0(VALU_DEP_1) | instskip(NEXT) | instid1(VALU_DEP_1)
	v_dual_add_nc_u32 v35, 1, v3 :: v_dual_sub_nc_u32 v34, v0, v34
	v_subrev_nc_u32_e32 v36, s62, v34
	v_cmp_le_u32_e32 vcc_lo, s62, v34
	s_delay_alu instid0(VALU_DEP_2) | instskip(NEXT) | instid1(VALU_DEP_1)
	v_dual_cndmask_b32 v34, v34, v36 :: v_dual_cndmask_b32 v3, v3, v35
	v_cmp_le_u32_e32 vcc_lo, s62, v34
	s_delay_alu instid0(VALU_DEP_2) | instskip(NEXT) | instid1(VALU_DEP_1)
	v_add_nc_u32_e32 v35, 1, v3
	v_dual_cndmask_b32 v34, v3, v35 :: v_dual_mov_b32 v35, v2
	s_or_b32 exec_lo, exec_lo, s0
	s_delay_alu instid0(SALU_CYCLE_1)
	s_and_not1_b32 vcc_lo, exec_lo, s1
	s_cbranch_vccz .LBB19_51
.LBB19_62:                              ;   in Loop: Header=BB19_4 Depth=1
	v_mov_b64_e32 v[36:37], 0
	s_and_not1_b32 vcc_lo, exec_lo, s33
	s_cbranch_vccz .LBB19_56
.LBB19_63:                              ;   in Loop: Header=BB19_4 Depth=1
	v_mov_b64_e32 v[38:39], 0
	s_branch .LBB19_3
.LBB19_64:
	s_endpgm
	.section	.rodata,"a",@progbits
	.p2align	6, 0x0
	.amdhsa_kernel _ZN2at6native12_GLOBAL__N_16kernel18lstm_cell_backwardIddlLi2EEEvNS_4cuda6detail10TensorInfoIT_T1_EES9_S9_S9_S9_S9_S9_S8_S8_
		.amdhsa_group_segment_fixed_size 0
		.amdhsa_private_segment_fixed_size 0
		.amdhsa_kernarg_size 3184
		.amdhsa_user_sgpr_count 2
		.amdhsa_user_sgpr_dispatch_ptr 0
		.amdhsa_user_sgpr_queue_ptr 0
		.amdhsa_user_sgpr_kernarg_segment_ptr 1
		.amdhsa_user_sgpr_dispatch_id 0
		.amdhsa_user_sgpr_kernarg_preload_length 0
		.amdhsa_user_sgpr_kernarg_preload_offset 0
		.amdhsa_user_sgpr_private_segment_size 0
		.amdhsa_wavefront_size32 1
		.amdhsa_uses_dynamic_stack 0
		.amdhsa_enable_private_segment 0
		.amdhsa_system_sgpr_workgroup_id_x 1
		.amdhsa_system_sgpr_workgroup_id_y 0
		.amdhsa_system_sgpr_workgroup_id_z 0
		.amdhsa_system_sgpr_workgroup_info 0
		.amdhsa_system_vgpr_workitem_id 0
		.amdhsa_next_free_vgpr 62
		.amdhsa_next_free_sgpr 101
		.amdhsa_named_barrier_count 0
		.amdhsa_reserve_vcc 1
		.amdhsa_float_round_mode_32 0
		.amdhsa_float_round_mode_16_64 0
		.amdhsa_float_denorm_mode_32 3
		.amdhsa_float_denorm_mode_16_64 3
		.amdhsa_fp16_overflow 0
		.amdhsa_memory_ordered 1
		.amdhsa_forward_progress 1
		.amdhsa_inst_pref_size 102
		.amdhsa_round_robin_scheduling 0
		.amdhsa_exception_fp_ieee_invalid_op 0
		.amdhsa_exception_fp_denorm_src 0
		.amdhsa_exception_fp_ieee_div_zero 0
		.amdhsa_exception_fp_ieee_overflow 0
		.amdhsa_exception_fp_ieee_underflow 0
		.amdhsa_exception_fp_ieee_inexact 0
		.amdhsa_exception_int_div_zero 0
	.end_amdhsa_kernel
	.section	.text._ZN2at6native12_GLOBAL__N_16kernel18lstm_cell_backwardIddlLi2EEEvNS_4cuda6detail10TensorInfoIT_T1_EES9_S9_S9_S9_S9_S9_S8_S8_,"axG",@progbits,_ZN2at6native12_GLOBAL__N_16kernel18lstm_cell_backwardIddlLi2EEEvNS_4cuda6detail10TensorInfoIT_T1_EES9_S9_S9_S9_S9_S9_S8_S8_,comdat
.Lfunc_end19:
	.size	_ZN2at6native12_GLOBAL__N_16kernel18lstm_cell_backwardIddlLi2EEEvNS_4cuda6detail10TensorInfoIT_T1_EES9_S9_S9_S9_S9_S9_S8_S8_, .Lfunc_end19-_ZN2at6native12_GLOBAL__N_16kernel18lstm_cell_backwardIddlLi2EEEvNS_4cuda6detail10TensorInfoIT_T1_EES9_S9_S9_S9_S9_S9_S8_S8_
                                        ; -- End function
	.set _ZN2at6native12_GLOBAL__N_16kernel18lstm_cell_backwardIddlLi2EEEvNS_4cuda6detail10TensorInfoIT_T1_EES9_S9_S9_S9_S9_S9_S8_S8_.num_vgpr, 62
	.set _ZN2at6native12_GLOBAL__N_16kernel18lstm_cell_backwardIddlLi2EEEvNS_4cuda6detail10TensorInfoIT_T1_EES9_S9_S9_S9_S9_S9_S8_S8_.num_agpr, 0
	.set _ZN2at6native12_GLOBAL__N_16kernel18lstm_cell_backwardIddlLi2EEEvNS_4cuda6detail10TensorInfoIT_T1_EES9_S9_S9_S9_S9_S9_S8_S8_.numbered_sgpr, 101
	.set _ZN2at6native12_GLOBAL__N_16kernel18lstm_cell_backwardIddlLi2EEEvNS_4cuda6detail10TensorInfoIT_T1_EES9_S9_S9_S9_S9_S9_S8_S8_.num_named_barrier, 0
	.set _ZN2at6native12_GLOBAL__N_16kernel18lstm_cell_backwardIddlLi2EEEvNS_4cuda6detail10TensorInfoIT_T1_EES9_S9_S9_S9_S9_S9_S8_S8_.private_seg_size, 0
	.set _ZN2at6native12_GLOBAL__N_16kernel18lstm_cell_backwardIddlLi2EEEvNS_4cuda6detail10TensorInfoIT_T1_EES9_S9_S9_S9_S9_S9_S8_S8_.uses_vcc, 1
	.set _ZN2at6native12_GLOBAL__N_16kernel18lstm_cell_backwardIddlLi2EEEvNS_4cuda6detail10TensorInfoIT_T1_EES9_S9_S9_S9_S9_S9_S8_S8_.uses_flat_scratch, 0
	.set _ZN2at6native12_GLOBAL__N_16kernel18lstm_cell_backwardIddlLi2EEEvNS_4cuda6detail10TensorInfoIT_T1_EES9_S9_S9_S9_S9_S9_S8_S8_.has_dyn_sized_stack, 0
	.set _ZN2at6native12_GLOBAL__N_16kernel18lstm_cell_backwardIddlLi2EEEvNS_4cuda6detail10TensorInfoIT_T1_EES9_S9_S9_S9_S9_S9_S8_S8_.has_recursion, 0
	.set _ZN2at6native12_GLOBAL__N_16kernel18lstm_cell_backwardIddlLi2EEEvNS_4cuda6detail10TensorInfoIT_T1_EES9_S9_S9_S9_S9_S9_S8_S8_.has_indirect_call, 0
	.section	.AMDGPU.csdata,"",@progbits
; Kernel info:
; codeLenInByte = 13016
; TotalNumSgprs: 103
; NumVgprs: 62
; ScratchSize: 0
; MemoryBound: 0
; FloatMode: 240
; IeeeMode: 1
; LDSByteSize: 0 bytes/workgroup (compile time only)
; SGPRBlocks: 0
; VGPRBlocks: 3
; NumSGPRsForWavesPerEU: 103
; NumVGPRsForWavesPerEU: 62
; NamedBarCnt: 0
; Occupancy: 16
; WaveLimiterHint : 1
; COMPUTE_PGM_RSRC2:SCRATCH_EN: 0
; COMPUTE_PGM_RSRC2:USER_SGPR: 2
; COMPUTE_PGM_RSRC2:TRAP_HANDLER: 0
; COMPUTE_PGM_RSRC2:TGID_X_EN: 1
; COMPUTE_PGM_RSRC2:TGID_Y_EN: 0
; COMPUTE_PGM_RSRC2:TGID_Z_EN: 0
; COMPUTE_PGM_RSRC2:TIDIG_COMP_CNT: 0
	.section	.text._ZN2at6native12_GLOBAL__N_16kernel18lstm_cell_backwardIffiLi1EEEvNS_4cuda6detail10TensorInfoIT_T1_EES9_S9_S9_S9_S9_S9_S8_S8_,"axG",@progbits,_ZN2at6native12_GLOBAL__N_16kernel18lstm_cell_backwardIffiLi1EEEvNS_4cuda6detail10TensorInfoIT_T1_EES9_S9_S9_S9_S9_S9_S8_S8_,comdat
	.globl	_ZN2at6native12_GLOBAL__N_16kernel18lstm_cell_backwardIffiLi1EEEvNS_4cuda6detail10TensorInfoIT_T1_EES9_S9_S9_S9_S9_S9_S8_S8_ ; -- Begin function _ZN2at6native12_GLOBAL__N_16kernel18lstm_cell_backwardIffiLi1EEEvNS_4cuda6detail10TensorInfoIT_T1_EES9_S9_S9_S9_S9_S9_S8_S8_
	.p2align	8
	.type	_ZN2at6native12_GLOBAL__N_16kernel18lstm_cell_backwardIffiLi1EEEvNS_4cuda6detail10TensorInfoIT_T1_EES9_S9_S9_S9_S9_S9_S8_S8_,@function
_ZN2at6native12_GLOBAL__N_16kernel18lstm_cell_backwardIffiLi1EEEvNS_4cuda6detail10TensorInfoIT_T1_EES9_S9_S9_S9_S9_S9_S8_S8_: ; @_ZN2at6native12_GLOBAL__N_16kernel18lstm_cell_backwardIffiLi1EEEvNS_4cuda6detail10TensorInfoIT_T1_EES9_S9_S9_S9_S9_S9_S8_S8_
; %bb.0:
	s_clause 0x1
	s_load_b32 s4, s[0:1], 0x5fc
	s_load_b64 s[2:3], s[0:1], 0x5e8
	s_bfe_u32 s5, ttmp6, 0x4000c
	s_and_b32 s6, ttmp6, 15
	s_add_co_i32 s5, s5, 1
	s_getreg_b32 s7, hwreg(HW_REG_IB_STS2, 6, 4)
	s_mul_i32 s5, ttmp9, s5
	s_delay_alu instid0(SALU_CYCLE_1)
	s_add_co_i32 s6, s6, s5
	s_wait_kmcnt 0x0
	s_and_b32 s4, s4, 0xffff
	s_cmp_eq_u32 s7, 0
	s_cselect_b32 s5, ttmp9, s6
	s_mov_b32 s6, exec_lo
	v_mad_u32 v6, s5, s4, v0
	s_mov_b32 s5, 0
	s_delay_alu instid0(VALU_DEP_1)
	v_cmpx_gt_i32_e64 s3, v6
	s_cbranch_execz .LBB20_11
; %bb.1:
	s_clause 0x1
	s_load_b64 s[6:7], s[0:1], 0x360
	s_load_b64 s[8:9], s[0:1], 0x438
	s_add_nc_u64 s[10:11], s[0:1], 0x5f0
	s_clause 0x4
	s_load_b32 s27, s[0:1], 0x21c
	s_load_b32 s28, s[0:1], 0x2f4
	;; [unrolled: 1-line block ×6, first 2 shown]
	s_wait_xcnt 0x0
	s_clause 0x6
	s_load_b64 s[10:11], s[0:1], 0x1b0
	s_load_b64 s[12:13], s[0:1], 0x288
	;; [unrolled: 1-line block ×3, first 2 shown]
	s_load_b32 s23, s[0:1], 0x6c
	s_load_b64 s[18:19], s[0:1], 0xd8
	s_load_b32 s24, s[0:1], 0x144
	s_load_b64 s[14:15], s[0:1], 0x510
	v_mov_b32_e32 v1, 0
	s_wait_xcnt 0x0
	s_mul_i32 s0, s2, 3
	s_mov_b32 s1, 0xbbbac73d
	s_wait_kmcnt 0x0
	v_mul_lo_u32 v7, v6, s27
	s_cmp_lg_u64 s[6:7], 0
	v_mul_lo_u32 v8, v6, s28
	s_cselect_b32 s20, -1, 0
	s_cmp_lg_u64 s[8:9], 0
	s_mul_i32 s25, s25, s4
	s_cselect_b32 s21, -1, 0
	s_abs_i32 s22, s2
	v_mul_lo_u32 v9, v6, s29
	s_cvt_f32_u32 s26, s22
	v_mul_lo_u32 v10, v6, s30
	v_mul_lo_u32 v11, v6, s31
	s_sub_co_i32 s33, 0, s22
	v_rcp_iflag_f32_e32 v0, s26
	s_mul_i32 s27, s25, s27
	s_mul_i32 s28, s25, s28
	;; [unrolled: 1-line block ×5, first 2 shown]
	v_nop
	v_readfirstlane_b32 s26, v0
	s_mul_f32 s4, s26, 0x4f7ffffe
	s_ashr_i32 s26, s2, 31
	s_delay_alu instid0(SALU_CYCLE_2) | instskip(NEXT) | instid1(SALU_CYCLE_3)
	s_cvt_u32_f32 s4, s4
	s_mul_i32 s33, s33, s4
	s_delay_alu instid0(SALU_CYCLE_1) | instskip(NEXT) | instid1(SALU_CYCLE_1)
	s_mul_hi_u32 s33, s4, s33
	s_add_co_i32 s4, s4, s33
	s_mov_b32 s33, s5
	s_branch .LBB20_3
.LBB20_2:                               ;   in Loop: Header=BB20_3 Depth=1
	s_or_b32 exec_lo, exec_lo, s34
	s_delay_alu instid0(VALU_DEP_1)
	v_bfi_b32 v3, 0x7fffffff, v5, v3
	v_sub_f32_e32 v22, 1.0, v0
	v_add_nc_u32_e32 v8, s28, v8
	v_mul_lo_u32 v16, v16, s24
	v_mul_lo_u32 v17, v17, s24
	v_dual_mov_b32 v5, v3 :: v_dual_add_nc_u32 v6, s25, v6
	v_add_nc_u32_e32 v7, s27, v7
	v_add_nc_u32_e32 v11, s31, v11
	s_delay_alu instid0(VALU_DEP_3)
	v_pk_mul_f32 v[20:21], v[2:3], v[4:5]
	v_mul_lo_u32 v5, v18, s24
	v_mul_lo_u32 v18, v19, s24
	v_mul_f32_e32 v3, v4, v3
	v_cmp_le_i32_e32 vcc_lo, s3, v6
	v_dual_sub_f32 v19, 1.0, v21 :: v_dual_sub_f32 v21, 1.0, v12
	s_or_b32 s33, vcc_lo, s33
	s_wait_loadcnt 0x0
	s_delay_alu instid0(VALU_DEP_1) | instskip(SKIP_1) | instid1(VALU_DEP_2)
	v_fmac_f32_e32 v15, v20, v19
	v_fma_f32 v19, -v14, v14, 1.0
	v_dual_sub_f32 v20, 1.0, v2 :: v_dual_mul_f32 v14, v14, v15
	v_dual_mul_f32 v13, v13, v15 :: v_dual_add_nc_u32 v10, s30, v10
	s_delay_alu instid0(VALU_DEP_2) | instskip(NEXT) | instid1(VALU_DEP_2)
	v_dual_mul_f32 v4, v21, v14 :: v_dual_mul_f32 v14, v12, v15
	v_dual_mul_f32 v13, v22, v13 :: v_dual_mul_f32 v3, v20, v3
	s_delay_alu instid0(VALU_DEP_2) | instskip(NEXT) | instid1(VALU_DEP_2)
	v_mul_f32_e32 v4, v12, v4
	v_dual_mul_f32 v12, v0, v13 :: v_dual_mul_f32 v0, v0, v15
	s_delay_alu instid0(VALU_DEP_3)
	v_dual_mul_f32 v13, v19, v14 :: v_dual_mul_f32 v2, v2, v3
	s_clause 0x3
	global_store_b32 v5, v4, s[18:19] scale_offset
	global_store_b32 v18, v12, s[18:19] scale_offset
	;; [unrolled: 1-line block ×5, first 2 shown]
	s_wait_xcnt 0x0
	v_add_nc_u32_e32 v9, s29, v9
	s_and_not1_b32 exec_lo, exec_lo, s33
	s_cbranch_execz .LBB20_11
.LBB20_3:                               ; =>This Inner Loop Header: Depth=1
	v_sub_nc_u32_e32 v0, 0, v6
	s_delay_alu instid0(VALU_DEP_1) | instskip(NEXT) | instid1(VALU_DEP_1)
	v_max_i32_e32 v0, v6, v0
	v_mul_u64_e32 v[2:3], s[4:5], v[0:1]
	s_delay_alu instid0(VALU_DEP_1) | instskip(NEXT) | instid1(VALU_DEP_1)
	v_mul_lo_u32 v2, v3, s22
	v_dual_sub_nc_u32 v0, v0, v2 :: v_dual_add_nc_u32 v2, 1, v3
	s_delay_alu instid0(VALU_DEP_1) | instskip(SKIP_1) | instid1(VALU_DEP_3)
	v_subrev_nc_u32_e32 v4, s22, v0
	v_cmp_le_u32_e32 vcc_lo, s22, v0
	v_cndmask_b32_e32 v2, v3, v2, vcc_lo
	s_delay_alu instid0(VALU_DEP_3) | instskip(NEXT) | instid1(VALU_DEP_2)
	v_dual_cndmask_b32 v0, v0, v4 :: v_dual_ashrrev_i32 v3, 31, v6
	v_add_nc_u32_e32 v4, 1, v2
	s_delay_alu instid0(VALU_DEP_2) | instskip(NEXT) | instid1(VALU_DEP_2)
	v_cmp_le_u32_e32 vcc_lo, s22, v0
	v_dual_cndmask_b32 v0, v2, v4, vcc_lo :: v_dual_bitop2_b32 v3, s26, v3 bitop3:0x14
	s_delay_alu instid0(VALU_DEP_1) | instskip(SKIP_1) | instid1(VALU_DEP_2)
	v_mul_i32_i24_e32 v2, 3, v3
	s_and_not1_b32 vcc_lo, exec_lo, s20
	v_xor_b32_e32 v0, v0, v3
	s_delay_alu instid0(VALU_DEP_1) | instskip(NEXT) | instid1(VALU_DEP_1)
	v_lshl_add_u32 v4, v0, 1, v0
	v_sub_nc_u32_e32 v2, v4, v2
	s_delay_alu instid0(VALU_DEP_1) | instskip(SKIP_2) | instid1(VALU_DEP_3)
	v_dual_add_nc_u32 v4, 2, v2 :: v_dual_sub_nc_u32 v0, v0, v3
	v_mul_lo_u32 v3, s2, v2
	v_add_nc_u32_e32 v2, 3, v2
	v_mad_u32 v16, s2, v4, v6
	s_delay_alu instid0(VALU_DEP_4) | instskip(NEXT) | instid1(VALU_DEP_3)
	v_mad_u32 v18, s0, v0, v6
	v_mad_u32 v17, s2, v2, v6
	v_add3_u32 v19, v3, s2, v6
	s_delay_alu instid0(VALU_DEP_4) | instskip(NEXT) | instid1(VALU_DEP_4)
	v_mul_lo_u32 v15, v16, s23
	v_mul_lo_u32 v4, v18, s23
	s_delay_alu instid0(VALU_DEP_3)
	v_mul_lo_u32 v5, v19, s23
	v_mul_lo_u32 v20, v17, s23
	global_load_b32 v13, v7, s[10:11] scale_offset
	s_clause 0x3
	global_load_b32 v12, v4, s[16:17] scale_offset
	global_load_b32 v0, v5, s[16:17] scale_offset
	;; [unrolled: 1-line block ×5, first 2 shown]
	s_wait_xcnt 0x4
	v_mov_b32_e32 v4, 0
	s_cbranch_vccnz .LBB20_5
; %bb.4:                                ;   in Loop: Header=BB20_3 Depth=1
	global_load_b32 v4, v10, s[6:7] scale_offset
.LBB20_5:                               ;   in Loop: Header=BB20_3 Depth=1
	s_and_not1_b32 vcc_lo, exec_lo, s21
	s_cbranch_vccnz .LBB20_10
; %bb.6:                                ;   in Loop: Header=BB20_3 Depth=1
	global_load_b32 v15, v11, s[8:9] scale_offset
	s_wait_loadcnt 0x1
	v_cmp_ngt_f32_e64 s34, 0x3f200000, |v3|
                                        ; implicit-def: $vgpr5
	s_wait_xcnt 0x0
	s_and_saveexec_b32 s35, s34
	s_delay_alu instid0(SALU_CYCLE_1)
	s_xor_b32 s34, exec_lo, s35
	s_cbranch_execz .LBB20_8
.LBB20_7:                               ;   in Loop: Header=BB20_3 Depth=1
	v_add_f32_e64 v5, |v3|, |v3|
	s_delay_alu instid0(VALU_DEP_1) | instskip(SKIP_1) | instid1(VALU_DEP_2)
	v_mul_f32_e32 v20, 0x3fb8aa3b, v5
	v_cmp_ngt_f32_e32 vcc_lo, 0xc2ce8ed0, v5
	v_rndne_f32_e32 v21, v20
	v_fma_f32 v22, 0x3fb8aa3b, v5, -v20
	s_delay_alu instid0(VALU_DEP_2) | instskip(NEXT) | instid1(VALU_DEP_2)
	v_sub_f32_e32 v20, v20, v21
	v_fmac_f32_e32 v22, 0x32a5705f, v5
	v_cvt_i32_f32_e32 v21, v21
	s_delay_alu instid0(VALU_DEP_2) | instskip(NEXT) | instid1(VALU_DEP_1)
	v_add_f32_e32 v20, v20, v22
	v_exp_f32_e32 v20, v20
	v_nop
	s_delay_alu instid0(TRANS32_DEP_1) | instskip(NEXT) | instid1(VALU_DEP_1)
	v_ldexp_f32 v20, v20, v21
	v_cndmask_b32_e32 v20, 0, v20, vcc_lo
	v_cmp_nlt_f32_e32 vcc_lo, 0x42b17218, v5
	s_delay_alu instid0(VALU_DEP_2) | instskip(NEXT) | instid1(VALU_DEP_1)
	v_cndmask_b32_e32 v5, 0x7f800000, v20, vcc_lo
	v_add_f32_e32 v5, 1.0, v5
	s_delay_alu instid0(VALU_DEP_1) | instskip(SKIP_1) | instid1(TRANS32_DEP_1)
	v_rcp_f32_e32 v5, v5
	v_nop
	v_fma_f32 v5, v5, -2.0, 1.0
.LBB20_8:                               ;   in Loop: Header=BB20_3 Depth=1
	s_and_not1_saveexec_b32 s34, s34
	s_cbranch_execz .LBB20_2
; %bb.9:                                ;   in Loop: Header=BB20_3 Depth=1
	v_mul_f32_e32 v5, v3, v3
	s_delay_alu instid0(VALU_DEP_1) | instskip(NEXT) | instid1(VALU_DEP_1)
	v_fmaak_f32 v20, s1, v5, 0x3ca908c9
	v_fmaak_f32 v20, v5, v20, 0xbd5c1c4e
	s_delay_alu instid0(VALU_DEP_1) | instskip(NEXT) | instid1(VALU_DEP_1)
	v_fmaak_f32 v20, v5, v20, 0x3e088382
	v_fmaak_f32 v20, v5, v20, 0xbeaaaa99
	s_delay_alu instid0(VALU_DEP_1) | instskip(NEXT) | instid1(VALU_DEP_1)
	v_mul_f32_e64 v20, |v3|, v20
	v_fma_f32 v5, v5, v20, |v3|
	s_branch .LBB20_2
.LBB20_10:                              ;   in Loop: Header=BB20_3 Depth=1
	s_wait_xcnt 0x2
	v_mov_b32_e32 v15, 0
	s_wait_loadcnt 0x0
	v_cmp_ngt_f32_e64 s34, 0x3f200000, |v3|
                                        ; implicit-def: $vgpr5
	s_wait_xcnt 0x0
	s_and_saveexec_b32 s35, s34
	s_delay_alu instid0(SALU_CYCLE_1)
	s_xor_b32 s34, exec_lo, s35
	s_cbranch_execz .LBB20_8
	s_branch .LBB20_7
.LBB20_11:
	s_endpgm
	.section	.rodata,"a",@progbits
	.p2align	6, 0x0
	.amdhsa_kernel _ZN2at6native12_GLOBAL__N_16kernel18lstm_cell_backwardIffiLi1EEEvNS_4cuda6detail10TensorInfoIT_T1_EES9_S9_S9_S9_S9_S9_S8_S8_
		.amdhsa_group_segment_fixed_size 0
		.amdhsa_private_segment_fixed_size 0
		.amdhsa_kernarg_size 1776
		.amdhsa_user_sgpr_count 2
		.amdhsa_user_sgpr_dispatch_ptr 0
		.amdhsa_user_sgpr_queue_ptr 0
		.amdhsa_user_sgpr_kernarg_segment_ptr 1
		.amdhsa_user_sgpr_dispatch_id 0
		.amdhsa_user_sgpr_kernarg_preload_length 0
		.amdhsa_user_sgpr_kernarg_preload_offset 0
		.amdhsa_user_sgpr_private_segment_size 0
		.amdhsa_wavefront_size32 1
		.amdhsa_uses_dynamic_stack 0
		.amdhsa_enable_private_segment 0
		.amdhsa_system_sgpr_workgroup_id_x 1
		.amdhsa_system_sgpr_workgroup_id_y 0
		.amdhsa_system_sgpr_workgroup_id_z 0
		.amdhsa_system_sgpr_workgroup_info 0
		.amdhsa_system_vgpr_workitem_id 0
		.amdhsa_next_free_vgpr 23
		.amdhsa_next_free_sgpr 36
		.amdhsa_named_barrier_count 0
		.amdhsa_reserve_vcc 1
		.amdhsa_float_round_mode_32 0
		.amdhsa_float_round_mode_16_64 0
		.amdhsa_float_denorm_mode_32 3
		.amdhsa_float_denorm_mode_16_64 3
		.amdhsa_fp16_overflow 0
		.amdhsa_memory_ordered 1
		.amdhsa_forward_progress 1
		.amdhsa_inst_pref_size 11
		.amdhsa_round_robin_scheduling 0
		.amdhsa_exception_fp_ieee_invalid_op 0
		.amdhsa_exception_fp_denorm_src 0
		.amdhsa_exception_fp_ieee_div_zero 0
		.amdhsa_exception_fp_ieee_overflow 0
		.amdhsa_exception_fp_ieee_underflow 0
		.amdhsa_exception_fp_ieee_inexact 0
		.amdhsa_exception_int_div_zero 0
	.end_amdhsa_kernel
	.section	.text._ZN2at6native12_GLOBAL__N_16kernel18lstm_cell_backwardIffiLi1EEEvNS_4cuda6detail10TensorInfoIT_T1_EES9_S9_S9_S9_S9_S9_S8_S8_,"axG",@progbits,_ZN2at6native12_GLOBAL__N_16kernel18lstm_cell_backwardIffiLi1EEEvNS_4cuda6detail10TensorInfoIT_T1_EES9_S9_S9_S9_S9_S9_S8_S8_,comdat
.Lfunc_end20:
	.size	_ZN2at6native12_GLOBAL__N_16kernel18lstm_cell_backwardIffiLi1EEEvNS_4cuda6detail10TensorInfoIT_T1_EES9_S9_S9_S9_S9_S9_S8_S8_, .Lfunc_end20-_ZN2at6native12_GLOBAL__N_16kernel18lstm_cell_backwardIffiLi1EEEvNS_4cuda6detail10TensorInfoIT_T1_EES9_S9_S9_S9_S9_S9_S8_S8_
                                        ; -- End function
	.set _ZN2at6native12_GLOBAL__N_16kernel18lstm_cell_backwardIffiLi1EEEvNS_4cuda6detail10TensorInfoIT_T1_EES9_S9_S9_S9_S9_S9_S8_S8_.num_vgpr, 23
	.set _ZN2at6native12_GLOBAL__N_16kernel18lstm_cell_backwardIffiLi1EEEvNS_4cuda6detail10TensorInfoIT_T1_EES9_S9_S9_S9_S9_S9_S8_S8_.num_agpr, 0
	.set _ZN2at6native12_GLOBAL__N_16kernel18lstm_cell_backwardIffiLi1EEEvNS_4cuda6detail10TensorInfoIT_T1_EES9_S9_S9_S9_S9_S9_S8_S8_.numbered_sgpr, 36
	.set _ZN2at6native12_GLOBAL__N_16kernel18lstm_cell_backwardIffiLi1EEEvNS_4cuda6detail10TensorInfoIT_T1_EES9_S9_S9_S9_S9_S9_S8_S8_.num_named_barrier, 0
	.set _ZN2at6native12_GLOBAL__N_16kernel18lstm_cell_backwardIffiLi1EEEvNS_4cuda6detail10TensorInfoIT_T1_EES9_S9_S9_S9_S9_S9_S8_S8_.private_seg_size, 0
	.set _ZN2at6native12_GLOBAL__N_16kernel18lstm_cell_backwardIffiLi1EEEvNS_4cuda6detail10TensorInfoIT_T1_EES9_S9_S9_S9_S9_S9_S8_S8_.uses_vcc, 1
	.set _ZN2at6native12_GLOBAL__N_16kernel18lstm_cell_backwardIffiLi1EEEvNS_4cuda6detail10TensorInfoIT_T1_EES9_S9_S9_S9_S9_S9_S8_S8_.uses_flat_scratch, 0
	.set _ZN2at6native12_GLOBAL__N_16kernel18lstm_cell_backwardIffiLi1EEEvNS_4cuda6detail10TensorInfoIT_T1_EES9_S9_S9_S9_S9_S9_S8_S8_.has_dyn_sized_stack, 0
	.set _ZN2at6native12_GLOBAL__N_16kernel18lstm_cell_backwardIffiLi1EEEvNS_4cuda6detail10TensorInfoIT_T1_EES9_S9_S9_S9_S9_S9_S8_S8_.has_recursion, 0
	.set _ZN2at6native12_GLOBAL__N_16kernel18lstm_cell_backwardIffiLi1EEEvNS_4cuda6detail10TensorInfoIT_T1_EES9_S9_S9_S9_S9_S9_S8_S8_.has_indirect_call, 0
	.section	.AMDGPU.csdata,"",@progbits
; Kernel info:
; codeLenInByte = 1364
; TotalNumSgprs: 38
; NumVgprs: 23
; ScratchSize: 0
; MemoryBound: 0
; FloatMode: 240
; IeeeMode: 1
; LDSByteSize: 0 bytes/workgroup (compile time only)
; SGPRBlocks: 0
; VGPRBlocks: 1
; NumSGPRsForWavesPerEU: 38
; NumVGPRsForWavesPerEU: 23
; NamedBarCnt: 0
; Occupancy: 16
; WaveLimiterHint : 1
; COMPUTE_PGM_RSRC2:SCRATCH_EN: 0
; COMPUTE_PGM_RSRC2:USER_SGPR: 2
; COMPUTE_PGM_RSRC2:TRAP_HANDLER: 0
; COMPUTE_PGM_RSRC2:TGID_X_EN: 1
; COMPUTE_PGM_RSRC2:TGID_Y_EN: 0
; COMPUTE_PGM_RSRC2:TGID_Z_EN: 0
; COMPUTE_PGM_RSRC2:TIDIG_COMP_CNT: 0
	.section	.text._ZN2at6native12_GLOBAL__N_16kernel18lstm_cell_backwardIffiLi2EEEvNS_4cuda6detail10TensorInfoIT_T1_EES9_S9_S9_S9_S9_S9_S8_S8_,"axG",@progbits,_ZN2at6native12_GLOBAL__N_16kernel18lstm_cell_backwardIffiLi2EEEvNS_4cuda6detail10TensorInfoIT_T1_EES9_S9_S9_S9_S9_S9_S8_S8_,comdat
	.globl	_ZN2at6native12_GLOBAL__N_16kernel18lstm_cell_backwardIffiLi2EEEvNS_4cuda6detail10TensorInfoIT_T1_EES9_S9_S9_S9_S9_S9_S8_S8_ ; -- Begin function _ZN2at6native12_GLOBAL__N_16kernel18lstm_cell_backwardIffiLi2EEEvNS_4cuda6detail10TensorInfoIT_T1_EES9_S9_S9_S9_S9_S9_S8_S8_
	.p2align	8
	.type	_ZN2at6native12_GLOBAL__N_16kernel18lstm_cell_backwardIffiLi2EEEvNS_4cuda6detail10TensorInfoIT_T1_EES9_S9_S9_S9_S9_S9_S8_S8_,@function
_ZN2at6native12_GLOBAL__N_16kernel18lstm_cell_backwardIffiLi2EEEvNS_4cuda6detail10TensorInfoIT_T1_EES9_S9_S9_S9_S9_S9_S8_S8_: ; @_ZN2at6native12_GLOBAL__N_16kernel18lstm_cell_backwardIffiLi2EEEvNS_4cuda6detail10TensorInfoIT_T1_EES9_S9_S9_S9_S9_S9_S8_S8_
; %bb.0:
	s_clause 0x1
	s_load_b32 s2, s[0:1], 0x5fc
	s_load_b64 s[4:5], s[0:1], 0x5e8
	s_bfe_u32 s3, ttmp6, 0x4000c
	s_and_b32 s6, ttmp6, 15
	s_add_co_i32 s3, s3, 1
	s_getreg_b32 s7, hwreg(HW_REG_IB_STS2, 6, 4)
	s_mul_i32 s3, ttmp9, s3
	s_delay_alu instid0(SALU_CYCLE_1)
	s_add_co_i32 s6, s6, s3
	s_wait_kmcnt 0x0
	s_and_b32 s2, s2, 0xffff
	s_cmp_eq_u32 s7, 0
	s_mov_b32 s7, 0
	s_cselect_b32 s3, ttmp9, s6
	s_delay_alu instid0(SALU_CYCLE_1) | instskip(SKIP_1) | instid1(VALU_DEP_1)
	v_mad_u32 v14, s3, s2, v0
	s_mov_b32 s3, exec_lo
	v_cmpx_gt_i32_e64 s5, v14
	s_cbranch_execz .LBB21_11
; %bb.1:
	s_clause 0x4
	s_load_b64 s[8:9], s[0:1], 0x360
	s_load_b64 s[10:11], s[0:1], 0x438
	s_load_b32 s33, s[0:1], 0xc
	s_load_b32 s3, s[0:1], 0x36c
	s_load_b64 s[12:13], s[0:1], 0x3cc
	s_add_nc_u64 s[20:21], s[0:1], 0x5f0
	s_clause 0x2
	s_load_b64 s[14:15], s[0:1], 0x0
	s_load_b64 s[16:17], s[0:1], 0x6c
	s_load_b64 s[18:19], s[0:1], 0xd8
	s_load_b32 s57, s[20:21], 0x0
	s_load_b32 s52, s[0:1], 0xe4
	s_wait_xcnt 0x0
	s_clause 0xa
	s_load_b64 s[20:21], s[0:1], 0x144
	s_load_b64 s[22:23], s[0:1], 0x1b0
	s_load_b32 s73, s[0:1], 0x1bc
	s_load_b64 s[24:25], s[0:1], 0x21c
	s_load_b64 s[26:27], s[0:1], 0x288
	s_load_b32 s74, s[0:1], 0x294
	s_load_b64 s[28:29], s[0:1], 0x2f4
	s_load_b32 s77, s[0:1], 0x444
	s_load_b64 s[30:31], s[0:1], 0x4a4
	s_load_b64 s[34:35], s[0:1], 0x510
	s_load_b32 s75, s[0:1], 0x51c
	s_mov_b32 s43, s7
	s_mov_b32 s47, s7
	;; [unrolled: 1-line block ×3, first 2 shown]
	s_mul_i32 s72, s4, 3
	s_mov_b32 s78, 0xbbbac73d
	s_mov_b32 s79, s7
	s_wait_kmcnt 0x0
	s_cmp_lg_u64 s[8:9], 0
	s_cselect_b32 s53, -1, 0
	s_cmp_lg_u64 s[10:11], 0
	s_cselect_b32 s54, -1, 0
	s_abs_i32 s55, s4
	s_abs_i32 s56, s33
	s_cvt_f32_u32 s6, s55
	s_cvt_f32_u32 s36, s56
	s_abs_i32 s58, s52
	s_mul_i32 s57, s57, s2
	v_rcp_iflag_f32_e32 v0, s6
	v_rcp_iflag_f32_e32 v1, s36
	s_load_b64 s[36:37], s[0:1], 0x57c
	s_wait_xcnt 0x0
	s_cvt_f32_u32 s0, s58
	s_abs_i32 s61, s73
	s_sub_co_i32 s6, 0, s56
	s_cvt_f32_u32 s38, s61
	v_readfirstlane_b32 s1, v0
	v_readfirstlane_b32 s2, v1
	v_rcp_iflag_f32_e32 v0, s0
	s_abs_i32 s63, s74
	s_abs_i32 s64, s75
	s_mul_f32 s0, s1, 0x4f7ffffe
	s_mul_f32 s1, s2, 0x4f7ffffe
	s_sub_co_i32 s2, 0, s55
	s_cvt_f32_u32 s41, s63
	s_cvt_u32_f32 s0, s0
	s_cvt_u32_f32 s1, s1
	v_nop
	v_readfirstlane_b32 s39, v0
	v_rcp_iflag_f32_e32 v0, s38
	s_mul_i32 s2, s2, s0
	s_mul_i32 s6, s6, s1
	s_mul_hi_u32 s2, s0, s2
	s_mul_hi_u32 s40, s1, s6
	s_add_co_i32 s6, s0, s2
	s_mul_f32 s0, s39, 0x4f7ffffe
	v_nop
	v_readfirstlane_b32 s2, v0
	s_add_co_i32 s38, s1, s40
	s_sub_co_i32 s1, 0, s58
	s_cvt_u32_f32 s0, s0
	v_rcp_iflag_f32_e32 v0, s41
	s_mul_f32 s2, s2, 0x4f7ffffe
	s_abs_i32 s66, s3
	s_mul_i32 s1, s1, s0
	s_abs_i32 s68, s77
	s_mul_hi_u32 s1, s0, s1
	s_sub_co_i32 s44, 0, s63
	s_add_co_i32 s40, s0, s1
	s_cvt_u32_f32 s0, s2
	s_cvt_f32_u32 s1, s64
	s_sub_co_i32 s2, 0, s61
	s_sub_co_i32 s45, 0, s64
	s_mul_i32 s2, s2, s0
	v_rcp_iflag_f32_e32 v1, s1
	v_nop
	v_readfirstlane_b32 s1, v0
	s_mul_hi_u32 s2, s0, s2
	s_sub_co_i32 s49, 0, s68
	s_add_co_i32 s42, s0, s2
	s_cvt_f32_u32 s2, s66
	s_mul_f32 s0, s1, 0x4f7ffffe
	v_readfirstlane_b32 s1, v1
	s_ashr_i32 s59, s4, 31
	v_rcp_iflag_f32_e32 v0, s2
	s_cvt_f32_u32 s2, s68
	s_cvt_u32_f32 s0, s0
	s_mul_f32 s1, s1, 0x4f7ffffe
	s_ashr_i32 s60, s33, 31
	v_rcp_iflag_f32_e32 v1, s2
	s_mul_i32 s44, s44, s0
	v_nop
	v_readfirstlane_b32 s2, v0
	s_cvt_u32_f32 s1, s1
	s_mul_hi_u32 s44, s0, s44
	s_mov_b32 s39, s7
	s_add_co_i32 s44, s0, s44
	v_readfirstlane_b32 s48, v1
	s_mul_i32 s0, s45, s1
	s_mul_f32 s2, s2, 0x4f7ffffe
	s_mul_hi_u32 s0, s1, s0
	v_mov_b32_e32 v1, 0
	s_add_co_i32 s46, s1, s0
	s_cvt_u32_f32 s0, s2
	s_mul_f32 s1, s48, 0x4f7ffffe
	s_sub_co_i32 s2, 0, s66
	s_ashr_i32 s62, s52, 31
	s_mul_i32 s2, s2, s0
	s_cvt_u32_f32 s1, s1
	s_mul_hi_u32 s2, s0, s2
	s_mov_b32 s41, s7
	s_add_co_i32 s48, s0, s2
	s_mul_i32 s0, s49, s1
	s_ashr_i32 s65, s73, 31
	s_mul_hi_u32 s0, s1, s0
	s_ashr_i32 s67, s74, 31
	s_mov_b32 s45, s7
	s_ashr_i32 s69, s75, 31
	s_ashr_i32 s70, s3, 31
	s_mov_b32 s49, s7
	s_ashr_i32 s71, s77, 31
	s_add_co_i32 s50, s1, s0
	s_sub_co_i32 s73, 0, s73
	s_sub_co_i32 s74, 0, s74
	;; [unrolled: 1-line block ×5, first 2 shown]
	s_branch .LBB21_3
.LBB21_2:                               ;   in Loop: Header=BB21_3 Depth=1
	s_or_b32 exec_lo, exec_lo, s0
	v_mul_u64_e32 v[32:33], s[40:41], v[6:7]
	v_mul_u64_e32 v[30:31], s[40:41], v[2:3]
	;; [unrolled: 1-line block ×5, first 2 shown]
	v_xor_b32_e32 v3, s62, v11
	v_bfi_b32 v11, 0x7fffffff, v28, v27
	v_xor_b32_e32 v7, s62, v21
	v_xor_b32_e32 v21, s69, v13
	;; [unrolled: 1-line block ×3, first 2 shown]
	s_delay_alu instid0(VALU_DEP_4) | instskip(SKIP_1) | instid1(VALU_DEP_2)
	v_dual_mov_b32 v13, v11 :: v_dual_bitop2_b32 v9, s62, v22 bitop3:0x14
	v_dual_mul_f32 v25, v12, v11 :: v_dual_sub_f32 v22, 1.0, v10
	v_pk_mul_f32 v[12:13], v[10:11], v[12:13]
	v_mul_lo_u32 v28, v33, s58
	v_mul_lo_u32 v27, v31, s58
	v_mul_lo_u32 v29, v35, s58
	v_mul_lo_u32 v32, v39, s64
	v_mul_lo_u32 v30, v37, s58
	v_dual_add_nc_u32 v34, 1, v33 :: v_dual_add_nc_u32 v40, 1, v39
	v_dual_add_nc_u32 v38, 1, v37 :: v_dual_add_nc_u32 v11, 1, v31
	v_dual_add_nc_u32 v36, 1, v35 :: v_dual_sub_nc_u32 v6, v6, v28
	v_dual_sub_nc_u32 v2, v2, v27 :: v_dual_sub_nc_u32 v4, v4, v29
	s_delay_alu instid0(VALU_DEP_2) | instskip(SKIP_1) | instid1(VALU_DEP_3)
	v_cmp_le_u32_e64 s0, s58, v6
	v_sub_nc_u32_e32 v0, v0, v32
	v_cmp_le_u32_e32 vcc_lo, s58, v2
	v_subrev_nc_u32_e32 v27, s58, v2
	v_sub_nc_u32_e32 v8, v8, v30
	v_cndmask_b32_e64 v28, v33, v34, s0
	v_cmp_le_u32_e64 s3, s64, v0
	v_cndmask_b32_e32 v11, v31, v11, vcc_lo
	v_subrev_nc_u32_e32 v29, s58, v6
	v_cmp_le_u32_e64 s1, s58, v4
	s_delay_alu instid0(VALU_DEP_4) | instskip(SKIP_1) | instid1(VALU_DEP_4)
	v_dual_cndmask_b32 v2, v2, v27, vcc_lo :: v_dual_cndmask_b32 v34, v39, v40, s3
	v_subrev_nc_u32_e32 v31, s58, v4
	v_dual_add_nc_u32 v27, 1, v11 :: v_dual_cndmask_b32 v6, v6, v29, s0
	s_delay_alu instid0(VALU_DEP_3)
	v_cmp_le_u32_e32 vcc_lo, s58, v2
	v_cmp_le_u32_e64 s2, s58, v8
	v_cndmask_b32_e64 v30, v35, v36, s1
	v_subrev_nc_u32_e32 v33, s58, v8
	v_dual_add_nc_u32 v29, 1, v28 :: v_dual_cndmask_b32 v4, v4, v31, s1
	v_cndmask_b32_e32 v2, v11, v27, vcc_lo
	v_cmp_le_u32_e32 vcc_lo, s58, v6
	v_cndmask_b32_e64 v32, v37, v38, s2
	v_subrev_nc_u32_e32 v35, s64, v0
	v_dual_add_nc_u32 v31, 1, v30 :: v_dual_cndmask_b32 v8, v8, v33, s2
	v_cndmask_b32_e32 v6, v28, v29, vcc_lo
	v_cmp_le_u32_e32 vcc_lo, s58, v4
	s_delay_alu instid0(VALU_DEP_4) | instskip(SKIP_4) | instid1(VALU_DEP_4)
	v_dual_add_nc_u32 v33, 1, v32 :: v_dual_cndmask_b32 v0, v0, v35, s3
	v_dual_add_nc_u32 v11, 1, v34 :: v_dual_bitop2_b32 v2, v2, v3 bitop3:0x14
	v_cndmask_b32_e32 v4, v30, v31, vcc_lo
	v_cmp_le_u32_e32 vcc_lo, s58, v8
	v_sub_f32_e32 v27, 1.0, v19
	v_dual_sub_nc_u32 v2, v2, v3 :: v_dual_cndmask_b32 v8, v32, v33, vcc_lo
	s_delay_alu instid0(VALU_DEP_4) | instskip(SKIP_2) | instid1(VALU_DEP_4)
	v_xor_b32_e32 v4, v4, v7
	v_xor_b32_e32 v6, v6, v5
	v_cmp_le_u32_e32 vcc_lo, s64, v0
	v_xor_b32_e32 v8, v8, v9
	s_delay_alu instid0(VALU_DEP_3) | instskip(SKIP_2) | instid1(VALU_DEP_4)
	v_dual_sub_nc_u32 v4, v4, v7 :: v_dual_sub_nc_u32 v3, v6, v5
	v_cndmask_b32_e32 v0, v34, v11, vcc_lo
	v_mul_lo_u32 v6, v2, s52
	v_sub_nc_u32_e32 v5, v8, v9
	s_delay_alu instid0(VALU_DEP_4)
	v_mul_lo_u32 v8, v4, s52
	v_mul_lo_u32 v7, v3, s52
	v_xor_b32_e32 v0, v0, v21
	v_sub_f32_e32 v11, 1.0, v13
	v_mul_lo_u32 v9, v5, s52
	v_dual_sub_f32 v13, 1.0, v20 :: v_dual_mul_f32 v22, v22, v25
	s_delay_alu instid0(VALU_DEP_4) | instskip(SKIP_3) | instid1(VALU_DEP_3)
	v_sub_nc_u32_e32 v0, v0, v21
	s_wait_loadcnt 0x0
	v_dual_fmac_f32 v26, v12, v11 :: v_dual_sub_nc_u32 v6, v15, v6
	v_dual_sub_nc_u32 v8, v18, v8 :: v_dual_sub_nc_u32 v7, v16, v7
	v_mad_u32 v11, s75, v0, v14
	s_delay_alu instid0(VALU_DEP_3) | instskip(NEXT) | instid1(VALU_DEP_3)
	v_dual_add_nc_u32 v6, v14, v6 :: v_dual_sub_nc_u32 v9, v17, v9
	v_dual_mul_f32 v12, v23, v26 :: v_dual_add_nc_u32 v7, v14, v7
	s_delay_alu instid0(VALU_DEP_4) | instskip(NEXT) | instid1(VALU_DEP_3)
	v_add_nc_u32_e32 v8, v14, v8
	v_mul_lo_u32 v6, v6, s21
	s_delay_alu instid0(VALU_DEP_4) | instskip(NEXT) | instid1(VALU_DEP_4)
	v_dual_add_nc_u32 v9, v14, v9 :: v_dual_mul_f32 v15, v24, v26
	v_mul_f32_e32 v12, v13, v12
	v_mul_lo_u32 v7, v7, s21
	s_wait_kmcnt 0x0
	v_mul_lo_u32 v11, v11, s37
	v_mul_lo_u32 v9, v9, s21
	v_mul_lo_u32 v8, v8, s21
	v_dual_mul_f32 v10, v10, v22 :: v_dual_mul_f32 v13, v27, v15
	v_add_nc_u32_e32 v14, s57, v14
	v_mad_u32 v2, v2, s20, v6
	v_fma_f32 v16, -v23, v23, 1.0
	v_dual_mul_f32 v17, v20, v26 :: v_dual_mul_f32 v6, v20, v12
	v_mad_u32 v3, v3, s20, v7
	v_mad_u32 v0, v0, s36, v11
	;; [unrolled: 1-line block ×4, first 2 shown]
	v_mul_f32_e32 v7, v19, v13
	v_cmp_le_i32_e32 vcc_lo, s5, v14
	v_dual_mul_f32 v8, v16, v17 :: v_dual_mul_f32 v9, v19, v26
	s_clause 0x2
	global_store_b32 v2, v6, s[18:19] scale_offset
	global_store_b32 v3, v7, s[18:19] scale_offset
	;; [unrolled: 1-line block ×3, first 2 shown]
	s_or_b32 s79, vcc_lo, s79
	global_store_b32 v5, v10, s[18:19] scale_offset
	global_store_b32 v0, v9, s[34:35] scale_offset
	s_wait_xcnt 0x0
	s_and_not1_b32 exec_lo, exec_lo, s79
	s_cbranch_execz .LBB21_11
.LBB21_3:                               ; =>This Inner Loop Header: Depth=1
	v_dual_sub_nc_u32 v0, 0, v14 :: v_dual_ashrrev_i32 v13, 31, v14
	s_delay_alu instid0(VALU_DEP_1) | instskip(NEXT) | instid1(VALU_DEP_2)
	v_dual_mov_b32 v7, v1 :: v_dual_max_i32 v0, v14, v0
	v_xor_b32_e32 v20, s65, v13
	s_delay_alu instid0(VALU_DEP_2) | instskip(SKIP_2) | instid1(VALU_DEP_3)
	v_mul_u64_e32 v[2:3], s[6:7], v[0:1]
	v_mul_u64_e32 v[18:19], s[42:43], v[0:1]
	;; [unrolled: 1-line block ×3, first 2 shown]
	v_mul_lo_u32 v2, v3, s55
	v_add_nc_u32_e32 v4, 1, v3
	s_delay_alu instid0(VALU_DEP_4) | instskip(NEXT) | instid1(VALU_DEP_4)
	v_mul_lo_u32 v10, v19, s61
	v_mul_lo_u32 v12, v23, s63
	s_delay_alu instid0(VALU_DEP_4) | instskip(NEXT) | instid1(VALU_DEP_2)
	v_dual_add_nc_u32 v24, 1, v19 :: v_dual_sub_nc_u32 v2, v0, v2
	v_dual_sub_nc_u32 v10, v0, v10 :: v_dual_sub_nc_u32 v12, v0, v12
	s_delay_alu instid0(VALU_DEP_2) | instskip(SKIP_2) | instid1(VALU_DEP_1)
	v_cmp_le_u32_e32 vcc_lo, s55, v2
	v_cndmask_b32_e32 v3, v3, v4, vcc_lo
	v_subrev_nc_u32_e32 v5, s55, v2
	v_dual_add_nc_u32 v4, 1, v3 :: v_dual_cndmask_b32 v2, v2, v5, vcc_lo
	s_delay_alu instid0(VALU_DEP_1) | instskip(NEXT) | instid1(VALU_DEP_2)
	v_cmp_le_u32_e32 vcc_lo, s55, v2
	v_dual_cndmask_b32 v2, v3, v4, vcc_lo :: v_dual_bitop2_b32 v5, s59, v13 bitop3:0x14
	s_delay_alu instid0(VALU_DEP_1) | instskip(SKIP_1) | instid1(VALU_DEP_3)
	v_mul_i32_i24_e32 v4, 3, v5
	v_cmp_le_u32_e32 vcc_lo, s61, v10
	v_dual_cndmask_b32 v19, v19, v24, vcc_lo :: v_dual_bitop2_b32 v2, v2, v5 bitop3:0x14
	s_delay_alu instid0(VALU_DEP_1) | instskip(SKIP_1) | instid1(VALU_DEP_1)
	v_sub_nc_u32_e32 v3, v2, v5
	v_lshl_add_u32 v2, v2, 1, v2
	v_sub_nc_u32_e32 v2, v2, v4
	s_delay_alu instid0(VALU_DEP_3) | instskip(NEXT) | instid1(VALU_DEP_2)
	v_mul_lo_u32 v15, s72, v3
	v_mad_u32 v16, s4, v2, s4
	v_dual_add_nc_u32 v3, 2, v2 :: v_dual_add_nc_u32 v2, 3, v2
	s_delay_alu instid0(VALU_DEP_1) | instskip(NEXT) | instid1(VALU_DEP_4)
	v_mul_lo_u32 v18, s4, v3
	v_add_nc_u32_e32 v4, v14, v15
	s_delay_alu instid0(VALU_DEP_3) | instskip(SKIP_1) | instid1(VALU_DEP_3)
	v_mul_lo_u32 v17, s4, v2
	v_add_nc_u32_e32 v2, v14, v16
	v_dual_ashrrev_i32 v11, 31, v4 :: v_dual_mov_b32 v3, v1
	s_delay_alu instid0(VALU_DEP_2) | instskip(NEXT) | instid1(VALU_DEP_2)
	v_ashrrev_i32_e32 v25, 31, v2
	v_add3_u32 v4, v11, v15, v14
	v_dual_add_nc_u32 v5, v14, v18 :: v_dual_add_nc_u32 v6, v14, v17
	s_delay_alu instid0(VALU_DEP_1) | instskip(NEXT) | instid1(VALU_DEP_4)
	v_dual_ashrrev_i32 v21, 31, v5 :: v_dual_bitop2_b32 v2, v4, v11 bitop3:0x14
	v_add3_u32 v4, v25, v16, v14
	s_delay_alu instid0(VALU_DEP_3) | instskip(NEXT) | instid1(VALU_DEP_3)
	v_dual_mov_b32 v5, v1 :: v_dual_ashrrev_i32 v22, 31, v6
	v_mul_u64_e32 v[26:27], s[38:39], v[2:3]
	s_delay_alu instid0(VALU_DEP_3) | instskip(SKIP_1) | instid1(VALU_DEP_4)
	v_dual_add_nc_u32 v26, 1, v23 :: v_dual_bitop2_b32 v6, v4, v25 bitop3:0x14
	v_add3_u32 v4, v21, v18, v14
	v_add3_u32 v8, v22, v17, v14
	v_mov_b32_e32 v9, v1
	v_cmp_le_u32_e64 s0, s63, v12
	v_mul_u64_e32 v[28:29], s[38:39], v[6:7]
	v_xor_b32_e32 v4, v4, v21
	v_xor_b32_e32 v8, v8, v22
	v_subrev_nc_u32_e32 v28, s61, v10
	v_cndmask_b32_e64 v23, v23, v26, s0
	v_subrev_nc_u32_e32 v24, s63, v12
	v_mul_u64_e32 v[30:31], s[38:39], v[4:5]
	v_mul_u64_e32 v[32:33], s[38:39], v[8:9]
	v_dual_cndmask_b32 v10, v10, v28, vcc_lo :: v_dual_bitop2_b32 v30, s67, v13 bitop3:0x14
	s_delay_alu instid0(VALU_DEP_4) | instskip(SKIP_1) | instid1(VALU_DEP_3)
	v_dual_add_nc_u32 v26, 1, v19 :: v_dual_cndmask_b32 v12, v12, v24, s0
	v_xor_b32_e32 v35, s60, v22
	v_cmp_le_u32_e32 vcc_lo, s61, v10
	s_delay_alu instid0(VALU_DEP_3) | instskip(SKIP_4) | instid1(VALU_DEP_3)
	v_dual_add_nc_u32 v24, 1, v23 :: v_dual_cndmask_b32 v10, v19, v26, vcc_lo
	v_dual_add_nc_u32 v36, 1, v27 :: v_dual_bitop2_b32 v26, s60, v25 bitop3:0x14
	v_mul_lo_u32 v28, v27, s56
	v_xor_b32_e32 v19, s60, v11
	v_mul_lo_u32 v32, v29, s56
	v_dual_add_nc_u32 v37, 1, v29 :: v_dual_sub_nc_u32 v28, v2, v28
	v_mul_lo_u32 v38, v31, s56
	v_mul_lo_u32 v39, v33, s56
	s_delay_alu instid0(VALU_DEP_3) | instskip(SKIP_2) | instid1(VALU_DEP_3)
	v_subrev_nc_u32_e32 v40, s56, v28
	v_cmp_le_u32_e32 vcc_lo, s56, v28
	v_dual_sub_nc_u32 v32, v6, v32 :: v_dual_bitop2_b32 v34, s60, v21 bitop3:0x14
	v_dual_cndmask_b32 v28, v28, v40 :: v_dual_add_nc_u32 v41, 1, v33
	v_dual_cndmask_b32 v27, v27, v36 :: v_dual_add_nc_u32 v36, 1, v31
	s_delay_alu instid0(VALU_DEP_3) | instskip(NEXT) | instid1(VALU_DEP_3)
	v_cmp_le_u32_e32 vcc_lo, s56, v32
	v_cmp_le_u32_e64 s0, s56, v28
	s_delay_alu instid0(VALU_DEP_3) | instskip(SKIP_1) | instid1(VALU_DEP_2)
	v_dual_cndmask_b32 v29, v29, v37 :: v_dual_add_nc_u32 v40, 1, v27
	v_subrev_nc_u32_e32 v37, s56, v32
	v_dual_sub_nc_u32 v38, v4, v38 :: v_dual_cndmask_b32 v27, v27, v40, s0
	s_delay_alu instid0(VALU_DEP_2) | instskip(NEXT) | instid1(VALU_DEP_2)
	v_cndmask_b32_e32 v28, v32, v37, vcc_lo
	v_cmp_le_u32_e32 vcc_lo, s56, v38
	v_sub_nc_u32_e32 v39, v8, v39
	v_subrev_nc_u32_e32 v32, s56, v38
	v_cndmask_b32_e32 v31, v31, v36, vcc_lo
	s_delay_alu instid0(VALU_DEP_3) | instskip(SKIP_1) | instid1(VALU_DEP_4)
	v_subrev_nc_u32_e32 v36, s56, v39
	v_cmp_le_u32_e64 s0, s56, v39
	v_dual_cndmask_b32 v32, v38, v32 :: v_dual_add_nc_u32 v37, 1, v29
	v_cmp_le_u32_e32 vcc_lo, s56, v28
	s_delay_alu instid0(VALU_DEP_3) | instskip(NEXT) | instid1(VALU_DEP_3)
	v_dual_add_nc_u32 v38, 1, v31 :: v_dual_cndmask_b32 v33, v33, v41, s0
	v_dual_cndmask_b32 v36, v39, v36, s0 :: v_dual_cndmask_b32 v28, v29, v37, vcc_lo
	s_delay_alu instid0(VALU_DEP_4) | instskip(NEXT) | instid1(VALU_DEP_3)
	v_cmp_le_u32_e32 vcc_lo, s56, v32
	v_dual_add_nc_u32 v39, 1, v33 :: v_dual_cndmask_b32 v29, v31, v38, vcc_lo
	s_delay_alu instid0(VALU_DEP_3) | instskip(NEXT) | instid1(VALU_DEP_2)
	v_cmp_le_u32_e32 vcc_lo, s56, v36
	v_cndmask_b32_e32 v31, v33, v39, vcc_lo
	v_cmp_le_u32_e32 vcc_lo, s63, v12
	v_cndmask_b32_e32 v12, v23, v24, vcc_lo
	v_xor_b32_e32 v23, v27, v19
	v_xor_b32_e32 v24, v28, v26
	v_xor_b32_e32 v27, v29, v34
	v_xor_b32_e32 v28, v31, v35
	s_delay_alu instid0(VALU_DEP_4) | instskip(NEXT) | instid1(VALU_DEP_4)
	v_dual_sub_nc_u32 v19, v23, v19 :: v_dual_bitop2_b32 v10, v10, v20 bitop3:0x14
	v_sub_nc_u32_e32 v23, v24, v26
	s_delay_alu instid0(VALU_DEP_3) | instskip(NEXT) | instid1(VALU_DEP_3)
	v_dual_sub_nc_u32 v24, v27, v34 :: v_dual_sub_nc_u32 v26, v28, v35
	v_dual_sub_nc_u32 v10, v10, v20 :: v_dual_bitop2_b32 v12, v12, v30 bitop3:0x14
	s_delay_alu instid0(VALU_DEP_4) | instskip(NEXT) | instid1(VALU_DEP_4)
	v_mul_lo_u32 v27, v19, s33
	v_mul_lo_u32 v28, v23, s33
	s_delay_alu instid0(VALU_DEP_4)
	v_mul_lo_u32 v29, v24, s33
	v_mul_lo_u32 v31, v26, s33
	v_sub_nc_u32_e32 v12, v12, v30
	v_mad_u32 v20, s73, v10, v14
	s_and_not1_b32 vcc_lo, exec_lo, s53
	v_dual_sub_nc_u32 v27, v15, v27 :: v_dual_sub_nc_u32 v28, v16, v28
	v_sub_nc_u32_e32 v29, v18, v29
	v_mad_u32 v30, s74, v12, v14
	v_sub_nc_u32_e32 v31, v17, v31
	s_delay_alu instid0(VALU_DEP_4) | instskip(NEXT) | instid1(VALU_DEP_4)
	v_dual_add_nc_u32 v27, v14, v27 :: v_dual_add_nc_u32 v28, v14, v28
	v_add_nc_u32_e32 v29, v14, v29
	v_mul_lo_u32 v20, v20, s25
	s_delay_alu instid0(VALU_DEP_4) | instskip(NEXT) | instid1(VALU_DEP_4)
	v_add_nc_u32_e32 v31, v14, v31
	v_mul_lo_u32 v27, v27, s17
	v_mul_lo_u32 v28, v28, s17
	;; [unrolled: 1-line block ×3, first 2 shown]
	s_delay_alu instid0(VALU_DEP_4)
	v_mul_lo_u32 v31, v31, s17
	v_mul_lo_u32 v30, v30, s29
	v_mad_u32 v10, v10, s24, v20
	v_mad_u32 v19, v19, s16, v27
	;; [unrolled: 1-line block ×6, first 2 shown]
	global_load_b32 v24, v10, s[22:23] scale_offset
	s_clause 0x3
	global_load_b32 v20, v19, s[14:15] scale_offset
	global_load_b32 v19, v23, s[14:15] scale_offset
	;; [unrolled: 1-line block ×5, first 2 shown]
	s_wait_xcnt 0x0
	v_mov_b32_e32 v12, v1
	s_cbranch_vccnz .LBB21_5
; %bb.4:                                ;   in Loop: Header=BB21_3 Depth=1
	v_mul_u64_e32 v[28:29], s[48:49], v[0:1]
	s_delay_alu instid0(VALU_DEP_1) | instskip(NEXT) | instid1(VALU_DEP_1)
	v_mul_lo_u32 v12, v29, s66
	v_dual_add_nc_u32 v26, 1, v29 :: v_dual_sub_nc_u32 v12, v0, v12
	s_delay_alu instid0(VALU_DEP_1) | instskip(SKIP_1) | instid1(VALU_DEP_2)
	v_subrev_nc_u32_e32 v28, s66, v12
	v_cmp_le_u32_e32 vcc_lo, s66, v12
	v_dual_cndmask_b32 v26, v29, v26, vcc_lo :: v_dual_cndmask_b32 v12, v12, v28, vcc_lo
	s_delay_alu instid0(VALU_DEP_1) | instskip(NEXT) | instid1(VALU_DEP_2)
	v_dual_add_nc_u32 v28, 1, v26 :: v_dual_bitop2_b32 v29, s70, v13 bitop3:0x14
	v_cmp_le_u32_e32 vcc_lo, s66, v12
	s_delay_alu instid0(VALU_DEP_2) | instskip(NEXT) | instid1(VALU_DEP_1)
	v_cndmask_b32_e32 v12, v26, v28, vcc_lo
	v_xor_b32_e32 v12, v12, v29
	s_delay_alu instid0(VALU_DEP_1) | instskip(NEXT) | instid1(VALU_DEP_1)
	v_sub_nc_u32_e32 v12, v12, v29
	v_mad_u32 v26, s76, v12, v14
	s_delay_alu instid0(VALU_DEP_1) | instskip(NEXT) | instid1(VALU_DEP_1)
	v_mul_lo_u32 v26, v26, s13
	v_mad_u32 v12, v12, s12, v26
	global_load_b32 v12, v12, s[8:9] scale_offset
.LBB21_5:                               ;   in Loop: Header=BB21_3 Depth=1
	s_and_not1_b32 vcc_lo, exec_lo, s54
	s_cbranch_vccnz .LBB21_10
; %bb.6:                                ;   in Loop: Header=BB21_3 Depth=1
	v_mul_u64_e32 v[28:29], s[50:51], v[0:1]
	s_delay_alu instid0(VALU_DEP_1) | instskip(NEXT) | instid1(VALU_DEP_1)
	v_mul_lo_u32 v26, v29, s68
	v_dual_add_nc_u32 v28, 1, v29 :: v_dual_sub_nc_u32 v26, v0, v26
	s_delay_alu instid0(VALU_DEP_1) | instskip(SKIP_1) | instid1(VALU_DEP_2)
	v_subrev_nc_u32_e32 v30, s68, v26
	v_cmp_le_u32_e32 vcc_lo, s68, v26
	v_dual_cndmask_b32 v28, v29, v28, vcc_lo :: v_dual_cndmask_b32 v26, v26, v30, vcc_lo
	s_delay_alu instid0(VALU_DEP_1) | instskip(NEXT) | instid1(VALU_DEP_2)
	v_dual_add_nc_u32 v29, 1, v28 :: v_dual_bitop2_b32 v30, s71, v13 bitop3:0x14
	v_cmp_le_u32_e32 vcc_lo, s68, v26
	s_delay_alu instid0(VALU_DEP_2) | instskip(NEXT) | instid1(VALU_DEP_1)
	v_cndmask_b32_e32 v26, v28, v29, vcc_lo
	v_xor_b32_e32 v26, v26, v30
	s_delay_alu instid0(VALU_DEP_1) | instskip(NEXT) | instid1(VALU_DEP_1)
	v_sub_nc_u32_e32 v26, v26, v30
	v_mad_u32 v28, s77, v26, v14
	s_delay_alu instid0(VALU_DEP_1) | instskip(NEXT) | instid1(VALU_DEP_1)
	v_mul_lo_u32 v28, v28, s31
	v_mad_u32 v26, v26, s30, v28
	global_load_b32 v26, v26, s[10:11] scale_offset
	s_wait_loadcnt 0x1
	v_cmp_ngt_f32_e64 s0, 0x3f200000, |v27|
                                        ; implicit-def: $vgpr28
	s_wait_xcnt 0x0
	s_and_saveexec_b32 s1, s0
	s_delay_alu instid0(SALU_CYCLE_1)
	s_xor_b32 s0, exec_lo, s1
	s_cbranch_execz .LBB21_8
.LBB21_7:                               ;   in Loop: Header=BB21_3 Depth=1
	v_add_f32_e64 v28, |v27|, |v27|
	s_delay_alu instid0(VALU_DEP_1) | instskip(SKIP_1) | instid1(VALU_DEP_2)
	v_mul_f32_e32 v29, 0x3fb8aa3b, v28
	v_cmp_ngt_f32_e32 vcc_lo, 0xc2ce8ed0, v28
	v_rndne_f32_e32 v30, v29
	v_fma_f32 v31, 0x3fb8aa3b, v28, -v29
	s_delay_alu instid0(VALU_DEP_2) | instskip(NEXT) | instid1(VALU_DEP_2)
	v_sub_f32_e32 v29, v29, v30
	v_fmac_f32_e32 v31, 0x32a5705f, v28
	v_cvt_i32_f32_e32 v30, v30
	s_delay_alu instid0(VALU_DEP_2) | instskip(NEXT) | instid1(VALU_DEP_1)
	v_add_f32_e32 v29, v29, v31
	v_exp_f32_e32 v29, v29
	v_nop
	s_delay_alu instid0(TRANS32_DEP_1) | instskip(NEXT) | instid1(VALU_DEP_1)
	v_ldexp_f32 v29, v29, v30
	v_cndmask_b32_e32 v29, 0, v29, vcc_lo
	v_cmp_nlt_f32_e32 vcc_lo, 0x42b17218, v28
	s_delay_alu instid0(VALU_DEP_2) | instskip(NEXT) | instid1(VALU_DEP_1)
	v_cndmask_b32_e32 v28, 0x7f800000, v29, vcc_lo
	v_add_f32_e32 v28, 1.0, v28
	s_delay_alu instid0(VALU_DEP_1) | instskip(SKIP_1) | instid1(TRANS32_DEP_1)
	v_rcp_f32_e32 v28, v28
	v_nop
	v_fma_f32 v28, v28, -2.0, 1.0
.LBB21_8:                               ;   in Loop: Header=BB21_3 Depth=1
	s_and_not1_saveexec_b32 s0, s0
	s_cbranch_execz .LBB21_2
; %bb.9:                                ;   in Loop: Header=BB21_3 Depth=1
	v_mul_f32_e32 v28, v27, v27
	s_delay_alu instid0(VALU_DEP_1) | instskip(NEXT) | instid1(VALU_DEP_1)
	v_fmaak_f32 v29, s78, v28, 0x3ca908c9
	v_fmaak_f32 v29, v28, v29, 0xbd5c1c4e
	s_delay_alu instid0(VALU_DEP_1) | instskip(NEXT) | instid1(VALU_DEP_1)
	v_fmaak_f32 v29, v28, v29, 0x3e088382
	v_fmaak_f32 v29, v28, v29, 0xbeaaaa99
	s_delay_alu instid0(VALU_DEP_1) | instskip(NEXT) | instid1(VALU_DEP_1)
	v_mul_f32_e64 v29, |v27|, v29
	v_fma_f32 v28, v28, v29, |v27|
	s_branch .LBB21_2
.LBB21_10:                              ;   in Loop: Header=BB21_3 Depth=1
	v_mov_b32_e32 v26, 0
	s_wait_loadcnt 0x0
	v_cmp_ngt_f32_e64 s0, 0x3f200000, |v27|
                                        ; implicit-def: $vgpr28
	s_wait_xcnt 0x0
	s_and_saveexec_b32 s1, s0
	s_delay_alu instid0(SALU_CYCLE_1)
	s_xor_b32 s0, exec_lo, s1
	s_cbranch_execz .LBB21_8
	s_branch .LBB21_7
.LBB21_11:
	s_endpgm
	.section	.rodata,"a",@progbits
	.p2align	6, 0x0
	.amdhsa_kernel _ZN2at6native12_GLOBAL__N_16kernel18lstm_cell_backwardIffiLi2EEEvNS_4cuda6detail10TensorInfoIT_T1_EES9_S9_S9_S9_S9_S9_S8_S8_
		.amdhsa_group_segment_fixed_size 0
		.amdhsa_private_segment_fixed_size 0
		.amdhsa_kernarg_size 1776
		.amdhsa_user_sgpr_count 2
		.amdhsa_user_sgpr_dispatch_ptr 0
		.amdhsa_user_sgpr_queue_ptr 0
		.amdhsa_user_sgpr_kernarg_segment_ptr 1
		.amdhsa_user_sgpr_dispatch_id 0
		.amdhsa_user_sgpr_kernarg_preload_length 0
		.amdhsa_user_sgpr_kernarg_preload_offset 0
		.amdhsa_user_sgpr_private_segment_size 0
		.amdhsa_wavefront_size32 1
		.amdhsa_uses_dynamic_stack 0
		.amdhsa_enable_private_segment 0
		.amdhsa_system_sgpr_workgroup_id_x 1
		.amdhsa_system_sgpr_workgroup_id_y 0
		.amdhsa_system_sgpr_workgroup_id_z 0
		.amdhsa_system_sgpr_workgroup_info 0
		.amdhsa_system_vgpr_workitem_id 0
		.amdhsa_next_free_vgpr 42
		.amdhsa_next_free_sgpr 80
		.amdhsa_named_barrier_count 0
		.amdhsa_reserve_vcc 1
		.amdhsa_float_round_mode_32 0
		.amdhsa_float_round_mode_16_64 0
		.amdhsa_float_denorm_mode_32 3
		.amdhsa_float_denorm_mode_16_64 3
		.amdhsa_fp16_overflow 0
		.amdhsa_memory_ordered 1
		.amdhsa_forward_progress 1
		.amdhsa_inst_pref_size 26
		.amdhsa_round_robin_scheduling 0
		.amdhsa_exception_fp_ieee_invalid_op 0
		.amdhsa_exception_fp_denorm_src 0
		.amdhsa_exception_fp_ieee_div_zero 0
		.amdhsa_exception_fp_ieee_overflow 0
		.amdhsa_exception_fp_ieee_underflow 0
		.amdhsa_exception_fp_ieee_inexact 0
		.amdhsa_exception_int_div_zero 0
	.end_amdhsa_kernel
	.section	.text._ZN2at6native12_GLOBAL__N_16kernel18lstm_cell_backwardIffiLi2EEEvNS_4cuda6detail10TensorInfoIT_T1_EES9_S9_S9_S9_S9_S9_S8_S8_,"axG",@progbits,_ZN2at6native12_GLOBAL__N_16kernel18lstm_cell_backwardIffiLi2EEEvNS_4cuda6detail10TensorInfoIT_T1_EES9_S9_S9_S9_S9_S9_S8_S8_,comdat
.Lfunc_end21:
	.size	_ZN2at6native12_GLOBAL__N_16kernel18lstm_cell_backwardIffiLi2EEEvNS_4cuda6detail10TensorInfoIT_T1_EES9_S9_S9_S9_S9_S9_S8_S8_, .Lfunc_end21-_ZN2at6native12_GLOBAL__N_16kernel18lstm_cell_backwardIffiLi2EEEvNS_4cuda6detail10TensorInfoIT_T1_EES9_S9_S9_S9_S9_S9_S8_S8_
                                        ; -- End function
	.set _ZN2at6native12_GLOBAL__N_16kernel18lstm_cell_backwardIffiLi2EEEvNS_4cuda6detail10TensorInfoIT_T1_EES9_S9_S9_S9_S9_S9_S8_S8_.num_vgpr, 42
	.set _ZN2at6native12_GLOBAL__N_16kernel18lstm_cell_backwardIffiLi2EEEvNS_4cuda6detail10TensorInfoIT_T1_EES9_S9_S9_S9_S9_S9_S8_S8_.num_agpr, 0
	.set _ZN2at6native12_GLOBAL__N_16kernel18lstm_cell_backwardIffiLi2EEEvNS_4cuda6detail10TensorInfoIT_T1_EES9_S9_S9_S9_S9_S9_S8_S8_.numbered_sgpr, 80
	.set _ZN2at6native12_GLOBAL__N_16kernel18lstm_cell_backwardIffiLi2EEEvNS_4cuda6detail10TensorInfoIT_T1_EES9_S9_S9_S9_S9_S9_S8_S8_.num_named_barrier, 0
	.set _ZN2at6native12_GLOBAL__N_16kernel18lstm_cell_backwardIffiLi2EEEvNS_4cuda6detail10TensorInfoIT_T1_EES9_S9_S9_S9_S9_S9_S8_S8_.private_seg_size, 0
	.set _ZN2at6native12_GLOBAL__N_16kernel18lstm_cell_backwardIffiLi2EEEvNS_4cuda6detail10TensorInfoIT_T1_EES9_S9_S9_S9_S9_S9_S8_S8_.uses_vcc, 1
	.set _ZN2at6native12_GLOBAL__N_16kernel18lstm_cell_backwardIffiLi2EEEvNS_4cuda6detail10TensorInfoIT_T1_EES9_S9_S9_S9_S9_S9_S8_S8_.uses_flat_scratch, 0
	.set _ZN2at6native12_GLOBAL__N_16kernel18lstm_cell_backwardIffiLi2EEEvNS_4cuda6detail10TensorInfoIT_T1_EES9_S9_S9_S9_S9_S9_S8_S8_.has_dyn_sized_stack, 0
	.set _ZN2at6native12_GLOBAL__N_16kernel18lstm_cell_backwardIffiLi2EEEvNS_4cuda6detail10TensorInfoIT_T1_EES9_S9_S9_S9_S9_S9_S8_S8_.has_recursion, 0
	.set _ZN2at6native12_GLOBAL__N_16kernel18lstm_cell_backwardIffiLi2EEEvNS_4cuda6detail10TensorInfoIT_T1_EES9_S9_S9_S9_S9_S9_S8_S8_.has_indirect_call, 0
	.section	.AMDGPU.csdata,"",@progbits
; Kernel info:
; codeLenInByte = 3272
; TotalNumSgprs: 82
; NumVgprs: 42
; ScratchSize: 0
; MemoryBound: 0
; FloatMode: 240
; IeeeMode: 1
; LDSByteSize: 0 bytes/workgroup (compile time only)
; SGPRBlocks: 0
; VGPRBlocks: 2
; NumSGPRsForWavesPerEU: 82
; NumVGPRsForWavesPerEU: 42
; NamedBarCnt: 0
; Occupancy: 16
; WaveLimiterHint : 1
; COMPUTE_PGM_RSRC2:SCRATCH_EN: 0
; COMPUTE_PGM_RSRC2:USER_SGPR: 2
; COMPUTE_PGM_RSRC2:TRAP_HANDLER: 0
; COMPUTE_PGM_RSRC2:TGID_X_EN: 1
; COMPUTE_PGM_RSRC2:TGID_Y_EN: 0
; COMPUTE_PGM_RSRC2:TGID_Z_EN: 0
; COMPUTE_PGM_RSRC2:TIDIG_COMP_CNT: 0
	.section	.text._ZN2at6native12_GLOBAL__N_16kernel18lstm_cell_backwardIfflLi1EEEvNS_4cuda6detail10TensorInfoIT_T1_EES9_S9_S9_S9_S9_S9_S8_S8_,"axG",@progbits,_ZN2at6native12_GLOBAL__N_16kernel18lstm_cell_backwardIfflLi1EEEvNS_4cuda6detail10TensorInfoIT_T1_EES9_S9_S9_S9_S9_S9_S8_S8_,comdat
	.globl	_ZN2at6native12_GLOBAL__N_16kernel18lstm_cell_backwardIfflLi1EEEvNS_4cuda6detail10TensorInfoIT_T1_EES9_S9_S9_S9_S9_S9_S8_S8_ ; -- Begin function _ZN2at6native12_GLOBAL__N_16kernel18lstm_cell_backwardIfflLi1EEEvNS_4cuda6detail10TensorInfoIT_T1_EES9_S9_S9_S9_S9_S9_S8_S8_
	.p2align	8
	.type	_ZN2at6native12_GLOBAL__N_16kernel18lstm_cell_backwardIfflLi1EEEvNS_4cuda6detail10TensorInfoIT_T1_EES9_S9_S9_S9_S9_S9_S8_S8_,@function
_ZN2at6native12_GLOBAL__N_16kernel18lstm_cell_backwardIfflLi1EEEvNS_4cuda6detail10TensorInfoIT_T1_EES9_S9_S9_S9_S9_S9_S8_S8_: ; @_ZN2at6native12_GLOBAL__N_16kernel18lstm_cell_backwardIfflLi1EEEvNS_4cuda6detail10TensorInfoIT_T1_EES9_S9_S9_S9_S9_S9_S8_S8_
; %bb.0:
	s_clause 0x1
	s_load_b32 s2, s[0:1], 0xb7c
	s_load_b128 s[4:7], s[0:1], 0xb60
	s_bfe_u32 s3, ttmp6, 0x4000c
	s_and_b32 s8, ttmp6, 15
	s_add_co_i32 s3, s3, 1
	s_getreg_b32 s9, hwreg(HW_REG_IB_STS2, 6, 4)
	s_mul_i32 s3, ttmp9, s3
	v_mov_b32_e32 v2, 0
	s_add_co_i32 s8, s8, s3
	s_delay_alu instid0(VALU_DEP_1)
	v_mov_b32_e32 v1, v2
	s_wait_kmcnt 0x0
	s_and_b32 s2, s2, 0xffff
	s_cmp_eq_u32 s9, 0
	s_cselect_b32 s3, ttmp9, s8
	s_mov_b32 s8, exec_lo
	v_mad_u32 v0, s3, s2, v0
	s_mov_b32 s3, 0
	s_delay_alu instid0(VALU_DEP_1)
	v_cmpx_gt_i64_e64 s[6:7], v[0:1]
	s_cbranch_execz .LBB22_15
; %bb.1:
	s_clause 0x6
	s_load_b64 s[22:23], s[0:1], 0x410
	s_load_b64 s[24:25], s[0:1], 0x5b0
	;; [unrolled: 1-line block ×7, first 2 shown]
	s_add_nc_u64 s[8:9], s[0:1], 0xb70
	s_load_b64 s[38:39], s[0:1], 0x820
	s_load_b32 s16, s[8:9], 0x0
	s_clause 0x1
	s_load_b64 s[40:41], s[0:1], 0x340
	s_load_b64 s[42:43], s[0:1], 0x9c0
	s_wait_xcnt 0x0
	s_clause 0x3
	s_load_b64 s[8:9], s[0:1], 0x0
	s_load_b64 s[10:11], s[0:1], 0xd0
	;; [unrolled: 1-line block ×4, first 2 shown]
	s_mov_b32 s17, s3
	s_mul_u64 s[18:19], s[4:5], 3
	s_mov_b64 s[20:21], 0xffffffff
	s_wait_kmcnt 0x0
	v_mul_u64_e32 v[4:5], s[22:23], v[0:1]
	v_mul_u64_e32 v[6:7], s[24:25], v[0:1]
	;; [unrolled: 1-line block ×5, first 2 shown]
	s_cmp_lg_u64 s[34:35], 0
	s_cselect_b32 s1, -1, 0
	s_mul_i32 s16, s16, s2
	s_cmp_lg_u64 s[38:39], 0
	s_mul_u64 s[22:23], s[16:17], s[22:23]
	s_mul_u64 s[24:25], s[16:17], s[24:25]
	;; [unrolled: 1-line block ×5, first 2 shown]
	s_cselect_b32 s33, -1, 0
	s_lshl_b64 s[22:23], s[22:23], 2
	s_lshl_b64 s[24:25], s[24:25], 2
	;; [unrolled: 1-line block ×5, first 2 shown]
	v_lshl_add_u64 v[4:5], v[4:5], 2, s[40:41]
	v_lshl_add_u64 v[6:7], v[6:7], 2, s[36:37]
	;; [unrolled: 1-line block ×5, first 2 shown]
	s_ashr_i32 s34, s5, 31
	s_mov_b32 s38, 0xbbbac73d
	s_sub_co_i32 s39, 0, s4
	s_mov_b32 s40, 0
	s_branch .LBB22_3
.LBB22_2:                               ;   in Loop: Header=BB22_3 Depth=1
	s_or_b32 exec_lo, exec_lo, s0
	s_delay_alu instid0(VALU_DEP_1)
	v_bfi_b32 v15, 0x7fffffff, v25, v15
	v_mul_u64_e32 v[22:23], s[14:15], v[22:23]
	v_mul_u64_e32 v[20:21], s[14:15], v[20:21]
	;; [unrolled: 1-line block ×4, first 2 shown]
	v_dual_mov_b32 v25, v15 :: v_dual_sub_f32 v32, 1.0, v3
	v_sub_f32_e32 v34, 1.0, v14
	v_fma_f32 v33, -v29, v29, 1.0
	v_add_nc_u64_e32 v[0:1], s[16:17], v[0:1]
	s_delay_alu instid0(VALU_DEP_4) | instskip(SKIP_3) | instid1(VALU_DEP_4)
	v_pk_mul_f32 v[30:31], v[14:15], v[24:25]
	v_dual_sub_f32 v25, 1.0, v26 :: v_dual_mul_f32 v15, v24, v15
	v_add_nc_u64_e32 v[4:5], s[22:23], v[4:5]
	v_add_nc_u64_e32 v[6:7], s[24:25], v[6:7]
	v_sub_f32_e32 v31, 1.0, v31
	v_cmp_le_i64_e32 vcc_lo, s[6:7], v[0:1]
	v_add_nc_u64_e32 v[10:11], s[28:29], v[10:11]
	v_add_nc_u64_e32 v[12:13], s[30:31], v[12:13]
	s_delay_alu instid0(VALU_DEP_4) | instskip(SKIP_2) | instid1(VALU_DEP_2)
	v_fmac_f32_e32 v28, v30, v31
	v_mul_f32_e32 v15, v34, v15
	s_or_b32 s40, vcc_lo, s40
	v_mul_f32_e32 v24, v29, v28
	s_delay_alu instid0(VALU_DEP_1) | instskip(SKIP_3) | instid1(VALU_DEP_3)
	v_mul_f32_e32 v24, v25, v24
	v_dual_mul_f32 v27, v27, v28 :: v_dual_mul_f32 v29, v26, v28
	v_mul_f32_e32 v30, v14, v15
	v_lshl_add_u64 v[14:15], v[22:23], 2, s[12:13]
	v_dual_mul_f32 v22, v26, v24 :: v_dual_mul_f32 v25, v32, v27
	v_lshl_add_u64 v[20:21], v[20:21], 2, s[12:13]
	v_mul_f32_e32 v27, v33, v29
	v_lshl_add_u64 v[18:19], v[18:19], 2, s[12:13]
	v_lshl_add_u64 v[16:17], v[16:17], 2, s[12:13]
	v_dual_mul_f32 v23, v3, v25 :: v_dual_mul_f32 v3, v3, v28
	s_clause 0x3
	global_store_b32 v[14:15], v22, off
	global_store_b32 v[20:21], v23, off
	;; [unrolled: 1-line block ×5, first 2 shown]
	s_wait_xcnt 0x0
	v_add_nc_u64_e32 v[8:9], s[26:27], v[8:9]
	s_and_not1_b32 exec_lo, exec_lo, s40
	s_cbranch_execz .LBB22_15
.LBB22_3:                               ; =>This Inner Loop Header: Depth=1
	v_or_b32_e32 v3, s5, v1
                                        ; implicit-def: $vgpr14_vgpr15
	s_mov_b32 s0, exec_lo
	s_delay_alu instid0(VALU_DEP_1)
	v_cmpx_ne_u64_e32 0, v[2:3]
	s_xor_b32 s41, exec_lo, s0
	s_cbranch_execz .LBB22_5
; %bb.4:                                ;   in Loop: Header=BB22_3 Depth=1
	s_mov_b32 s35, s34
	v_dual_mov_b32 v19, v2 :: v_dual_ashrrev_i32 v14, 31, v1
	s_add_nc_u64 s[36:37], s[4:5], s[34:35]
	v_mov_b32_e32 v27, v2
	s_xor_b64 s[36:37], s[36:37], s[34:35]
	s_delay_alu instid0(VALU_DEP_2) | instskip(SKIP_3) | instid1(VALU_DEP_1)
	v_mov_b32_e32 v15, v14
	s_cvt_f32_u32 s0, s36
	s_cvt_f32_u32 s2, s37
	s_sub_nc_u64 s[44:45], 0, s[36:37]
	v_add_nc_u64_e32 v[16:17], v[0:1], v[14:15]
	s_delay_alu instid0(SALU_CYCLE_1) | instskip(SKIP_1) | instid1(SALU_CYCLE_2)
	s_fmamk_f32 s0, s2, 0x4f800000, s0
	v_mov_b32_e32 v23, v2
	v_s_rcp_f32 s0, s0
	s_delay_alu instid0(VALU_DEP_2) | instskip(NEXT) | instid1(VALU_DEP_3)
	v_xor_b32_e32 v18, v16, v14
	v_xor_b32_e32 v22, v17, v14
	s_delay_alu instid0(TRANS32_DEP_1) | instskip(NEXT) | instid1(SALU_CYCLE_3)
	s_mul_f32 s0, s0, 0x5f7ffffc
	s_mul_f32 s2, s0, 0x2f800000
	s_delay_alu instid0(SALU_CYCLE_3) | instskip(NEXT) | instid1(SALU_CYCLE_3)
	s_trunc_f32 s2, s2
	s_fmamk_f32 s0, s2, 0xcf800000, s0
	s_cvt_u32_f32 s43, s2
	s_delay_alu instid0(SALU_CYCLE_2) | instskip(NEXT) | instid1(SALU_CYCLE_3)
	s_cvt_u32_f32 s42, s0
	s_mul_u64 s[46:47], s[44:45], s[42:43]
	s_delay_alu instid0(SALU_CYCLE_1)
	s_mul_hi_u32 s49, s42, s47
	s_mul_i32 s48, s42, s47
	s_mul_hi_u32 s2, s42, s46
	s_mul_i32 s35, s43, s46
	s_add_nc_u64 s[48:49], s[2:3], s[48:49]
	s_mul_hi_u32 s0, s43, s46
	s_mul_hi_u32 s50, s43, s47
	s_add_co_u32 s2, s48, s35
	s_add_co_ci_u32 s2, s49, s0
	s_mul_i32 s46, s43, s47
	s_add_co_ci_u32 s47, s50, 0
	s_delay_alu instid0(SALU_CYCLE_1) | instskip(NEXT) | instid1(SALU_CYCLE_1)
	s_add_nc_u64 s[46:47], s[2:3], s[46:47]
	s_add_co_u32 s42, s42, s46
	s_cselect_b32 s0, -1, 0
	s_delay_alu instid0(SALU_CYCLE_1) | instskip(SKIP_1) | instid1(SALU_CYCLE_1)
	s_cmp_lg_u32 s0, 0
	s_add_co_ci_u32 s43, s43, s47
	s_mul_u64 s[44:45], s[44:45], s[42:43]
	s_delay_alu instid0(SALU_CYCLE_1)
	s_mul_hi_u32 s47, s42, s45
	s_mul_i32 s46, s42, s45
	s_mul_hi_u32 s2, s42, s44
	s_mul_i32 s35, s43, s44
	s_add_nc_u64 s[46:47], s[2:3], s[46:47]
	s_mul_hi_u32 s0, s43, s44
	s_mul_hi_u32 s48, s43, s45
	s_add_co_u32 s2, s46, s35
	s_add_co_ci_u32 s2, s47, s0
	s_mul_i32 s44, s43, s45
	s_add_co_ci_u32 s45, s48, 0
	s_delay_alu instid0(SALU_CYCLE_1) | instskip(NEXT) | instid1(SALU_CYCLE_1)
	s_add_nc_u64 s[44:45], s[2:3], s[44:45]
	s_add_co_u32 s0, s42, s44
	s_cselect_b32 s2, -1, 0
	v_mul_hi_u32 v26, v18, s0
	s_cmp_lg_u32 s2, 0
	s_add_co_ci_u32 s2, s43, s45
	s_and_b64 s[42:43], s[0:1], s[20:21]
	v_mul_u64_e32 v[20:21], s[2:3], v[18:19]
	v_mul_u64_e32 v[16:17], s[42:43], v[22:23]
	;; [unrolled: 1-line block ×3, first 2 shown]
	s_delay_alu instid0(VALU_DEP_3) | instskip(NEXT) | instid1(VALU_DEP_1)
	v_add_nc_u64_e32 v[20:21], v[26:27], v[20:21]
	v_add_co_u32 v3, vcc_lo, v20, v16
	s_delay_alu instid0(VALU_DEP_2) | instskip(NEXT) | instid1(VALU_DEP_4)
	v_add_co_ci_u32_e32 v26, vcc_lo, v21, v17, vcc_lo
	v_add_co_ci_u32_e32 v25, vcc_lo, 0, v25, vcc_lo
	s_delay_alu instid0(VALU_DEP_1) | instskip(NEXT) | instid1(VALU_DEP_1)
	v_add_nc_u64_e32 v[16:17], v[26:27], v[24:25]
	v_mul_u64_e32 v[20:21], s[36:37], v[16:17]
	s_delay_alu instid0(VALU_DEP_1) | instskip(NEXT) | instid1(VALU_DEP_2)
	v_sub_nc_u32_e32 v3, v22, v21
	v_sub_co_u32 v15, vcc_lo, v18, v20
	s_delay_alu instid0(VALU_DEP_1) | instskip(NEXT) | instid1(VALU_DEP_3)
	v_sub_co_ci_u32_e64 v22, null, v22, v21, vcc_lo
	v_subrev_co_ci_u32_e64 v3, null, s37, v3, vcc_lo
	s_delay_alu instid0(VALU_DEP_3) | instskip(SKIP_1) | instid1(VALU_DEP_3)
	v_sub_co_u32 v18, s0, v15, s36
	v_add_nc_u64_e32 v[20:21], 1, v[16:17]
	v_subrev_co_ci_u32_e64 v3, null, 0, v3, s0
	s_delay_alu instid0(VALU_DEP_3) | instskip(SKIP_1) | instid1(VALU_DEP_3)
	v_cmp_le_u32_e32 vcc_lo, s36, v18
	v_cndmask_b32_e64 v18, 0, -1, vcc_lo
	v_cmp_le_u32_e32 vcc_lo, s37, v3
	v_cndmask_b32_e64 v19, 0, -1, vcc_lo
	;; [unrolled: 2-line block ×4, first 2 shown]
	v_cmp_eq_u32_e32 vcc_lo, s37, v3
	v_cndmask_b32_e32 v3, v19, v18, vcc_lo
	v_cmp_eq_u32_e32 vcc_lo, s37, v22
	v_add_nc_u64_e32 v[18:19], 2, v[16:17]
	v_cndmask_b32_e32 v15, v23, v15, vcc_lo
	s_delay_alu instid0(VALU_DEP_4) | instskip(NEXT) | instid1(VALU_DEP_2)
	v_cmp_ne_u32_e32 vcc_lo, 0, v3
	v_cmp_ne_u32_e64 s0, 0, v15
	s_delay_alu instid0(VALU_DEP_4) | instskip(NEXT) | instid1(VALU_DEP_1)
	v_dual_cndmask_b32 v3, v21, v19, vcc_lo :: v_dual_cndmask_b32 v15, v20, v18, vcc_lo
	v_dual_cndmask_b32 v3, v17, v3, s0 :: v_dual_bitop2_b32 v14, s34, v14 bitop3:0x14
	s_delay_alu instid0(VALU_DEP_1) | instskip(NEXT) | instid1(VALU_DEP_2)
	v_dual_cndmask_b32 v16, v16, v15, s0 :: v_dual_mov_b32 v15, v14
	v_xor_b32_e32 v17, v3, v14
	s_delay_alu instid0(VALU_DEP_2) | instskip(NEXT) | instid1(VALU_DEP_1)
	v_xor_b32_e32 v16, v16, v14
	v_sub_nc_u64_e32 v[14:15], v[16:17], v[14:15]
.LBB22_5:                               ;   in Loop: Header=BB22_3 Depth=1
	s_and_not1_saveexec_b32 s0, s41
	s_cbranch_execz .LBB22_7
; %bb.6:                                ;   in Loop: Header=BB22_3 Depth=1
	v_cvt_f32_u32_e32 v3, s4
	s_delay_alu instid0(VALU_DEP_1) | instskip(SKIP_1) | instid1(TRANS32_DEP_1)
	v_rcp_iflag_f32_e32 v3, v3
	v_nop
	v_mul_f32_e32 v3, 0x4f7ffffe, v3
	s_delay_alu instid0(VALU_DEP_1) | instskip(NEXT) | instid1(VALU_DEP_1)
	v_cvt_u32_f32_e32 v3, v3
	v_mul_lo_u32 v14, s39, v3
	s_delay_alu instid0(VALU_DEP_1) | instskip(NEXT) | instid1(VALU_DEP_1)
	v_mul_hi_u32 v14, v3, v14
	v_add_nc_u32_e32 v3, v3, v14
	s_delay_alu instid0(VALU_DEP_1) | instskip(NEXT) | instid1(VALU_DEP_1)
	v_mul_hi_u32 v3, v0, v3
	v_mul_lo_u32 v14, v3, s4
	s_delay_alu instid0(VALU_DEP_1) | instskip(NEXT) | instid1(VALU_DEP_1)
	v_dual_add_nc_u32 v15, 1, v3 :: v_dual_sub_nc_u32 v14, v0, v14
	v_subrev_nc_u32_e32 v16, s4, v14
	v_cmp_le_u32_e32 vcc_lo, s4, v14
	s_delay_alu instid0(VALU_DEP_2) | instskip(NEXT) | instid1(VALU_DEP_1)
	v_dual_cndmask_b32 v14, v14, v16 :: v_dual_cndmask_b32 v3, v3, v15
	v_cmp_le_u32_e32 vcc_lo, s4, v14
	s_delay_alu instid0(VALU_DEP_2) | instskip(NEXT) | instid1(VALU_DEP_1)
	v_add_nc_u32_e32 v15, 1, v3
	v_dual_cndmask_b32 v14, v3, v15 :: v_dual_mov_b32 v15, v2
.LBB22_7:                               ;   in Loop: Header=BB22_3 Depth=1
	s_or_b32 exec_lo, exec_lo, s0
	s_delay_alu instid0(VALU_DEP_1) | instskip(SKIP_2) | instid1(VALU_DEP_1)
	v_mul_u64_e32 v[16:17], 3, v[14:15]
	v_mad_nc_u64_u32 v[22:23], s18, v14, v[0:1]
	s_and_not1_b32 vcc_lo, exec_lo, s1
	v_mad_u32 v3, s19, v14, v23
	s_delay_alu instid0(VALU_DEP_1) | instskip(NEXT) | instid1(VALU_DEP_4)
	v_mad_u32 v23, s18, v15, v3
	v_add_nc_u64_e32 v[24:25], 1, v[16:17]
	v_add_nc_u64_e32 v[26:27], 2, v[16:17]
	;; [unrolled: 1-line block ×3, first 2 shown]
	s_delay_alu instid0(VALU_DEP_3) | instskip(NEXT) | instid1(VALU_DEP_3)
	v_mad_nc_u64_u32 v[20:21], s4, v24, v[0:1]
	v_mad_nc_u64_u32 v[18:19], s4, v26, v[0:1]
	s_delay_alu instid0(VALU_DEP_3) | instskip(NEXT) | instid1(VALU_DEP_3)
	v_mad_nc_u64_u32 v[16:17], s4, v28, v[0:1]
	v_mad_u32 v14, s5, v24, v21
	s_delay_alu instid0(VALU_DEP_3) | instskip(NEXT) | instid1(VALU_DEP_3)
	v_mad_u32 v19, s5, v26, v19
	v_mad_u32 v17, s5, v28, v17
	s_delay_alu instid0(VALU_DEP_3) | instskip(NEXT) | instid1(VALU_DEP_3)
	v_mad_u32 v21, s4, v25, v14
	v_mad_u32 v19, s4, v27, v19
	s_delay_alu instid0(VALU_DEP_3) | instskip(SKIP_1) | instid1(VALU_DEP_4)
	v_mad_u32 v17, s4, v29, v17
	v_mul_u64_e32 v[14:15], s[10:11], v[22:23]
	v_mul_u64_e32 v[24:25], s[10:11], v[20:21]
	s_delay_alu instid0(VALU_DEP_4) | instskip(NEXT) | instid1(VALU_DEP_4)
	v_mul_u64_e32 v[26:27], s[10:11], v[18:19]
	v_mul_u64_e32 v[28:29], s[10:11], v[16:17]
	s_delay_alu instid0(VALU_DEP_4) | instskip(NEXT) | instid1(VALU_DEP_4)
	v_lshl_add_u64 v[30:31], v[14:15], 2, s[8:9]
	v_lshl_add_u64 v[24:25], v[24:25], 2, s[8:9]
	s_delay_alu instid0(VALU_DEP_4) | instskip(NEXT) | instid1(VALU_DEP_4)
	v_lshl_add_u64 v[32:33], v[26:27], 2, s[8:9]
	v_lshl_add_u64 v[34:35], v[28:29], 2, s[8:9]
	global_load_b32 v27, v[4:5], off
	s_clause 0x3
	global_load_b32 v26, v[30:31], off
	global_load_b32 v3, v[24:25], off
	;; [unrolled: 1-line block ×5, first 2 shown]
	s_wait_xcnt 0x3
	v_dual_mov_b32 v28, 0 :: v_dual_mov_b32 v24, 0
	s_cbranch_vccnz .LBB22_9
; %bb.8:                                ;   in Loop: Header=BB22_3 Depth=1
	global_load_b32 v24, v[10:11], off
.LBB22_9:                               ;   in Loop: Header=BB22_3 Depth=1
	s_and_not1_b32 vcc_lo, exec_lo, s33
	s_cbranch_vccnz .LBB22_11
; %bb.10:                               ;   in Loop: Header=BB22_3 Depth=1
	global_load_b32 v28, v[12:13], off
.LBB22_11:                              ;   in Loop: Header=BB22_3 Depth=1
	s_wait_loadcnt 0x0
	v_cmp_ngt_f32_e64 s0, 0x3f200000, |v15|
                                        ; implicit-def: $vgpr25
	s_wait_xcnt 0x0
	s_and_saveexec_b32 s2, s0
	s_delay_alu instid0(SALU_CYCLE_1)
	s_xor_b32 s0, exec_lo, s2
	s_cbranch_execz .LBB22_13
; %bb.12:                               ;   in Loop: Header=BB22_3 Depth=1
	v_add_f32_e64 v25, |v15|, |v15|
	s_delay_alu instid0(VALU_DEP_1) | instskip(SKIP_1) | instid1(VALU_DEP_2)
	v_mul_f32_e32 v30, 0x3fb8aa3b, v25
	v_cmp_ngt_f32_e32 vcc_lo, 0xc2ce8ed0, v25
	v_rndne_f32_e32 v31, v30
	v_fma_f32 v32, 0x3fb8aa3b, v25, -v30
	s_delay_alu instid0(VALU_DEP_2) | instskip(NEXT) | instid1(VALU_DEP_2)
	v_sub_f32_e32 v30, v30, v31
	v_fmac_f32_e32 v32, 0x32a5705f, v25
	v_cvt_i32_f32_e32 v31, v31
	s_delay_alu instid0(VALU_DEP_2) | instskip(NEXT) | instid1(VALU_DEP_1)
	v_add_f32_e32 v30, v30, v32
	v_exp_f32_e32 v30, v30
	v_nop
	s_delay_alu instid0(TRANS32_DEP_1) | instskip(NEXT) | instid1(VALU_DEP_1)
	v_ldexp_f32 v30, v30, v31
	v_cndmask_b32_e32 v30, 0, v30, vcc_lo
	v_cmp_nlt_f32_e32 vcc_lo, 0x42b17218, v25
	s_delay_alu instid0(VALU_DEP_2) | instskip(NEXT) | instid1(VALU_DEP_1)
	v_cndmask_b32_e32 v25, 0x7f800000, v30, vcc_lo
	v_add_f32_e32 v25, 1.0, v25
	s_delay_alu instid0(VALU_DEP_1) | instskip(SKIP_1) | instid1(TRANS32_DEP_1)
	v_rcp_f32_e32 v25, v25
	v_nop
	v_fma_f32 v25, v25, -2.0, 1.0
.LBB22_13:                              ;   in Loop: Header=BB22_3 Depth=1
	s_and_not1_saveexec_b32 s0, s0
	s_cbranch_execz .LBB22_2
; %bb.14:                               ;   in Loop: Header=BB22_3 Depth=1
	v_mul_f32_e32 v25, v15, v15
	s_delay_alu instid0(VALU_DEP_1) | instskip(NEXT) | instid1(VALU_DEP_1)
	v_fmaak_f32 v30, s38, v25, 0x3ca908c9
	v_fmaak_f32 v30, v25, v30, 0xbd5c1c4e
	s_delay_alu instid0(VALU_DEP_1) | instskip(NEXT) | instid1(VALU_DEP_1)
	v_fmaak_f32 v30, v25, v30, 0x3e088382
	v_fmaak_f32 v30, v25, v30, 0xbeaaaa99
	s_delay_alu instid0(VALU_DEP_1) | instskip(NEXT) | instid1(VALU_DEP_1)
	v_mul_f32_e64 v30, |v15|, v30
	v_fma_f32 v25, v25, v30, |v15|
	s_branch .LBB22_2
.LBB22_15:
	s_endpgm
	.section	.rodata,"a",@progbits
	.p2align	6, 0x0
	.amdhsa_kernel _ZN2at6native12_GLOBAL__N_16kernel18lstm_cell_backwardIfflLi1EEEvNS_4cuda6detail10TensorInfoIT_T1_EES9_S9_S9_S9_S9_S9_S8_S8_
		.amdhsa_group_segment_fixed_size 0
		.amdhsa_private_segment_fixed_size 0
		.amdhsa_kernarg_size 3184
		.amdhsa_user_sgpr_count 2
		.amdhsa_user_sgpr_dispatch_ptr 0
		.amdhsa_user_sgpr_queue_ptr 0
		.amdhsa_user_sgpr_kernarg_segment_ptr 1
		.amdhsa_user_sgpr_dispatch_id 0
		.amdhsa_user_sgpr_kernarg_preload_length 0
		.amdhsa_user_sgpr_kernarg_preload_offset 0
		.amdhsa_user_sgpr_private_segment_size 0
		.amdhsa_wavefront_size32 1
		.amdhsa_uses_dynamic_stack 0
		.amdhsa_enable_private_segment 0
		.amdhsa_system_sgpr_workgroup_id_x 1
		.amdhsa_system_sgpr_workgroup_id_y 0
		.amdhsa_system_sgpr_workgroup_id_z 0
		.amdhsa_system_sgpr_workgroup_info 0
		.amdhsa_system_vgpr_workitem_id 0
		.amdhsa_next_free_vgpr 36
		.amdhsa_next_free_sgpr 51
		.amdhsa_named_barrier_count 0
		.amdhsa_reserve_vcc 1
		.amdhsa_float_round_mode_32 0
		.amdhsa_float_round_mode_16_64 0
		.amdhsa_float_denorm_mode_32 3
		.amdhsa_float_denorm_mode_16_64 3
		.amdhsa_fp16_overflow 0
		.amdhsa_memory_ordered 1
		.amdhsa_forward_progress 1
		.amdhsa_inst_pref_size 16
		.amdhsa_round_robin_scheduling 0
		.amdhsa_exception_fp_ieee_invalid_op 0
		.amdhsa_exception_fp_denorm_src 0
		.amdhsa_exception_fp_ieee_div_zero 0
		.amdhsa_exception_fp_ieee_overflow 0
		.amdhsa_exception_fp_ieee_underflow 0
		.amdhsa_exception_fp_ieee_inexact 0
		.amdhsa_exception_int_div_zero 0
	.end_amdhsa_kernel
	.section	.text._ZN2at6native12_GLOBAL__N_16kernel18lstm_cell_backwardIfflLi1EEEvNS_4cuda6detail10TensorInfoIT_T1_EES9_S9_S9_S9_S9_S9_S8_S8_,"axG",@progbits,_ZN2at6native12_GLOBAL__N_16kernel18lstm_cell_backwardIfflLi1EEEvNS_4cuda6detail10TensorInfoIT_T1_EES9_S9_S9_S9_S9_S9_S8_S8_,comdat
.Lfunc_end22:
	.size	_ZN2at6native12_GLOBAL__N_16kernel18lstm_cell_backwardIfflLi1EEEvNS_4cuda6detail10TensorInfoIT_T1_EES9_S9_S9_S9_S9_S9_S8_S8_, .Lfunc_end22-_ZN2at6native12_GLOBAL__N_16kernel18lstm_cell_backwardIfflLi1EEEvNS_4cuda6detail10TensorInfoIT_T1_EES9_S9_S9_S9_S9_S9_S8_S8_
                                        ; -- End function
	.set _ZN2at6native12_GLOBAL__N_16kernel18lstm_cell_backwardIfflLi1EEEvNS_4cuda6detail10TensorInfoIT_T1_EES9_S9_S9_S9_S9_S9_S8_S8_.num_vgpr, 36
	.set _ZN2at6native12_GLOBAL__N_16kernel18lstm_cell_backwardIfflLi1EEEvNS_4cuda6detail10TensorInfoIT_T1_EES9_S9_S9_S9_S9_S9_S8_S8_.num_agpr, 0
	.set _ZN2at6native12_GLOBAL__N_16kernel18lstm_cell_backwardIfflLi1EEEvNS_4cuda6detail10TensorInfoIT_T1_EES9_S9_S9_S9_S9_S9_S8_S8_.numbered_sgpr, 51
	.set _ZN2at6native12_GLOBAL__N_16kernel18lstm_cell_backwardIfflLi1EEEvNS_4cuda6detail10TensorInfoIT_T1_EES9_S9_S9_S9_S9_S9_S8_S8_.num_named_barrier, 0
	.set _ZN2at6native12_GLOBAL__N_16kernel18lstm_cell_backwardIfflLi1EEEvNS_4cuda6detail10TensorInfoIT_T1_EES9_S9_S9_S9_S9_S9_S8_S8_.private_seg_size, 0
	.set _ZN2at6native12_GLOBAL__N_16kernel18lstm_cell_backwardIfflLi1EEEvNS_4cuda6detail10TensorInfoIT_T1_EES9_S9_S9_S9_S9_S9_S8_S8_.uses_vcc, 1
	.set _ZN2at6native12_GLOBAL__N_16kernel18lstm_cell_backwardIfflLi1EEEvNS_4cuda6detail10TensorInfoIT_T1_EES9_S9_S9_S9_S9_S9_S8_S8_.uses_flat_scratch, 0
	.set _ZN2at6native12_GLOBAL__N_16kernel18lstm_cell_backwardIfflLi1EEEvNS_4cuda6detail10TensorInfoIT_T1_EES9_S9_S9_S9_S9_S9_S8_S8_.has_dyn_sized_stack, 0
	.set _ZN2at6native12_GLOBAL__N_16kernel18lstm_cell_backwardIfflLi1EEEvNS_4cuda6detail10TensorInfoIT_T1_EES9_S9_S9_S9_S9_S9_S8_S8_.has_recursion, 0
	.set _ZN2at6native12_GLOBAL__N_16kernel18lstm_cell_backwardIfflLi1EEEvNS_4cuda6detail10TensorInfoIT_T1_EES9_S9_S9_S9_S9_S9_S8_S8_.has_indirect_call, 0
	.section	.AMDGPU.csdata,"",@progbits
; Kernel info:
; codeLenInByte = 2024
; TotalNumSgprs: 53
; NumVgprs: 36
; ScratchSize: 0
; MemoryBound: 0
; FloatMode: 240
; IeeeMode: 1
; LDSByteSize: 0 bytes/workgroup (compile time only)
; SGPRBlocks: 0
; VGPRBlocks: 2
; NumSGPRsForWavesPerEU: 53
; NumVGPRsForWavesPerEU: 36
; NamedBarCnt: 0
; Occupancy: 16
; WaveLimiterHint : 1
; COMPUTE_PGM_RSRC2:SCRATCH_EN: 0
; COMPUTE_PGM_RSRC2:USER_SGPR: 2
; COMPUTE_PGM_RSRC2:TRAP_HANDLER: 0
; COMPUTE_PGM_RSRC2:TGID_X_EN: 1
; COMPUTE_PGM_RSRC2:TGID_Y_EN: 0
; COMPUTE_PGM_RSRC2:TGID_Z_EN: 0
; COMPUTE_PGM_RSRC2:TIDIG_COMP_CNT: 0
	.section	.text._ZN2at6native12_GLOBAL__N_16kernel18lstm_cell_backwardIfflLi2EEEvNS_4cuda6detail10TensorInfoIT_T1_EES9_S9_S9_S9_S9_S9_S8_S8_,"axG",@progbits,_ZN2at6native12_GLOBAL__N_16kernel18lstm_cell_backwardIfflLi2EEEvNS_4cuda6detail10TensorInfoIT_T1_EES9_S9_S9_S9_S9_S9_S8_S8_,comdat
	.globl	_ZN2at6native12_GLOBAL__N_16kernel18lstm_cell_backwardIfflLi2EEEvNS_4cuda6detail10TensorInfoIT_T1_EES9_S9_S9_S9_S9_S9_S8_S8_ ; -- Begin function _ZN2at6native12_GLOBAL__N_16kernel18lstm_cell_backwardIfflLi2EEEvNS_4cuda6detail10TensorInfoIT_T1_EES9_S9_S9_S9_S9_S9_S8_S8_
	.p2align	8
	.type	_ZN2at6native12_GLOBAL__N_16kernel18lstm_cell_backwardIfflLi2EEEvNS_4cuda6detail10TensorInfoIT_T1_EES9_S9_S9_S9_S9_S9_S8_S8_,@function
_ZN2at6native12_GLOBAL__N_16kernel18lstm_cell_backwardIfflLi2EEEvNS_4cuda6detail10TensorInfoIT_T1_EES9_S9_S9_S9_S9_S9_S8_S8_: ; @_ZN2at6native12_GLOBAL__N_16kernel18lstm_cell_backwardIfflLi2EEEvNS_4cuda6detail10TensorInfoIT_T1_EES9_S9_S9_S9_S9_S9_S8_S8_
; %bb.0:
	s_clause 0x1
	s_load_b32 s2, s[0:1], 0xb7c
	s_load_b128 s[4:7], s[0:1], 0xb60
	s_bfe_u32 s3, ttmp6, 0x4000c
	s_and_b32 s8, ttmp6, 15
	s_add_co_i32 s3, s3, 1
	s_getreg_b32 s9, hwreg(HW_REG_IB_STS2, 6, 4)
	s_mul_i32 s3, ttmp9, s3
	v_mov_b32_e32 v2, 0
	s_add_co_i32 s8, s8, s3
	s_delay_alu instid0(VALU_DEP_1)
	v_mov_b32_e32 v1, v2
	s_wait_kmcnt 0x0
	s_and_b32 s2, s2, 0xffff
	s_cmp_eq_u32 s9, 0
	s_cselect_b32 s3, ttmp9, s8
	s_mov_b32 s8, exec_lo
	v_mad_u32 v0, s3, s2, v0
	s_mov_b32 s3, 0
	s_delay_alu instid0(VALU_DEP_1)
	v_cmpx_gt_i64_e64 s[6:7], v[0:1]
	s_cbranch_execz .LBB23_67
; %bb.1:
	s_add_nc_u64 s[20:21], s[0:1], 0xb70
	v_cvt_f32_u32_e32 v3, s4
	s_clause 0x6
	s_load_b64 s[34:35], s[0:1], 0x0
	s_load_b64 s[40:41], s[0:1], 0x10
	;; [unrolled: 1-line block ×3, first 2 shown]
	s_load_b128 s[8:11], s[0:1], 0x750
	s_load_b64 s[44:45], s[0:1], 0x820
	s_load_b128 s[12:15], s[0:1], 0xd0
	s_load_b64 s[46:47], s[0:1], 0x1a0
	s_load_b32 s66, s[20:21], 0x0
	s_clause 0x6
	s_load_b64 s[48:49], s[0:1], 0x1b0
	s_load_b128 s[16:19], s[0:1], 0x270
	s_load_b64 s[50:51], s[0:1], 0x340
	s_load_b64 s[52:53], s[0:1], 0x350
	;; [unrolled: 1-line block ×5, first 2 shown]
                                        ; kill: killed $sgpr20_sgpr21
	s_wait_xcnt 0x0
	s_clause 0x6
	s_load_b128 s[20:23], s[0:1], 0x410
	s_load_b64 s[60:61], s[0:1], 0x4e0
	s_load_b64 s[62:63], s[0:1], 0x690
	s_load_b128 s[24:27], s[0:1], 0x5b0
	s_load_b64 s[64:65], s[0:1], 0x830
	s_load_b128 s[28:31], s[0:1], 0x8f0
	s_load_b128 s[36:39], s[0:1], 0xa90
	s_wait_kmcnt 0x0
	s_cmp_lg_u64 s[42:43], 0
	s_mov_b32 s67, s3
	v_rcp_iflag_f32_e32 v3, v3
	s_cselect_b32 s1, -1, 0
	s_cmp_lg_u64 s[44:45], 0
	s_mul_i32 s66, s66, s2
	s_cselect_b32 s33, -1, 0
	s_mul_u64 s[68:69], s[4:5], 3
	s_sub_nc_u64 s[70:71], 0, s[52:53]
	v_nop
	v_mul_f32_e32 v3, 0x4f7ffffe, v3
	s_sub_nc_u64 s[72:73], 0, s[54:55]
	s_sub_nc_u64 s[74:75], 0, s[58:59]
	s_mov_b64 s[76:77], 0xffffffff
	s_mov_b32 s86, 0xbbbac73d
	v_cvt_u32_f32_e32 v32, v3
	s_sub_nc_u64 s[78:79], 0, s[62:63]
	s_mov_b32 s87, 0
	s_sub_nc_u64 s[80:81], 0, s[64:65]
	s_branch .LBB23_3
.LBB23_2:                               ;   in Loop: Header=BB23_3 Depth=1
	s_or_b32 exec_lo, exec_lo, s0
	v_mul_u64_e32 v[26:27], s[48:49], v[14:15]
	v_mul_u64_e32 v[30:31], s[48:49], v[16:17]
	;; [unrolled: 1-line block ×4, first 2 shown]
	v_mad_nc_u64_u32 v[40:41], s74, v22, v[0:1]
	v_mul_u64_e32 v[14:15], s[16:17], v[14:15]
	v_mul_u64_e32 v[16:17], s[16:17], v[16:17]
	;; [unrolled: 1-line block ×3, first 2 shown]
	v_bfi_b32 v13, 0x7fffffff, v25, v13
	v_mul_u64_e32 v[20:21], s[16:17], v[20:21]
	v_mul_u64_e32 v[42:43], s[36:37], v[22:23]
	s_delay_alu instid0(VALU_DEP_3) | instskip(SKIP_1) | instid1(VALU_DEP_1)
	v_mov_b32_e32 v25, v13
	v_mad_u32 v29, s75, v22, v41
	v_mad_u32 v41, s74, v23, v29
	s_delay_alu instid0(VALU_DEP_3) | instskip(SKIP_2) | instid1(VALU_DEP_3)
	v_pk_mul_f32 v[22:23], v[12:13], v[24:25]
	v_dual_sub_f32 v25, 1.0, v12 :: v_dual_mul_f32 v13, v24, v13
	v_fma_f32 v24, -v35, v35, 1.0
	v_sub_f32_e32 v23, 1.0, v23
	v_sub_nc_u64_e32 v[4:5], v[4:5], v[26:27]
	v_sub_nc_u64_e32 v[6:7], v[6:7], v[30:31]
	;; [unrolled: 1-line block ×4, first 2 shown]
	v_mul_u64_e32 v[26:27], s[38:39], v[40:41]
	s_wait_loadcnt 0x0
	v_dual_fmac_f32 v3, v22, v23 :: v_dual_sub_f32 v22, 1.0, v33
	v_add_nc_u64_e32 v[4:5], v[0:1], v[4:5]
	v_add_nc_u64_e32 v[6:7], v[0:1], v[6:7]
	v_add_nc_u64_e32 v[8:9], v[0:1], v[8:9]
	v_add_nc_u64_e32 v[10:11], v[0:1], v[10:11]
	v_add_nc_u64_e32 v[0:1], s[66:67], v[0:1]
	v_dual_sub_f32 v23, 1.0, v34 :: v_dual_mul_f32 v13, v25, v13
	v_mul_u64_e32 v[4:5], s[18:19], v[4:5]
	v_mul_u64_e32 v[6:7], s[18:19], v[6:7]
	;; [unrolled: 1-line block ×4, first 2 shown]
	v_dual_mul_f32 v25, v35, v3 :: v_dual_mul_f32 v28, v28, v3
	v_dual_mul_f32 v29, v33, v3 :: v_dual_mul_f32 v30, v12, v13
	v_lshl_add_u64 v[14:15], v[14:15], 2, s[46:47]
	s_delay_alu instid0(VALU_DEP_3) | instskip(NEXT) | instid1(VALU_DEP_4)
	v_mul_f32_e32 v22, v22, v25
	v_dual_mul_f32 v3, v34, v3 :: v_dual_mul_f32 v23, v23, v28
	v_cmp_le_i64_e32 vcc_lo, s[6:7], v[0:1]
	v_lshl_add_u64 v[16:17], v[16:17], 2, s[46:47]
	v_lshl_add_u64 v[18:19], v[18:19], 2, s[46:47]
	;; [unrolled: 1-line block ×4, first 2 shown]
	v_dual_mul_f32 v24, v24, v29 :: v_dual_mul_f32 v22, v33, v22
	v_mul_f32_e32 v23, v34, v23
	s_or_b32 s87, vcc_lo, s87
	s_delay_alu instid0(VALU_DEP_3)
	v_lshl_add_u64 v[12:13], v[26:27], 2, v[12:13]
	v_lshl_add_u64 v[4:5], v[4:5], 2, v[14:15]
	;; [unrolled: 1-line block ×5, first 2 shown]
	s_clause 0x3
	global_store_b32 v[4:5], v22, off
	global_store_b32 v[6:7], v23, off
	;; [unrolled: 1-line block ×5, first 2 shown]
	s_wait_xcnt 0x0
	s_and_not1_b32 exec_lo, exec_lo, s87
	s_cbranch_execz .LBB23_67
.LBB23_3:                               ; =>This Inner Loop Header: Depth=1
	v_or_b32_e32 v3, s5, v1
                                        ; implicit-def: $vgpr6_vgpr7
	s_mov_b32 s0, exec_lo
	s_delay_alu instid0(VALU_DEP_1)
	v_cmpx_ne_u64_e32 0, v[2:3]
	s_xor_b32 s88, exec_lo, s0
	s_cbranch_execz .LBB23_5
; %bb.4:                                ;   in Loop: Header=BB23_3 Depth=1
	s_ashr_i32 s82, s5, 31
	v_dual_mov_b32 v9, v2 :: v_dual_ashrrev_i32 v4, 31, v1
	s_mov_b32 s83, s82
	s_delay_alu instid0(SALU_CYCLE_1) | instskip(NEXT) | instid1(VALU_DEP_1)
	s_add_nc_u64 s[84:85], s[4:5], s[82:83]
	v_mov_b32_e32 v5, v4
	s_xor_b64 s[84:85], s[84:85], s[82:83]
	s_delay_alu instid0(SALU_CYCLE_1)
	s_cvt_f32_u32 s0, s84
	s_cvt_f32_u32 s2, s85
	s_sub_nc_u64 s[92:93], 0, s[84:85]
	v_add_nc_u64_e32 v[6:7], v[0:1], v[4:5]
	v_mov_b32_e32 v13, v2
	s_fmamk_f32 s0, s2, 0x4f800000, s0
	s_delay_alu instid0(SALU_CYCLE_3) | instskip(NEXT) | instid1(VALU_DEP_2)
	v_s_rcp_f32 s0, s0
	v_xor_b32_e32 v8, v6, v4
	s_delay_alu instid0(VALU_DEP_3) | instskip(SKIP_1) | instid1(TRANS32_DEP_1)
	v_dual_mov_b32 v17, v2 :: v_dual_bitop2_b32 v12, v7, v4 bitop3:0x14
	v_xor_b32_e32 v4, s82, v4
	s_mul_f32 s0, s0, 0x5f7ffffc
	s_delay_alu instid0(SALU_CYCLE_3) | instskip(NEXT) | instid1(SALU_CYCLE_3)
	s_mul_f32 s2, s0, 0x2f800000
	s_trunc_f32 s2, s2
	s_delay_alu instid0(SALU_CYCLE_3) | instskip(SKIP_1) | instid1(SALU_CYCLE_2)
	s_fmamk_f32 s0, s2, 0xcf800000, s0
	s_cvt_u32_f32 s91, s2
	s_cvt_u32_f32 s90, s0
	s_delay_alu instid0(SALU_CYCLE_3) | instskip(NEXT) | instid1(SALU_CYCLE_1)
	s_mul_u64 s[94:95], s[92:93], s[90:91]
	s_mul_hi_u32 s97, s90, s95
	s_mul_i32 s96, s90, s95
	s_mul_hi_u32 s2, s90, s94
	s_mul_i32 s83, s91, s94
	s_add_nc_u64 s[96:97], s[2:3], s[96:97]
	s_mul_hi_u32 s0, s91, s94
	s_mul_hi_u32 s89, s91, s95
	s_add_co_u32 s2, s96, s83
	s_add_co_ci_u32 s2, s97, s0
	s_mul_i32 s94, s91, s95
	s_add_co_ci_u32 s95, s89, 0
	s_delay_alu instid0(SALU_CYCLE_1) | instskip(NEXT) | instid1(SALU_CYCLE_1)
	s_add_nc_u64 s[94:95], s[2:3], s[94:95]
	s_add_co_u32 s90, s90, s94
	s_cselect_b32 s0, -1, 0
	s_delay_alu instid0(SALU_CYCLE_1) | instskip(SKIP_1) | instid1(SALU_CYCLE_1)
	s_cmp_lg_u32 s0, 0
	s_add_co_ci_u32 s91, s91, s95
	s_mul_u64 s[92:93], s[92:93], s[90:91]
	s_delay_alu instid0(SALU_CYCLE_1)
	s_mul_hi_u32 s95, s90, s93
	s_mul_i32 s94, s90, s93
	s_mul_hi_u32 s2, s90, s92
	s_mul_i32 s83, s91, s92
	s_add_nc_u64 s[94:95], s[2:3], s[94:95]
	s_mul_hi_u32 s0, s91, s92
	s_mul_hi_u32 s89, s91, s93
	s_add_co_u32 s2, s94, s83
	s_add_co_ci_u32 s2, s95, s0
	s_mul_i32 s92, s91, s93
	s_add_co_ci_u32 s93, s89, 0
	s_delay_alu instid0(SALU_CYCLE_1) | instskip(NEXT) | instid1(SALU_CYCLE_1)
	s_add_nc_u64 s[92:93], s[2:3], s[92:93]
	s_add_co_u32 s0, s90, s92
	s_cselect_b32 s2, -1, 0
	v_mul_hi_u32 v16, v8, s0
	s_cmp_lg_u32 s2, 0
	s_add_co_ci_u32 s2, s91, s93
	s_and_b64 s[90:91], s[0:1], s[76:77]
	v_mul_u64_e32 v[10:11], s[2:3], v[8:9]
	v_mul_u64_e32 v[6:7], s[90:91], v[12:13]
	;; [unrolled: 1-line block ×3, first 2 shown]
	s_delay_alu instid0(VALU_DEP_3) | instskip(NEXT) | instid1(VALU_DEP_1)
	v_add_nc_u64_e32 v[10:11], v[16:17], v[10:11]
	v_add_co_u32 v3, vcc_lo, v10, v6
	s_delay_alu instid0(VALU_DEP_2) | instskip(NEXT) | instid1(VALU_DEP_4)
	v_add_co_ci_u32_e32 v16, vcc_lo, v11, v7, vcc_lo
	v_add_co_ci_u32_e32 v15, vcc_lo, 0, v15, vcc_lo
	s_delay_alu instid0(VALU_DEP_1) | instskip(NEXT) | instid1(VALU_DEP_1)
	v_add_nc_u64_e32 v[6:7], v[16:17], v[14:15]
	v_mul_u64_e32 v[10:11], s[84:85], v[6:7]
	s_delay_alu instid0(VALU_DEP_1) | instskip(NEXT) | instid1(VALU_DEP_2)
	v_sub_nc_u32_e32 v3, v12, v11
	v_sub_co_u32 v5, vcc_lo, v8, v10
	s_delay_alu instid0(VALU_DEP_1) | instskip(NEXT) | instid1(VALU_DEP_3)
	v_sub_co_ci_u32_e64 v12, null, v12, v11, vcc_lo
	v_subrev_co_ci_u32_e64 v3, null, s85, v3, vcc_lo
	s_delay_alu instid0(VALU_DEP_3) | instskip(SKIP_1) | instid1(VALU_DEP_3)
	v_sub_co_u32 v8, s0, v5, s84
	v_add_nc_u64_e32 v[10:11], 1, v[6:7]
	v_subrev_co_ci_u32_e64 v3, null, 0, v3, s0
	s_delay_alu instid0(VALU_DEP_3) | instskip(SKIP_1) | instid1(VALU_DEP_3)
	v_cmp_le_u32_e32 vcc_lo, s84, v8
	v_cndmask_b32_e64 v8, 0, -1, vcc_lo
	v_cmp_le_u32_e32 vcc_lo, s85, v3
	v_cndmask_b32_e64 v9, 0, -1, vcc_lo
	;; [unrolled: 2-line block ×4, first 2 shown]
	v_cmp_eq_u32_e32 vcc_lo, s85, v3
	v_cndmask_b32_e32 v3, v9, v8, vcc_lo
	v_cmp_eq_u32_e32 vcc_lo, s85, v12
	v_add_nc_u64_e32 v[8:9], 2, v[6:7]
	v_cndmask_b32_e32 v5, v13, v5, vcc_lo
	s_delay_alu instid0(VALU_DEP_4) | instskip(NEXT) | instid1(VALU_DEP_2)
	v_cmp_ne_u32_e32 vcc_lo, 0, v3
	v_cmp_ne_u32_e64 s0, 0, v5
	s_delay_alu instid0(VALU_DEP_4) | instskip(NEXT) | instid1(VALU_DEP_1)
	v_dual_cndmask_b32 v3, v11, v9, vcc_lo :: v_dual_cndmask_b32 v5, v10, v8, vcc_lo
	v_dual_cndmask_b32 v6, v6, v5, s0 :: v_dual_mov_b32 v5, v4
	s_delay_alu instid0(VALU_DEP_1) | instskip(NEXT) | instid1(VALU_DEP_1)
	v_dual_cndmask_b32 v3, v7, v3, s0 :: v_dual_bitop2_b32 v6, v6, v4 bitop3:0x14
	v_xor_b32_e32 v7, v3, v4
	s_delay_alu instid0(VALU_DEP_1)
	v_sub_nc_u64_e32 v[6:7], v[6:7], v[4:5]
.LBB23_5:                               ;   in Loop: Header=BB23_3 Depth=1
	s_and_not1_saveexec_b32 s0, s88
	s_cbranch_execz .LBB23_7
; %bb.6:                                ;   in Loop: Header=BB23_3 Depth=1
	s_sub_co_i32 s2, 0, s4
	v_mov_b32_e32 v7, v2
	v_mul_lo_u32 v3, s2, v32
	s_delay_alu instid0(VALU_DEP_1) | instskip(NEXT) | instid1(VALU_DEP_1)
	v_mul_hi_u32 v3, v32, v3
	v_add_nc_u32_e32 v3, v32, v3
	s_delay_alu instid0(VALU_DEP_1) | instskip(NEXT) | instid1(VALU_DEP_1)
	v_mul_hi_u32 v3, v0, v3
	v_mul_lo_u32 v4, v3, s4
	s_delay_alu instid0(VALU_DEP_1) | instskip(NEXT) | instid1(VALU_DEP_1)
	v_dual_add_nc_u32 v5, 1, v3 :: v_dual_sub_nc_u32 v4, v0, v4
	v_subrev_nc_u32_e32 v6, s4, v4
	v_cmp_le_u32_e32 vcc_lo, s4, v4
	s_delay_alu instid0(VALU_DEP_2) | instskip(NEXT) | instid1(VALU_DEP_1)
	v_dual_cndmask_b32 v4, v4, v6 :: v_dual_cndmask_b32 v3, v3, v5
	v_cmp_le_u32_e32 vcc_lo, s4, v4
	s_delay_alu instid0(VALU_DEP_2) | instskip(NEXT) | instid1(VALU_DEP_1)
	v_add_nc_u32_e32 v5, 1, v3
	v_cndmask_b32_e32 v6, v3, v5, vcc_lo
.LBB23_7:                               ;   in Loop: Header=BB23_3 Depth=1
	s_or_b32 exec_lo, exec_lo, s0
	s_delay_alu instid0(VALU_DEP_1) | instskip(SKIP_1) | instid1(VALU_DEP_1)
	v_mul_u64_e32 v[4:5], s[68:69], v[6:7]
                                        ; implicit-def: $vgpr8_vgpr9
	s_mov_b32 s0, exec_lo
	v_add_nc_u64_e32 v[24:25], v[0:1], v[4:5]
	s_delay_alu instid0(VALU_DEP_1) | instskip(NEXT) | instid1(VALU_DEP_1)
	v_dual_ashrrev_i32 v16, 31, v25 :: v_dual_bitop2_b32 v3, s41, v25 bitop3:0x54
	v_cmpx_ne_u64_e32 0, v[2:3]
	s_xor_b32 s88, exec_lo, s0
	s_cbranch_execz .LBB23_9
; %bb.8:                                ;   in Loop: Header=BB23_3 Depth=1
	s_ashr_i32 s82, s41, 31
	v_dual_mov_b32 v17, v16 :: v_dual_mov_b32 v11, v2
	s_mov_b32 s83, s82
	v_mov_b32_e32 v15, v2
	s_add_nc_u64 s[84:85], s[40:41], s[82:83]
	s_delay_alu instid0(VALU_DEP_2)
	v_add_nc_u64_e32 v[8:9], v[24:25], v[16:17]
	s_xor_b64 s[84:85], s[84:85], s[82:83]
	v_mov_b32_e32 v21, v2
	s_cvt_f32_u32 s0, s84
	s_cvt_f32_u32 s2, s85
	s_sub_nc_u64 s[92:93], 0, s[84:85]
	s_delay_alu instid0(VALU_DEP_2) | instskip(NEXT) | instid1(SALU_CYCLE_1)
	v_xor_b32_e32 v10, v8, v16
	s_fmamk_f32 s0, s2, 0x4f800000, s0
	v_xor_b32_e32 v14, v9, v16
	s_delay_alu instid0(SALU_CYCLE_2) | instskip(NEXT) | instid1(TRANS32_DEP_1)
	v_s_rcp_f32 s0, s0
	s_mul_f32 s0, s0, 0x5f7ffffc
	s_delay_alu instid0(SALU_CYCLE_3) | instskip(NEXT) | instid1(SALU_CYCLE_3)
	s_mul_f32 s2, s0, 0x2f800000
	s_trunc_f32 s2, s2
	s_delay_alu instid0(SALU_CYCLE_3) | instskip(SKIP_1) | instid1(SALU_CYCLE_2)
	s_fmamk_f32 s0, s2, 0xcf800000, s0
	s_cvt_u32_f32 s91, s2
	s_cvt_u32_f32 s90, s0
	s_delay_alu instid0(SALU_CYCLE_3) | instskip(NEXT) | instid1(SALU_CYCLE_1)
	s_mul_u64 s[94:95], s[92:93], s[90:91]
	s_mul_hi_u32 s97, s90, s95
	s_mul_i32 s96, s90, s95
	s_mul_hi_u32 s2, s90, s94
	s_mul_i32 s83, s91, s94
	s_add_nc_u64 s[96:97], s[2:3], s[96:97]
	s_mul_hi_u32 s0, s91, s94
	s_mul_hi_u32 s89, s91, s95
	s_add_co_u32 s2, s96, s83
	s_add_co_ci_u32 s2, s97, s0
	s_mul_i32 s94, s91, s95
	s_add_co_ci_u32 s95, s89, 0
	s_delay_alu instid0(SALU_CYCLE_1) | instskip(NEXT) | instid1(SALU_CYCLE_1)
	s_add_nc_u64 s[94:95], s[2:3], s[94:95]
	s_add_co_u32 s90, s90, s94
	s_cselect_b32 s0, -1, 0
	s_delay_alu instid0(SALU_CYCLE_1) | instskip(SKIP_1) | instid1(SALU_CYCLE_1)
	s_cmp_lg_u32 s0, 0
	s_add_co_ci_u32 s91, s91, s95
	s_mul_u64 s[92:93], s[92:93], s[90:91]
	s_delay_alu instid0(SALU_CYCLE_1)
	s_mul_hi_u32 s95, s90, s93
	s_mul_i32 s94, s90, s93
	s_mul_hi_u32 s2, s90, s92
	s_mul_i32 s83, s91, s92
	s_add_nc_u64 s[94:95], s[2:3], s[94:95]
	s_mul_hi_u32 s0, s91, s92
	s_mul_hi_u32 s89, s91, s93
	s_add_co_u32 s2, s94, s83
	s_add_co_ci_u32 s2, s95, s0
	s_mul_i32 s92, s91, s93
	s_add_co_ci_u32 s93, s89, 0
	s_delay_alu instid0(SALU_CYCLE_1) | instskip(NEXT) | instid1(SALU_CYCLE_1)
	s_add_nc_u64 s[92:93], s[2:3], s[92:93]
	s_add_co_u32 s0, s90, s92
	s_cselect_b32 s2, -1, 0
	v_nop
	v_mul_hi_u32 v20, v10, s0
	s_cmp_lg_u32 s2, 0
	s_add_co_ci_u32 s2, s91, s93
	s_and_b64 s[90:91], s[0:1], s[76:77]
	v_mul_u64_e32 v[12:13], s[2:3], v[10:11]
	v_mul_u64_e32 v[8:9], s[90:91], v[14:15]
	;; [unrolled: 1-line block ×3, first 2 shown]
	s_delay_alu instid0(VALU_DEP_3) | instskip(NEXT) | instid1(VALU_DEP_1)
	v_add_nc_u64_e32 v[12:13], v[20:21], v[12:13]
	v_add_co_u32 v3, vcc_lo, v12, v8
	s_delay_alu instid0(VALU_DEP_2) | instskip(NEXT) | instid1(VALU_DEP_4)
	v_add_co_ci_u32_e32 v20, vcc_lo, v13, v9, vcc_lo
	v_add_co_ci_u32_e32 v19, vcc_lo, 0, v19, vcc_lo
	s_delay_alu instid0(VALU_DEP_1) | instskip(NEXT) | instid1(VALU_DEP_1)
	v_add_nc_u64_e32 v[8:9], v[20:21], v[18:19]
	v_mul_u64_e32 v[12:13], s[84:85], v[8:9]
	s_delay_alu instid0(VALU_DEP_1) | instskip(NEXT) | instid1(VALU_DEP_2)
	v_sub_nc_u32_e32 v3, v14, v13
	v_sub_co_u32 v10, vcc_lo, v10, v12
	s_delay_alu instid0(VALU_DEP_1) | instskip(NEXT) | instid1(VALU_DEP_3)
	v_sub_co_ci_u32_e64 v14, null, v14, v13, vcc_lo
	v_subrev_co_ci_u32_e64 v3, null, s85, v3, vcc_lo
	s_delay_alu instid0(VALU_DEP_3) | instskip(NEXT) | instid1(VALU_DEP_1)
	v_sub_co_u32 v11, s0, v10, s84
	v_subrev_co_ci_u32_e64 v3, null, 0, v3, s0
	s_delay_alu instid0(VALU_DEP_2) | instskip(SKIP_1) | instid1(VALU_DEP_3)
	v_cmp_le_u32_e32 vcc_lo, s84, v11
	v_cndmask_b32_e64 v11, 0, -1, vcc_lo
	v_cmp_le_u32_e32 vcc_lo, s85, v3
	v_cndmask_b32_e64 v12, 0, -1, vcc_lo
	;; [unrolled: 2-line block ×4, first 2 shown]
	v_cmp_eq_u32_e32 vcc_lo, s85, v3
	v_cndmask_b32_e32 v3, v12, v11, vcc_lo
	v_cmp_eq_u32_e32 vcc_lo, s85, v14
	v_add_nc_u64_e32 v[10:11], 2, v[8:9]
	v_add_nc_u64_e32 v[12:13], 1, v[8:9]
	v_cndmask_b32_e32 v14, v17, v15, vcc_lo
	v_cmp_ne_u32_e32 vcc_lo, 0, v3
	s_delay_alu instid0(VALU_DEP_2) | instskip(NEXT) | instid1(VALU_DEP_4)
	v_cmp_ne_u32_e64 s0, 0, v14
	v_dual_cndmask_b32 v3, v13, v11, vcc_lo :: v_dual_cndmask_b32 v11, v12, v10, vcc_lo
	s_delay_alu instid0(VALU_DEP_1) | instskip(NEXT) | instid1(VALU_DEP_1)
	v_dual_cndmask_b32 v3, v9, v3, s0 :: v_dual_bitop2_b32 v10, s82, v16 bitop3:0x14
	v_dual_cndmask_b32 v8, v8, v11, s0 :: v_dual_mov_b32 v11, v10
	s_delay_alu instid0(VALU_DEP_2) | instskip(NEXT) | instid1(VALU_DEP_2)
	v_xor_b32_e32 v9, v3, v10
	v_xor_b32_e32 v8, v8, v10
	s_delay_alu instid0(VALU_DEP_1)
	v_sub_nc_u64_e32 v[8:9], v[8:9], v[10:11]
.LBB23_9:                               ;   in Loop: Header=BB23_3 Depth=1
	s_or_saveexec_b32 s0, s88
	v_cvt_f32_u32_e32 v14, s40
	s_xor_b32 exec_lo, exec_lo, s0
	s_cbranch_execz .LBB23_11
; %bb.10:                               ;   in Loop: Header=BB23_3 Depth=1
	s_delay_alu instid0(VALU_DEP_1) | instskip(SKIP_2) | instid1(TRANS32_DEP_1)
	v_rcp_iflag_f32_e32 v3, v14
	s_sub_co_i32 s2, 0, s40
	v_nop
	v_mul_f32_e32 v3, 0x4f7ffffe, v3
	s_delay_alu instid0(VALU_DEP_1) | instskip(NEXT) | instid1(VALU_DEP_1)
	v_cvt_u32_f32_e32 v3, v3
	v_mul_lo_u32 v8, s2, v3
	s_delay_alu instid0(VALU_DEP_1) | instskip(NEXT) | instid1(VALU_DEP_1)
	v_mul_hi_u32 v8, v3, v8
	v_add_nc_u32_e32 v3, v3, v8
	s_delay_alu instid0(VALU_DEP_1) | instskip(NEXT) | instid1(VALU_DEP_1)
	v_mul_hi_u32 v3, v24, v3
	v_mul_lo_u32 v8, v3, s40
	s_delay_alu instid0(VALU_DEP_1) | instskip(NEXT) | instid1(VALU_DEP_1)
	v_dual_add_nc_u32 v9, 1, v3 :: v_dual_sub_nc_u32 v8, v24, v8
	v_subrev_nc_u32_e32 v10, s40, v8
	v_cmp_le_u32_e32 vcc_lo, s40, v8
	s_delay_alu instid0(VALU_DEP_2) | instskip(NEXT) | instid1(VALU_DEP_1)
	v_dual_cndmask_b32 v8, v8, v10 :: v_dual_cndmask_b32 v3, v3, v9
	v_cmp_le_u32_e32 vcc_lo, s40, v8
	s_delay_alu instid0(VALU_DEP_2) | instskip(NEXT) | instid1(VALU_DEP_1)
	v_add_nc_u32_e32 v9, 1, v3
	v_dual_cndmask_b32 v8, v3, v9 :: v_dual_mov_b32 v9, v2
.LBB23_11:                              ;   in Loop: Header=BB23_3 Depth=1
	s_or_b32 exec_lo, exec_lo, s0
	s_delay_alu instid0(VALU_DEP_1) | instskip(SKIP_2) | instid1(VALU_DEP_2)
	v_mul_u64_e32 v[10:11], s[40:41], v[8:9]
	v_mul_u64_e32 v[8:9], s[12:13], v[8:9]
	s_mov_b32 s0, exec_lo
	v_sub_nc_u64_e32 v[10:11], v[4:5], v[10:11]
	s_delay_alu instid0(VALU_DEP_2) | instskip(NEXT) | instid1(VALU_DEP_2)
	v_lshl_add_u64 v[8:9], v[8:9], 2, s[34:35]
	v_add_nc_u64_e32 v[10:11], v[0:1], v[10:11]
	s_delay_alu instid0(VALU_DEP_1) | instskip(NEXT) | instid1(VALU_DEP_1)
	v_mul_u64_e32 v[10:11], s[14:15], v[10:11]
	v_lshl_add_u64 v[8:9], v[10:11], 2, v[8:9]
	v_mul_u64_e32 v[10:11], 3, v[6:7]
	global_load_b32 v33, v[8:9], off
                                        ; implicit-def: $vgpr8_vgpr9
	v_mad_nc_u64_u32 v[6:7], s4, v10, s[4:5]
	s_delay_alu instid0(VALU_DEP_1) | instskip(NEXT) | instid1(VALU_DEP_1)
	v_mad_u32 v3, s5, v10, v7
	v_mad_u32 v7, s4, v11, v3
	s_delay_alu instid0(VALU_DEP_1) | instskip(NEXT) | instid1(VALU_DEP_1)
	v_add_nc_u64_e32 v[26:27], v[0:1], v[6:7]
	v_dual_ashrrev_i32 v18, 31, v27 :: v_dual_bitop2_b32 v3, s41, v27 bitop3:0x54
	s_wait_xcnt 0x0
	s_delay_alu instid0(VALU_DEP_1)
	v_cmpx_ne_u64_e32 0, v[2:3]
	s_xor_b32 s88, exec_lo, s0
	s_cbranch_execz .LBB23_13
; %bb.12:                               ;   in Loop: Header=BB23_3 Depth=1
	s_ashr_i32 s82, s41, 31
	v_dual_mov_b32 v19, v18 :: v_dual_mov_b32 v13, v2
	s_mov_b32 s83, s82
	v_mov_b32_e32 v23, v2
	s_add_nc_u64 s[84:85], s[40:41], s[82:83]
	s_delay_alu instid0(VALU_DEP_2)
	v_add_nc_u64_e32 v[8:9], v[26:27], v[18:19]
	s_xor_b64 s[84:85], s[84:85], s[82:83]
	v_mov_b32_e32 v31, v2
	s_cvt_f32_u32 s0, s84
	s_cvt_f32_u32 s2, s85
	s_sub_nc_u64 s[92:93], 0, s[84:85]
	s_delay_alu instid0(VALU_DEP_2) | instskip(NEXT) | instid1(SALU_CYCLE_1)
	v_xor_b32_e32 v12, v8, v18
	s_fmamk_f32 s0, s2, 0x4f800000, s0
	v_xor_b32_e32 v22, v9, v18
	s_delay_alu instid0(SALU_CYCLE_2) | instskip(NEXT) | instid1(TRANS32_DEP_1)
	v_s_rcp_f32 s0, s0
	s_mul_f32 s0, s0, 0x5f7ffffc
	s_delay_alu instid0(SALU_CYCLE_3) | instskip(NEXT) | instid1(SALU_CYCLE_3)
	s_mul_f32 s2, s0, 0x2f800000
	s_trunc_f32 s2, s2
	s_delay_alu instid0(SALU_CYCLE_3) | instskip(SKIP_1) | instid1(SALU_CYCLE_2)
	s_fmamk_f32 s0, s2, 0xcf800000, s0
	s_cvt_u32_f32 s91, s2
	s_cvt_u32_f32 s90, s0
	s_delay_alu instid0(SALU_CYCLE_3) | instskip(NEXT) | instid1(SALU_CYCLE_1)
	s_mul_u64 s[94:95], s[92:93], s[90:91]
	s_mul_hi_u32 s97, s90, s95
	s_mul_i32 s96, s90, s95
	s_mul_hi_u32 s2, s90, s94
	s_mul_i32 s83, s91, s94
	s_add_nc_u64 s[96:97], s[2:3], s[96:97]
	s_mul_hi_u32 s0, s91, s94
	s_mul_hi_u32 s89, s91, s95
	s_add_co_u32 s2, s96, s83
	s_add_co_ci_u32 s2, s97, s0
	s_mul_i32 s94, s91, s95
	s_add_co_ci_u32 s95, s89, 0
	s_delay_alu instid0(SALU_CYCLE_1) | instskip(NEXT) | instid1(SALU_CYCLE_1)
	s_add_nc_u64 s[94:95], s[2:3], s[94:95]
	s_add_co_u32 s90, s90, s94
	s_cselect_b32 s0, -1, 0
	s_delay_alu instid0(SALU_CYCLE_1) | instskip(SKIP_1) | instid1(SALU_CYCLE_1)
	s_cmp_lg_u32 s0, 0
	s_add_co_ci_u32 s91, s91, s95
	s_mul_u64 s[92:93], s[92:93], s[90:91]
	s_delay_alu instid0(SALU_CYCLE_1)
	s_mul_hi_u32 s95, s90, s93
	s_mul_i32 s94, s90, s93
	s_mul_hi_u32 s2, s90, s92
	s_mul_i32 s83, s91, s92
	s_add_nc_u64 s[94:95], s[2:3], s[94:95]
	s_mul_hi_u32 s0, s91, s92
	s_mul_hi_u32 s89, s91, s93
	s_add_co_u32 s2, s94, s83
	s_add_co_ci_u32 s2, s95, s0
	s_mul_i32 s92, s91, s93
	s_add_co_ci_u32 s93, s89, 0
	s_delay_alu instid0(SALU_CYCLE_1) | instskip(NEXT) | instid1(SALU_CYCLE_1)
	s_add_nc_u64 s[92:93], s[2:3], s[92:93]
	s_add_co_u32 s0, s90, s92
	s_cselect_b32 s2, -1, 0
	v_nop
	v_mul_hi_u32 v30, v12, s0
	s_cmp_lg_u32 s2, 0
	s_add_co_ci_u32 s2, s91, s93
	s_and_b64 s[90:91], s[0:1], s[76:77]
	v_mul_u64_e32 v[20:21], s[2:3], v[12:13]
	v_mul_u64_e32 v[8:9], s[90:91], v[22:23]
	;; [unrolled: 1-line block ×3, first 2 shown]
	s_delay_alu instid0(VALU_DEP_3) | instskip(NEXT) | instid1(VALU_DEP_1)
	v_add_nc_u64_e32 v[20:21], v[30:31], v[20:21]
	v_add_co_u32 v3, vcc_lo, v20, v8
	s_delay_alu instid0(VALU_DEP_2) | instskip(NEXT) | instid1(VALU_DEP_4)
	v_add_co_ci_u32_e32 v30, vcc_lo, v21, v9, vcc_lo
	v_add_co_ci_u32_e32 v29, vcc_lo, 0, v29, vcc_lo
	s_delay_alu instid0(VALU_DEP_1) | instskip(NEXT) | instid1(VALU_DEP_1)
	v_add_nc_u64_e32 v[8:9], v[30:31], v[28:29]
	v_mul_u64_e32 v[20:21], s[84:85], v[8:9]
	s_delay_alu instid0(VALU_DEP_1) | instskip(NEXT) | instid1(VALU_DEP_2)
	v_sub_nc_u32_e32 v3, v22, v21
	v_sub_co_u32 v12, vcc_lo, v12, v20
	s_delay_alu instid0(VALU_DEP_1) | instskip(NEXT) | instid1(VALU_DEP_3)
	v_sub_co_ci_u32_e64 v15, null, v22, v21, vcc_lo
	v_subrev_co_ci_u32_e64 v3, null, s85, v3, vcc_lo
	s_delay_alu instid0(VALU_DEP_3) | instskip(SKIP_1) | instid1(VALU_DEP_3)
	v_sub_co_u32 v13, s0, v12, s84
	v_add_nc_u64_e32 v[20:21], 1, v[8:9]
	v_subrev_co_ci_u32_e64 v3, null, 0, v3, s0
	s_delay_alu instid0(VALU_DEP_3) | instskip(SKIP_1) | instid1(VALU_DEP_3)
	v_cmp_le_u32_e32 vcc_lo, s84, v13
	v_cndmask_b32_e64 v13, 0, -1, vcc_lo
	v_cmp_le_u32_e32 vcc_lo, s85, v3
	v_cndmask_b32_e64 v17, 0, -1, vcc_lo
	;; [unrolled: 2-line block ×4, first 2 shown]
	v_cmp_eq_u32_e32 vcc_lo, s85, v3
	v_cndmask_b32_e32 v3, v17, v13, vcc_lo
	v_cmp_eq_u32_e32 vcc_lo, s85, v15
	v_add_nc_u64_e32 v[12:13], 2, v[8:9]
	v_cndmask_b32_e32 v15, v22, v19, vcc_lo
	s_delay_alu instid0(VALU_DEP_4) | instskip(NEXT) | instid1(VALU_DEP_2)
	v_cmp_ne_u32_e32 vcc_lo, 0, v3
	v_cmp_ne_u32_e64 s0, 0, v15
	s_delay_alu instid0(VALU_DEP_4) | instskip(NEXT) | instid1(VALU_DEP_1)
	v_dual_cndmask_b32 v3, v21, v13, vcc_lo :: v_dual_cndmask_b32 v13, v20, v12, vcc_lo
	v_dual_cndmask_b32 v3, v9, v3, s0 :: v_dual_bitop2_b32 v12, s82, v18 bitop3:0x14
	s_delay_alu instid0(VALU_DEP_2) | instskip(NEXT) | instid1(VALU_DEP_2)
	v_cndmask_b32_e64 v8, v8, v13, s0
	v_dual_mov_b32 v13, v12 :: v_dual_bitop2_b32 v9, v3, v12 bitop3:0x14
	s_delay_alu instid0(VALU_DEP_2) | instskip(NEXT) | instid1(VALU_DEP_1)
	v_xor_b32_e32 v8, v8, v12
	v_sub_nc_u64_e32 v[8:9], v[8:9], v[12:13]
.LBB23_13:                              ;   in Loop: Header=BB23_3 Depth=1
	s_and_not1_saveexec_b32 s0, s88
	s_cbranch_execz .LBB23_15
; %bb.14:                               ;   in Loop: Header=BB23_3 Depth=1
	v_rcp_iflag_f32_e32 v3, v14
	s_sub_co_i32 s2, 0, s40
	v_nop
	s_delay_alu instid0(TRANS32_DEP_1) | instskip(NEXT) | instid1(VALU_DEP_1)
	v_mul_f32_e32 v3, 0x4f7ffffe, v3
	v_cvt_u32_f32_e32 v3, v3
	s_delay_alu instid0(VALU_DEP_1) | instskip(NEXT) | instid1(VALU_DEP_1)
	v_mul_lo_u32 v8, s2, v3
	v_mul_hi_u32 v8, v3, v8
	s_delay_alu instid0(VALU_DEP_1) | instskip(NEXT) | instid1(VALU_DEP_1)
	v_add_nc_u32_e32 v3, v3, v8
	v_mul_hi_u32 v3, v26, v3
	s_delay_alu instid0(VALU_DEP_1) | instskip(NEXT) | instid1(VALU_DEP_1)
	v_mul_lo_u32 v8, v3, s40
	v_sub_nc_u32_e32 v8, v26, v8
	s_delay_alu instid0(VALU_DEP_1) | instskip(SKIP_1) | instid1(VALU_DEP_2)
	v_subrev_nc_u32_e32 v12, s40, v8
	v_cmp_le_u32_e32 vcc_lo, s40, v8
	v_dual_cndmask_b32 v8, v8, v12 :: v_dual_add_nc_u32 v9, 1, v3
	s_delay_alu instid0(VALU_DEP_1) | instskip(NEXT) | instid1(VALU_DEP_2)
	v_cndmask_b32_e32 v3, v3, v9, vcc_lo
	v_cmp_le_u32_e32 vcc_lo, s40, v8
	s_delay_alu instid0(VALU_DEP_2) | instskip(NEXT) | instid1(VALU_DEP_1)
	v_add_nc_u32_e32 v9, 1, v3
	v_dual_cndmask_b32 v8, v3, v9 :: v_dual_mov_b32 v9, v2
.LBB23_15:                              ;   in Loop: Header=BB23_3 Depth=1
	s_or_b32 exec_lo, exec_lo, s0
	s_delay_alu instid0(VALU_DEP_1) | instskip(SKIP_2) | instid1(VALU_DEP_2)
	v_mul_u64_e32 v[12:13], s[40:41], v[8:9]
	v_mul_u64_e32 v[8:9], s[12:13], v[8:9]
	s_mov_b32 s0, exec_lo
	v_sub_nc_u64_e32 v[12:13], v[6:7], v[12:13]
	s_delay_alu instid0(VALU_DEP_2) | instskip(NEXT) | instid1(VALU_DEP_2)
	v_lshl_add_u64 v[8:9], v[8:9], 2, s[34:35]
	v_add_nc_u64_e32 v[12:13], v[0:1], v[12:13]
	s_delay_alu instid0(VALU_DEP_1) | instskip(NEXT) | instid1(VALU_DEP_1)
	v_mul_u64_e32 v[12:13], s[14:15], v[12:13]
	v_lshl_add_u64 v[8:9], v[12:13], 2, v[8:9]
                                        ; implicit-def: $vgpr12_vgpr13
	global_load_b32 v34, v[8:9], off
	s_wait_xcnt 0x0
	v_add_nc_u64_e32 v[8:9], 2, v[10:11]
	s_delay_alu instid0(VALU_DEP_1) | instskip(NEXT) | instid1(VALU_DEP_1)
	v_mul_u64_e32 v[8:9], s[4:5], v[8:9]
	v_add_nc_u64_e32 v[28:29], v[0:1], v[8:9]
	s_delay_alu instid0(VALU_DEP_1) | instskip(NEXT) | instid1(VALU_DEP_1)
	v_dual_ashrrev_i32 v20, 31, v29 :: v_dual_bitop2_b32 v3, s41, v29 bitop3:0x54
	v_cmpx_ne_u64_e32 0, v[2:3]
	s_xor_b32 s88, exec_lo, s0
	s_cbranch_execz .LBB23_17
; %bb.16:                               ;   in Loop: Header=BB23_3 Depth=1
	s_ashr_i32 s82, s41, 31
	v_dual_mov_b32 v21, v20 :: v_dual_mov_b32 v23, v2
	s_mov_b32 s83, s82
	v_mov_b32_e32 v37, v2
	s_add_nc_u64 s[84:85], s[40:41], s[82:83]
	s_delay_alu instid0(VALU_DEP_2)
	v_add_nc_u64_e32 v[12:13], v[28:29], v[20:21]
	s_xor_b64 s[84:85], s[84:85], s[82:83]
	v_mov_b32_e32 v41, v2
	s_cvt_f32_u32 s0, s84
	s_cvt_f32_u32 s2, s85
	s_sub_nc_u64 s[92:93], 0, s[84:85]
	s_delay_alu instid0(VALU_DEP_2) | instskip(NEXT) | instid1(SALU_CYCLE_1)
	v_xor_b32_e32 v22, v12, v20
	s_fmamk_f32 s0, s2, 0x4f800000, s0
	v_xor_b32_e32 v36, v13, v20
	s_delay_alu instid0(SALU_CYCLE_2) | instskip(NEXT) | instid1(TRANS32_DEP_1)
	v_s_rcp_f32 s0, s0
	s_mul_f32 s0, s0, 0x5f7ffffc
	s_delay_alu instid0(SALU_CYCLE_3) | instskip(NEXT) | instid1(SALU_CYCLE_3)
	s_mul_f32 s2, s0, 0x2f800000
	s_trunc_f32 s2, s2
	s_delay_alu instid0(SALU_CYCLE_3) | instskip(SKIP_1) | instid1(SALU_CYCLE_2)
	s_fmamk_f32 s0, s2, 0xcf800000, s0
	s_cvt_u32_f32 s91, s2
	s_cvt_u32_f32 s90, s0
	s_delay_alu instid0(SALU_CYCLE_3) | instskip(NEXT) | instid1(SALU_CYCLE_1)
	s_mul_u64 s[94:95], s[92:93], s[90:91]
	s_mul_hi_u32 s97, s90, s95
	s_mul_i32 s96, s90, s95
	s_mul_hi_u32 s2, s90, s94
	s_mul_i32 s83, s91, s94
	s_add_nc_u64 s[96:97], s[2:3], s[96:97]
	s_mul_hi_u32 s0, s91, s94
	s_mul_hi_u32 s89, s91, s95
	s_add_co_u32 s2, s96, s83
	s_add_co_ci_u32 s2, s97, s0
	s_mul_i32 s94, s91, s95
	s_add_co_ci_u32 s95, s89, 0
	s_delay_alu instid0(SALU_CYCLE_1) | instskip(NEXT) | instid1(SALU_CYCLE_1)
	s_add_nc_u64 s[94:95], s[2:3], s[94:95]
	s_add_co_u32 s90, s90, s94
	s_cselect_b32 s0, -1, 0
	s_delay_alu instid0(SALU_CYCLE_1) | instskip(SKIP_1) | instid1(SALU_CYCLE_1)
	s_cmp_lg_u32 s0, 0
	s_add_co_ci_u32 s91, s91, s95
	s_mul_u64 s[92:93], s[92:93], s[90:91]
	s_delay_alu instid0(SALU_CYCLE_1)
	s_mul_hi_u32 s95, s90, s93
	s_mul_i32 s94, s90, s93
	s_mul_hi_u32 s2, s90, s92
	s_mul_i32 s83, s91, s92
	s_add_nc_u64 s[94:95], s[2:3], s[94:95]
	s_mul_hi_u32 s0, s91, s92
	s_mul_hi_u32 s89, s91, s93
	s_add_co_u32 s2, s94, s83
	s_add_co_ci_u32 s2, s95, s0
	s_mul_i32 s92, s91, s93
	s_add_co_ci_u32 s93, s89, 0
	s_delay_alu instid0(SALU_CYCLE_1) | instskip(NEXT) | instid1(SALU_CYCLE_1)
	s_add_nc_u64 s[92:93], s[2:3], s[92:93]
	s_add_co_u32 s0, s90, s92
	s_cselect_b32 s2, -1, 0
	v_nop
	v_mul_hi_u32 v40, v22, s0
	s_cmp_lg_u32 s2, 0
	s_add_co_ci_u32 s2, s91, s93
	s_and_b64 s[90:91], s[0:1], s[76:77]
	v_mul_u64_e32 v[30:31], s[2:3], v[22:23]
	v_mul_u64_e32 v[12:13], s[90:91], v[36:37]
	;; [unrolled: 1-line block ×3, first 2 shown]
	s_delay_alu instid0(VALU_DEP_3) | instskip(NEXT) | instid1(VALU_DEP_1)
	v_add_nc_u64_e32 v[30:31], v[40:41], v[30:31]
	v_add_co_u32 v3, vcc_lo, v30, v12
	s_delay_alu instid0(VALU_DEP_2) | instskip(NEXT) | instid1(VALU_DEP_4)
	v_add_co_ci_u32_e32 v40, vcc_lo, v31, v13, vcc_lo
	v_add_co_ci_u32_e32 v39, vcc_lo, 0, v39, vcc_lo
	s_delay_alu instid0(VALU_DEP_1) | instskip(NEXT) | instid1(VALU_DEP_1)
	v_add_nc_u64_e32 v[12:13], v[40:41], v[38:39]
	v_mul_u64_e32 v[30:31], s[84:85], v[12:13]
	s_delay_alu instid0(VALU_DEP_1) | instskip(SKIP_1) | instid1(VALU_DEP_3)
	v_sub_co_u32 v15, vcc_lo, v22, v30
	v_add_nc_u64_e32 v[22:23], 2, v[12:13]
	v_sub_nc_u32_e32 v3, v36, v31
	v_sub_co_ci_u32_e64 v19, null, v36, v31, vcc_lo
	s_delay_alu instid0(VALU_DEP_4) | instskip(NEXT) | instid1(VALU_DEP_3)
	v_sub_co_u32 v17, s0, v15, s84
	v_subrev_co_ci_u32_e64 v3, null, s85, v3, vcc_lo
	v_add_nc_u64_e32 v[30:31], 1, v[12:13]
	s_delay_alu instid0(VALU_DEP_3) | instskip(NEXT) | instid1(VALU_DEP_3)
	v_cmp_le_u32_e32 vcc_lo, s84, v17
	v_subrev_co_ci_u32_e64 v3, null, 0, v3, s0
	v_cndmask_b32_e64 v17, 0, -1, vcc_lo
	s_delay_alu instid0(VALU_DEP_2)
	v_cmp_le_u32_e32 vcc_lo, s85, v3
	v_cndmask_b32_e64 v21, 0, -1, vcc_lo
	v_cmp_le_u32_e32 vcc_lo, s84, v15
	v_cndmask_b32_e64 v15, 0, -1, vcc_lo
	v_cmp_le_u32_e32 vcc_lo, s85, v19
	v_cndmask_b32_e64 v35, 0, -1, vcc_lo
	v_cmp_eq_u32_e32 vcc_lo, s85, v3
	v_cndmask_b32_e32 v3, v21, v17, vcc_lo
	v_cmp_eq_u32_e32 vcc_lo, s85, v19
	s_delay_alu instid0(VALU_DEP_4) | instskip(NEXT) | instid1(VALU_DEP_3)
	v_cndmask_b32_e32 v15, v35, v15, vcc_lo
	v_cmp_ne_u32_e32 vcc_lo, 0, v3
	s_delay_alu instid0(VALU_DEP_2) | instskip(SKIP_1) | instid1(VALU_DEP_1)
	v_cmp_ne_u32_e64 s0, 0, v15
	v_dual_cndmask_b32 v3, v31, v23, vcc_lo :: v_dual_cndmask_b32 v15, v30, v22, vcc_lo
	v_dual_cndmask_b32 v3, v13, v3, s0 :: v_dual_bitop2_b32 v22, s82, v20 bitop3:0x14
	s_delay_alu instid0(VALU_DEP_1) | instskip(NEXT) | instid1(VALU_DEP_2)
	v_dual_mov_b32 v23, v22 :: v_dual_cndmask_b32 v12, v12, v15, s0
	v_xor_b32_e32 v13, v3, v22
	s_delay_alu instid0(VALU_DEP_2) | instskip(NEXT) | instid1(VALU_DEP_1)
	v_xor_b32_e32 v12, v12, v22
	v_sub_nc_u64_e32 v[12:13], v[12:13], v[22:23]
.LBB23_17:                              ;   in Loop: Header=BB23_3 Depth=1
	s_and_not1_saveexec_b32 s0, s88
	s_cbranch_execz .LBB23_19
; %bb.18:                               ;   in Loop: Header=BB23_3 Depth=1
	v_rcp_iflag_f32_e32 v3, v14
	s_sub_co_i32 s2, 0, s40
	v_nop
	s_delay_alu instid0(TRANS32_DEP_1) | instskip(NEXT) | instid1(VALU_DEP_1)
	v_mul_f32_e32 v3, 0x4f7ffffe, v3
	v_cvt_u32_f32_e32 v3, v3
	s_delay_alu instid0(VALU_DEP_1) | instskip(NEXT) | instid1(VALU_DEP_1)
	v_mul_lo_u32 v12, s2, v3
	v_mul_hi_u32 v12, v3, v12
	s_delay_alu instid0(VALU_DEP_1) | instskip(NEXT) | instid1(VALU_DEP_1)
	v_add_nc_u32_e32 v3, v3, v12
	v_mul_hi_u32 v3, v28, v3
	s_delay_alu instid0(VALU_DEP_1) | instskip(NEXT) | instid1(VALU_DEP_1)
	v_mul_lo_u32 v12, v3, s40
	v_dual_add_nc_u32 v13, 1, v3 :: v_dual_sub_nc_u32 v12, v28, v12
	s_delay_alu instid0(VALU_DEP_1) | instskip(SKIP_1) | instid1(VALU_DEP_2)
	v_subrev_nc_u32_e32 v15, s40, v12
	v_cmp_le_u32_e32 vcc_lo, s40, v12
	v_dual_cndmask_b32 v12, v12, v15 :: v_dual_cndmask_b32 v3, v3, v13
	s_delay_alu instid0(VALU_DEP_1) | instskip(NEXT) | instid1(VALU_DEP_2)
	v_cmp_le_u32_e32 vcc_lo, s40, v12
	v_add_nc_u32_e32 v13, 1, v3
	s_delay_alu instid0(VALU_DEP_1)
	v_dual_cndmask_b32 v12, v3, v13 :: v_dual_mov_b32 v13, v2
.LBB23_19:                              ;   in Loop: Header=BB23_3 Depth=1
	s_or_b32 exec_lo, exec_lo, s0
	s_delay_alu instid0(VALU_DEP_1) | instskip(SKIP_3) | instid1(VALU_DEP_1)
	v_mul_u64_e32 v[22:23], s[40:41], v[12:13]
	v_mul_u64_e32 v[12:13], s[12:13], v[12:13]
	v_add_nc_u64_e32 v[10:11], 3, v[10:11]
	s_mov_b32 s0, exec_lo
	v_mul_u64_e32 v[10:11], s[4:5], v[10:11]
	s_delay_alu instid0(VALU_DEP_4) | instskip(NEXT) | instid1(VALU_DEP_4)
	v_sub_nc_u64_e32 v[22:23], v[8:9], v[22:23]
	v_lshl_add_u64 v[12:13], v[12:13], 2, s[34:35]
	s_delay_alu instid0(VALU_DEP_2) | instskip(NEXT) | instid1(VALU_DEP_4)
	v_add_nc_u64_e32 v[22:23], v[0:1], v[22:23]
	v_add_nc_u64_e32 v[30:31], v[0:1], v[10:11]
	s_delay_alu instid0(VALU_DEP_2) | instskip(NEXT) | instid1(VALU_DEP_2)
	v_mul_u64_e32 v[22:23], s[14:15], v[22:23]
	v_or_b32_e32 v3, s41, v31
	s_delay_alu instid0(VALU_DEP_2)
	v_lshl_add_u64 v[12:13], v[22:23], 2, v[12:13]
	v_ashrrev_i32_e32 v22, 31, v31
	global_load_b32 v35, v[12:13], off
                                        ; implicit-def: $vgpr12_vgpr13
	s_wait_xcnt 0x0
	v_cmpx_ne_u64_e32 0, v[2:3]
	s_xor_b32 s88, exec_lo, s0
	s_cbranch_execz .LBB23_21
; %bb.20:                               ;   in Loop: Header=BB23_3 Depth=1
	s_ashr_i32 s82, s41, 31
	v_dual_mov_b32 v23, v22 :: v_dual_mov_b32 v15, v2
	s_mov_b32 s83, s82
	v_mov_b32_e32 v39, v2
	s_add_nc_u64 s[84:85], s[40:41], s[82:83]
	s_delay_alu instid0(VALU_DEP_2)
	v_add_nc_u64_e32 v[12:13], v[30:31], v[22:23]
	s_xor_b64 s[84:85], s[84:85], s[82:83]
	v_mov_b32_e32 v43, v2
	s_cvt_f32_u32 s0, s84
	s_cvt_f32_u32 s2, s85
	s_sub_nc_u64 s[92:93], 0, s[84:85]
	s_delay_alu instid0(VALU_DEP_2) | instskip(NEXT) | instid1(SALU_CYCLE_1)
	v_xor_b32_e32 v14, v12, v22
	s_fmamk_f32 s0, s2, 0x4f800000, s0
	v_xor_b32_e32 v38, v13, v22
	s_delay_alu instid0(SALU_CYCLE_2) | instskip(NEXT) | instid1(TRANS32_DEP_1)
	v_s_rcp_f32 s0, s0
	s_mul_f32 s0, s0, 0x5f7ffffc
	s_delay_alu instid0(SALU_CYCLE_3) | instskip(NEXT) | instid1(SALU_CYCLE_3)
	s_mul_f32 s2, s0, 0x2f800000
	s_trunc_f32 s2, s2
	s_delay_alu instid0(SALU_CYCLE_3) | instskip(SKIP_1) | instid1(SALU_CYCLE_2)
	s_fmamk_f32 s0, s2, 0xcf800000, s0
	s_cvt_u32_f32 s91, s2
	s_cvt_u32_f32 s90, s0
	s_delay_alu instid0(SALU_CYCLE_3) | instskip(NEXT) | instid1(SALU_CYCLE_1)
	s_mul_u64 s[94:95], s[92:93], s[90:91]
	s_mul_hi_u32 s97, s90, s95
	s_mul_i32 s96, s90, s95
	s_mul_hi_u32 s2, s90, s94
	s_mul_i32 s83, s91, s94
	s_add_nc_u64 s[96:97], s[2:3], s[96:97]
	s_mul_hi_u32 s0, s91, s94
	s_mul_hi_u32 s89, s91, s95
	s_add_co_u32 s2, s96, s83
	s_add_co_ci_u32 s2, s97, s0
	s_mul_i32 s94, s91, s95
	s_add_co_ci_u32 s95, s89, 0
	s_delay_alu instid0(SALU_CYCLE_1) | instskip(NEXT) | instid1(SALU_CYCLE_1)
	s_add_nc_u64 s[94:95], s[2:3], s[94:95]
	s_add_co_u32 s90, s90, s94
	s_cselect_b32 s0, -1, 0
	s_delay_alu instid0(SALU_CYCLE_1) | instskip(SKIP_1) | instid1(SALU_CYCLE_1)
	s_cmp_lg_u32 s0, 0
	s_add_co_ci_u32 s91, s91, s95
	s_mul_u64 s[92:93], s[92:93], s[90:91]
	s_delay_alu instid0(SALU_CYCLE_1)
	s_mul_hi_u32 s95, s90, s93
	s_mul_i32 s94, s90, s93
	s_mul_hi_u32 s2, s90, s92
	s_mul_i32 s83, s91, s92
	s_add_nc_u64 s[94:95], s[2:3], s[94:95]
	s_mul_hi_u32 s0, s91, s92
	s_mul_hi_u32 s89, s91, s93
	s_add_co_u32 s2, s94, s83
	s_add_co_ci_u32 s2, s95, s0
	s_mul_i32 s92, s91, s93
	s_add_co_ci_u32 s93, s89, 0
	s_delay_alu instid0(SALU_CYCLE_1) | instskip(NEXT) | instid1(SALU_CYCLE_1)
	s_add_nc_u64 s[92:93], s[2:3], s[92:93]
	s_add_co_u32 s0, s90, s92
	s_cselect_b32 s2, -1, 0
	v_nop
	v_mul_hi_u32 v42, v14, s0
	s_cmp_lg_u32 s2, 0
	s_add_co_ci_u32 s2, s91, s93
	s_and_b64 s[90:91], s[0:1], s[76:77]
	v_mul_u64_e32 v[36:37], s[2:3], v[14:15]
	v_mul_u64_e32 v[12:13], s[90:91], v[38:39]
	;; [unrolled: 1-line block ×3, first 2 shown]
	s_delay_alu instid0(VALU_DEP_3) | instskip(NEXT) | instid1(VALU_DEP_1)
	v_add_nc_u64_e32 v[36:37], v[42:43], v[36:37]
	v_add_co_u32 v3, vcc_lo, v36, v12
	s_delay_alu instid0(VALU_DEP_2) | instskip(NEXT) | instid1(VALU_DEP_4)
	v_add_co_ci_u32_e32 v42, vcc_lo, v37, v13, vcc_lo
	v_add_co_ci_u32_e32 v41, vcc_lo, 0, v41, vcc_lo
	s_delay_alu instid0(VALU_DEP_1) | instskip(NEXT) | instid1(VALU_DEP_1)
	v_add_nc_u64_e32 v[12:13], v[42:43], v[40:41]
	v_mul_u64_e32 v[36:37], s[84:85], v[12:13]
	s_delay_alu instid0(VALU_DEP_1) | instskip(NEXT) | instid1(VALU_DEP_2)
	v_sub_nc_u32_e32 v3, v38, v37
	v_sub_co_u32 v14, vcc_lo, v14, v36
	s_delay_alu instid0(VALU_DEP_1) | instskip(NEXT) | instid1(VALU_DEP_3)
	v_sub_co_ci_u32_e64 v17, null, v38, v37, vcc_lo
	v_subrev_co_ci_u32_e64 v3, null, s85, v3, vcc_lo
	s_delay_alu instid0(VALU_DEP_3) | instskip(SKIP_1) | instid1(VALU_DEP_3)
	v_sub_co_u32 v15, s0, v14, s84
	v_add_nc_u64_e32 v[36:37], 1, v[12:13]
	v_subrev_co_ci_u32_e64 v3, null, 0, v3, s0
	s_delay_alu instid0(VALU_DEP_3) | instskip(SKIP_1) | instid1(VALU_DEP_3)
	v_cmp_le_u32_e32 vcc_lo, s84, v15
	v_cndmask_b32_e64 v15, 0, -1, vcc_lo
	v_cmp_le_u32_e32 vcc_lo, s85, v3
	v_cndmask_b32_e64 v19, 0, -1, vcc_lo
	;; [unrolled: 2-line block ×4, first 2 shown]
	v_cmp_eq_u32_e32 vcc_lo, s85, v3
	v_cndmask_b32_e32 v3, v19, v15, vcc_lo
	v_cmp_eq_u32_e32 vcc_lo, s85, v17
	v_add_nc_u64_e32 v[14:15], 2, v[12:13]
	v_cndmask_b32_e32 v17, v23, v21, vcc_lo
	s_delay_alu instid0(VALU_DEP_4) | instskip(NEXT) | instid1(VALU_DEP_3)
	v_cmp_ne_u32_e32 vcc_lo, 0, v3
	v_cndmask_b32_e32 v3, v37, v15, vcc_lo
	s_delay_alu instid0(VALU_DEP_3) | instskip(SKIP_1) | instid1(VALU_DEP_2)
	v_cmp_ne_u32_e64 s0, 0, v17
	v_cndmask_b32_e32 v15, v36, v14, vcc_lo
	v_dual_cndmask_b32 v3, v13, v3, s0 :: v_dual_bitop2_b32 v14, s82, v22 bitop3:0x14
	s_delay_alu instid0(VALU_DEP_1) | instskip(NEXT) | instid1(VALU_DEP_2)
	v_dual_cndmask_b32 v12, v12, v15, s0 :: v_dual_mov_b32 v15, v14
	v_xor_b32_e32 v13, v3, v14
	s_delay_alu instid0(VALU_DEP_2) | instskip(NEXT) | instid1(VALU_DEP_1)
	v_xor_b32_e32 v12, v12, v14
	v_sub_nc_u64_e32 v[12:13], v[12:13], v[14:15]
                                        ; implicit-def: $vgpr14
.LBB23_21:                              ;   in Loop: Header=BB23_3 Depth=1
	s_and_not1_saveexec_b32 s0, s88
	s_cbranch_execz .LBB23_23
; %bb.22:                               ;   in Loop: Header=BB23_3 Depth=1
	v_rcp_iflag_f32_e32 v3, v14
	s_sub_co_i32 s2, 0, s40
	v_nop
	s_delay_alu instid0(TRANS32_DEP_1) | instskip(NEXT) | instid1(VALU_DEP_1)
	v_mul_f32_e32 v3, 0x4f7ffffe, v3
	v_cvt_u32_f32_e32 v3, v3
	s_delay_alu instid0(VALU_DEP_1) | instskip(NEXT) | instid1(VALU_DEP_1)
	v_mul_lo_u32 v12, s2, v3
	v_mul_hi_u32 v12, v3, v12
	s_delay_alu instid0(VALU_DEP_1) | instskip(NEXT) | instid1(VALU_DEP_1)
	v_add_nc_u32_e32 v3, v3, v12
	v_mul_hi_u32 v3, v30, v3
	s_delay_alu instid0(VALU_DEP_1) | instskip(NEXT) | instid1(VALU_DEP_1)
	v_mul_lo_u32 v12, v3, s40
	v_dual_add_nc_u32 v13, 1, v3 :: v_dual_sub_nc_u32 v12, v30, v12
	s_delay_alu instid0(VALU_DEP_1) | instskip(SKIP_1) | instid1(VALU_DEP_2)
	v_subrev_nc_u32_e32 v14, s40, v12
	v_cmp_le_u32_e32 vcc_lo, s40, v12
	v_dual_cndmask_b32 v12, v12, v14 :: v_dual_cndmask_b32 v3, v3, v13
	s_delay_alu instid0(VALU_DEP_1) | instskip(NEXT) | instid1(VALU_DEP_2)
	v_cmp_le_u32_e32 vcc_lo, s40, v12
	v_add_nc_u32_e32 v13, 1, v3
	s_delay_alu instid0(VALU_DEP_1)
	v_dual_cndmask_b32 v12, v3, v13 :: v_dual_mov_b32 v13, v2
.LBB23_23:                              ;   in Loop: Header=BB23_3 Depth=1
	s_or_b32 exec_lo, exec_lo, s0
	s_delay_alu instid0(VALU_DEP_1) | instskip(SKIP_3) | instid1(VALU_DEP_3)
	v_mul_u64_e32 v[14:15], s[40:41], v[12:13]
	v_mul_u64_e32 v[12:13], s[12:13], v[12:13]
	v_or_b32_e32 v3, s49, v25
	s_mov_b32 s0, exec_lo
	v_sub_nc_u64_e32 v[14:15], v[10:11], v[14:15]
	s_delay_alu instid0(VALU_DEP_3) | instskip(NEXT) | instid1(VALU_DEP_2)
	v_lshl_add_u64 v[12:13], v[12:13], 2, s[34:35]
	v_add_nc_u64_e32 v[14:15], v[0:1], v[14:15]
	s_delay_alu instid0(VALU_DEP_1) | instskip(NEXT) | instid1(VALU_DEP_1)
	v_mul_u64_e32 v[14:15], s[14:15], v[14:15]
	v_lshl_add_u64 v[12:13], v[14:15], 2, v[12:13]
                                        ; implicit-def: $vgpr14_vgpr15
	global_load_b32 v12, v[12:13], off
	s_wait_xcnt 0x0
	v_cmpx_ne_u64_e32 0, v[2:3]
	s_xor_b32 s88, exec_lo, s0
	s_cbranch_execz .LBB23_25
; %bb.24:                               ;   in Loop: Header=BB23_3 Depth=1
	s_ashr_i32 s82, s49, 31
	v_mov_b32_e32 v17, v16
	s_mov_b32 s83, s82
	v_mov_b32_e32 v43, v2
	s_add_nc_u64 s[84:85], s[48:49], s[82:83]
	s_delay_alu instid0(VALU_DEP_2)
	v_add_nc_u64_e32 v[14:15], v[24:25], v[16:17]
	s_xor_b64 s[84:85], s[84:85], s[82:83]
	v_mov_b32_e32 v25, v2
	s_cvt_f32_u32 s0, s84
	s_cvt_f32_u32 s2, s85
	s_sub_nc_u64 s[92:93], 0, s[84:85]
	s_delay_alu instid0(VALU_DEP_2) | instskip(NEXT) | instid1(SALU_CYCLE_1)
	v_dual_mov_b32 v39, v2 :: v_dual_bitop2_b32 v38, v15, v16 bitop3:0x14
	s_fmamk_f32 s0, s2, 0x4f800000, s0
	v_xor_b32_e32 v24, v14, v16
	v_xor_b32_e32 v16, s82, v16
	s_delay_alu instid0(SALU_CYCLE_1) | instskip(NEXT) | instid1(TRANS32_DEP_1)
	v_s_rcp_f32 s0, s0
	s_mul_f32 s0, s0, 0x5f7ffffc
	s_delay_alu instid0(SALU_CYCLE_3) | instskip(NEXT) | instid1(SALU_CYCLE_3)
	s_mul_f32 s2, s0, 0x2f800000
	s_trunc_f32 s2, s2
	s_delay_alu instid0(SALU_CYCLE_3) | instskip(SKIP_1) | instid1(SALU_CYCLE_2)
	s_fmamk_f32 s0, s2, 0xcf800000, s0
	s_cvt_u32_f32 s91, s2
	s_cvt_u32_f32 s90, s0
	s_delay_alu instid0(SALU_CYCLE_3) | instskip(NEXT) | instid1(SALU_CYCLE_1)
	s_mul_u64 s[94:95], s[92:93], s[90:91]
	s_mul_hi_u32 s97, s90, s95
	s_mul_i32 s96, s90, s95
	s_mul_hi_u32 s2, s90, s94
	s_mul_i32 s83, s91, s94
	s_add_nc_u64 s[96:97], s[2:3], s[96:97]
	s_mul_hi_u32 s0, s91, s94
	s_mul_hi_u32 s89, s91, s95
	s_add_co_u32 s2, s96, s83
	s_add_co_ci_u32 s2, s97, s0
	s_mul_i32 s94, s91, s95
	s_add_co_ci_u32 s95, s89, 0
	s_delay_alu instid0(SALU_CYCLE_1) | instskip(NEXT) | instid1(SALU_CYCLE_1)
	s_add_nc_u64 s[94:95], s[2:3], s[94:95]
	s_add_co_u32 s90, s90, s94
	s_cselect_b32 s0, -1, 0
	s_delay_alu instid0(SALU_CYCLE_1) | instskip(SKIP_1) | instid1(SALU_CYCLE_1)
	s_cmp_lg_u32 s0, 0
	s_add_co_ci_u32 s91, s91, s95
	s_mul_u64 s[92:93], s[92:93], s[90:91]
	s_delay_alu instid0(SALU_CYCLE_1)
	s_mul_hi_u32 s95, s90, s93
	s_mul_i32 s94, s90, s93
	s_mul_hi_u32 s2, s90, s92
	s_mul_i32 s83, s91, s92
	s_add_nc_u64 s[94:95], s[2:3], s[94:95]
	s_mul_hi_u32 s0, s91, s92
	s_mul_hi_u32 s89, s91, s93
	s_add_co_u32 s2, s94, s83
	s_add_co_ci_u32 s2, s95, s0
	s_mul_i32 s92, s91, s93
	s_add_co_ci_u32 s93, s89, 0
	s_delay_alu instid0(SALU_CYCLE_1) | instskip(NEXT) | instid1(SALU_CYCLE_1)
	s_add_nc_u64 s[92:93], s[2:3], s[92:93]
	s_add_co_u32 s0, s90, s92
	s_cselect_b32 s2, -1, 0
	v_nop
	v_mul_hi_u32 v42, v24, s0
	s_cmp_lg_u32 s2, 0
	s_add_co_ci_u32 s2, s91, s93
	s_and_b64 s[90:91], s[0:1], s[76:77]
	v_mul_u64_e32 v[36:37], s[2:3], v[24:25]
	v_mul_u64_e32 v[14:15], s[90:91], v[38:39]
	;; [unrolled: 1-line block ×3, first 2 shown]
	s_delay_alu instid0(VALU_DEP_3) | instskip(NEXT) | instid1(VALU_DEP_1)
	v_add_nc_u64_e32 v[36:37], v[42:43], v[36:37]
	v_add_co_u32 v3, vcc_lo, v36, v14
	s_delay_alu instid0(VALU_DEP_2) | instskip(NEXT) | instid1(VALU_DEP_4)
	v_add_co_ci_u32_e32 v42, vcc_lo, v37, v15, vcc_lo
	v_add_co_ci_u32_e32 v41, vcc_lo, 0, v41, vcc_lo
	s_delay_alu instid0(VALU_DEP_1) | instskip(NEXT) | instid1(VALU_DEP_1)
	v_add_nc_u64_e32 v[14:15], v[42:43], v[40:41]
	v_mul_u64_e32 v[36:37], s[84:85], v[14:15]
	s_delay_alu instid0(VALU_DEP_1) | instskip(SKIP_1) | instid1(VALU_DEP_3)
	v_sub_co_u32 v13, vcc_lo, v24, v36
	v_add_nc_u64_e32 v[24:25], 2, v[14:15]
	v_sub_nc_u32_e32 v3, v38, v37
	v_sub_co_ci_u32_e64 v19, null, v38, v37, vcc_lo
	s_delay_alu instid0(VALU_DEP_4) | instskip(NEXT) | instid1(VALU_DEP_3)
	v_sub_co_u32 v17, s0, v13, s84
	v_subrev_co_ci_u32_e64 v3, null, s85, v3, vcc_lo
	v_add_nc_u64_e32 v[36:37], 1, v[14:15]
	s_delay_alu instid0(VALU_DEP_3) | instskip(NEXT) | instid1(VALU_DEP_3)
	v_cmp_le_u32_e32 vcc_lo, s84, v17
	v_subrev_co_ci_u32_e64 v3, null, 0, v3, s0
	v_cndmask_b32_e64 v17, 0, -1, vcc_lo
	s_delay_alu instid0(VALU_DEP_2)
	v_cmp_le_u32_e32 vcc_lo, s85, v3
	v_cndmask_b32_e64 v21, 0, -1, vcc_lo
	v_cmp_le_u32_e32 vcc_lo, s84, v13
	v_cndmask_b32_e64 v13, 0, -1, vcc_lo
	;; [unrolled: 2-line block ×3, first 2 shown]
	v_cmp_eq_u32_e32 vcc_lo, s85, v3
	v_cndmask_b32_e32 v3, v21, v17, vcc_lo
	v_cmp_eq_u32_e32 vcc_lo, s85, v19
	s_delay_alu instid0(VALU_DEP_4) | instskip(NEXT) | instid1(VALU_DEP_3)
	v_cndmask_b32_e32 v13, v23, v13, vcc_lo
	v_cmp_ne_u32_e32 vcc_lo, 0, v3
	s_delay_alu instid0(VALU_DEP_2) | instskip(SKIP_1) | instid1(VALU_DEP_1)
	v_cmp_ne_u32_e64 s0, 0, v13
	v_dual_cndmask_b32 v3, v37, v25, vcc_lo :: v_dual_cndmask_b32 v13, v36, v24, vcc_lo
                                        ; implicit-def: $vgpr24_vgpr25
	v_dual_cndmask_b32 v3, v15, v3, s0 :: v_dual_cndmask_b32 v13, v14, v13, s0
	s_delay_alu instid0(VALU_DEP_1) | instskip(NEXT) | instid1(VALU_DEP_2)
	v_dual_mov_b32 v17, v16 :: v_dual_bitop2_b32 v15, v3, v16 bitop3:0x14
	v_xor_b32_e32 v14, v13, v16
	s_delay_alu instid0(VALU_DEP_1)
	v_sub_nc_u64_e32 v[14:15], v[14:15], v[16:17]
.LBB23_25:                              ;   in Loop: Header=BB23_3 Depth=1
	s_or_saveexec_b32 s0, s88
	v_cvt_f32_u32_e32 v13, s48
	s_xor_b32 exec_lo, exec_lo, s0
	s_cbranch_execz .LBB23_27
; %bb.26:                               ;   in Loop: Header=BB23_3 Depth=1
	s_delay_alu instid0(VALU_DEP_1) | instskip(SKIP_2) | instid1(TRANS32_DEP_1)
	v_rcp_iflag_f32_e32 v3, v13
	s_sub_co_i32 s2, 0, s48
	v_nop
	v_mul_f32_e32 v3, 0x4f7ffffe, v3
	s_delay_alu instid0(VALU_DEP_1) | instskip(NEXT) | instid1(VALU_DEP_1)
	v_cvt_u32_f32_e32 v3, v3
	v_mul_lo_u32 v14, s2, v3
	s_delay_alu instid0(VALU_DEP_1) | instskip(NEXT) | instid1(VALU_DEP_1)
	v_mul_hi_u32 v14, v3, v14
	v_add_nc_u32_e32 v3, v3, v14
	s_delay_alu instid0(VALU_DEP_1) | instskip(NEXT) | instid1(VALU_DEP_1)
	v_mul_hi_u32 v3, v24, v3
	v_mul_lo_u32 v14, v3, s48
	s_delay_alu instid0(VALU_DEP_1) | instskip(NEXT) | instid1(VALU_DEP_1)
	v_dual_add_nc_u32 v15, 1, v3 :: v_dual_sub_nc_u32 v14, v24, v14
	v_subrev_nc_u32_e32 v16, s48, v14
	v_cmp_le_u32_e32 vcc_lo, s48, v14
	s_delay_alu instid0(VALU_DEP_2) | instskip(NEXT) | instid1(VALU_DEP_1)
	v_dual_cndmask_b32 v14, v14, v16 :: v_dual_cndmask_b32 v3, v3, v15
	v_cmp_le_u32_e32 vcc_lo, s48, v14
	s_delay_alu instid0(VALU_DEP_2) | instskip(NEXT) | instid1(VALU_DEP_1)
	v_add_nc_u32_e32 v15, 1, v3
	v_dual_cndmask_b32 v14, v3, v15 :: v_dual_mov_b32 v15, v2
.LBB23_27:                              ;   in Loop: Header=BB23_3 Depth=1
	s_or_b32 exec_lo, exec_lo, s0
	v_or_b32_e32 v3, s49, v27
                                        ; implicit-def: $vgpr16_vgpr17
	s_mov_b32 s0, exec_lo
	s_delay_alu instid0(VALU_DEP_1)
	v_cmpx_ne_u64_e32 0, v[2:3]
	s_xor_b32 s88, exec_lo, s0
	s_cbranch_execz .LBB23_29
; %bb.28:                               ;   in Loop: Header=BB23_3 Depth=1
	s_ashr_i32 s82, s49, 31
	v_dual_mov_b32 v19, v18 :: v_dual_mov_b32 v25, v2
	s_mov_b32 s83, s82
	v_mov_b32_e32 v37, v2
	s_add_nc_u64 s[84:85], s[48:49], s[82:83]
	s_delay_alu instid0(VALU_DEP_2)
	v_add_nc_u64_e32 v[16:17], v[26:27], v[18:19]
	s_xor_b64 s[84:85], s[84:85], s[82:83]
	v_mov_b32_e32 v41, v2
	s_cvt_f32_u32 s0, s84
	s_cvt_f32_u32 s2, s85
	s_sub_nc_u64 s[92:93], 0, s[84:85]
	s_delay_alu instid0(VALU_DEP_2) | instskip(NEXT) | instid1(SALU_CYCLE_1)
	v_xor_b32_e32 v24, v16, v18
	s_fmamk_f32 s0, s2, 0x4f800000, s0
	v_xor_b32_e32 v36, v17, v18
	v_xor_b32_e32 v18, s82, v18
	s_delay_alu instid0(SALU_CYCLE_1) | instskip(NEXT) | instid1(TRANS32_DEP_1)
	v_s_rcp_f32 s0, s0
	s_mul_f32 s0, s0, 0x5f7ffffc
	s_delay_alu instid0(SALU_CYCLE_3) | instskip(NEXT) | instid1(SALU_CYCLE_3)
	s_mul_f32 s2, s0, 0x2f800000
	s_trunc_f32 s2, s2
	s_delay_alu instid0(SALU_CYCLE_3) | instskip(SKIP_1) | instid1(SALU_CYCLE_2)
	s_fmamk_f32 s0, s2, 0xcf800000, s0
	s_cvt_u32_f32 s91, s2
	s_cvt_u32_f32 s90, s0
	s_delay_alu instid0(SALU_CYCLE_3) | instskip(NEXT) | instid1(SALU_CYCLE_1)
	s_mul_u64 s[94:95], s[92:93], s[90:91]
	s_mul_hi_u32 s97, s90, s95
	s_mul_i32 s96, s90, s95
	s_mul_hi_u32 s2, s90, s94
	s_mul_i32 s83, s91, s94
	s_add_nc_u64 s[96:97], s[2:3], s[96:97]
	s_mul_hi_u32 s0, s91, s94
	s_mul_hi_u32 s89, s91, s95
	s_add_co_u32 s2, s96, s83
	s_add_co_ci_u32 s2, s97, s0
	s_mul_i32 s94, s91, s95
	s_add_co_ci_u32 s95, s89, 0
	s_delay_alu instid0(SALU_CYCLE_1) | instskip(NEXT) | instid1(SALU_CYCLE_1)
	s_add_nc_u64 s[94:95], s[2:3], s[94:95]
	s_add_co_u32 s90, s90, s94
	s_cselect_b32 s0, -1, 0
	s_delay_alu instid0(SALU_CYCLE_1) | instskip(SKIP_1) | instid1(SALU_CYCLE_1)
	s_cmp_lg_u32 s0, 0
	s_add_co_ci_u32 s91, s91, s95
	s_mul_u64 s[92:93], s[92:93], s[90:91]
	s_delay_alu instid0(SALU_CYCLE_1)
	s_mul_hi_u32 s95, s90, s93
	s_mul_i32 s94, s90, s93
	s_mul_hi_u32 s2, s90, s92
	s_mul_i32 s83, s91, s92
	s_add_nc_u64 s[94:95], s[2:3], s[94:95]
	s_mul_hi_u32 s0, s91, s92
	s_mul_hi_u32 s89, s91, s93
	s_add_co_u32 s2, s94, s83
	s_add_co_ci_u32 s2, s95, s0
	s_mul_i32 s92, s91, s93
	s_add_co_ci_u32 s93, s89, 0
	s_delay_alu instid0(SALU_CYCLE_1) | instskip(NEXT) | instid1(SALU_CYCLE_1)
	s_add_nc_u64 s[92:93], s[2:3], s[92:93]
	s_add_co_u32 s0, s90, s92
	s_cselect_b32 s2, -1, 0
	v_nop
	v_mul_hi_u32 v40, v24, s0
	s_cmp_lg_u32 s2, 0
	s_add_co_ci_u32 s2, s91, s93
	s_and_b64 s[90:91], s[0:1], s[76:77]
	v_mul_u64_e32 v[26:27], s[2:3], v[24:25]
	v_mul_u64_e32 v[16:17], s[90:91], v[36:37]
	;; [unrolled: 1-line block ×3, first 2 shown]
	s_delay_alu instid0(VALU_DEP_3) | instskip(NEXT) | instid1(VALU_DEP_1)
	v_add_nc_u64_e32 v[26:27], v[40:41], v[26:27]
	v_add_co_u32 v3, vcc_lo, v26, v16
	s_delay_alu instid0(VALU_DEP_2) | instskip(NEXT) | instid1(VALU_DEP_4)
	v_add_co_ci_u32_e32 v40, vcc_lo, v27, v17, vcc_lo
	v_add_co_ci_u32_e32 v39, vcc_lo, 0, v39, vcc_lo
	s_delay_alu instid0(VALU_DEP_1) | instskip(NEXT) | instid1(VALU_DEP_1)
	v_add_nc_u64_e32 v[16:17], v[40:41], v[38:39]
	v_mul_u64_e32 v[26:27], s[84:85], v[16:17]
	s_delay_alu instid0(VALU_DEP_1) | instskip(NEXT) | instid1(VALU_DEP_2)
	v_sub_nc_u32_e32 v3, v36, v27
	v_sub_co_u32 v19, vcc_lo, v24, v26
	s_delay_alu instid0(VALU_DEP_1) | instskip(NEXT) | instid1(VALU_DEP_3)
	v_sub_co_ci_u32_e64 v23, null, v36, v27, vcc_lo
	v_subrev_co_ci_u32_e64 v3, null, s85, v3, vcc_lo
	s_delay_alu instid0(VALU_DEP_3) | instskip(SKIP_1) | instid1(VALU_DEP_3)
	v_sub_co_u32 v21, s0, v19, s84
	v_add_nc_u64_e32 v[26:27], 1, v[16:17]
	v_subrev_co_ci_u32_e64 v3, null, 0, v3, s0
	s_delay_alu instid0(VALU_DEP_3) | instskip(SKIP_1) | instid1(VALU_DEP_3)
	v_cmp_le_u32_e32 vcc_lo, s84, v21
	v_cndmask_b32_e64 v21, 0, -1, vcc_lo
	v_cmp_le_u32_e32 vcc_lo, s85, v3
	v_cndmask_b32_e64 v24, 0, -1, vcc_lo
	;; [unrolled: 2-line block ×4, first 2 shown]
	v_cmp_eq_u32_e32 vcc_lo, s85, v3
	v_cndmask_b32_e32 v3, v24, v21, vcc_lo
	v_cmp_eq_u32_e32 vcc_lo, s85, v23
	v_add_nc_u64_e32 v[24:25], 2, v[16:17]
	v_cndmask_b32_e32 v19, v36, v19, vcc_lo
	s_delay_alu instid0(VALU_DEP_4) | instskip(NEXT) | instid1(VALU_DEP_3)
	v_cmp_ne_u32_e32 vcc_lo, 0, v3
	v_cndmask_b32_e32 v3, v27, v25, vcc_lo
	s_delay_alu instid0(VALU_DEP_3) | instskip(SKIP_1) | instid1(VALU_DEP_2)
	v_cmp_ne_u32_e64 s0, 0, v19
	v_cndmask_b32_e32 v19, v26, v24, vcc_lo
                                        ; implicit-def: $vgpr26_vgpr27
	v_cndmask_b32_e64 v3, v17, v3, s0
	s_delay_alu instid0(VALU_DEP_2) | instskip(NEXT) | instid1(VALU_DEP_2)
	v_dual_cndmask_b32 v16, v16, v19, s0 :: v_dual_mov_b32 v19, v18
	v_xor_b32_e32 v17, v3, v18
	s_delay_alu instid0(VALU_DEP_2) | instskip(NEXT) | instid1(VALU_DEP_1)
	v_xor_b32_e32 v16, v16, v18
	v_sub_nc_u64_e32 v[16:17], v[16:17], v[18:19]
.LBB23_29:                              ;   in Loop: Header=BB23_3 Depth=1
	s_and_not1_saveexec_b32 s0, s88
	s_cbranch_execz .LBB23_31
; %bb.30:                               ;   in Loop: Header=BB23_3 Depth=1
	v_rcp_iflag_f32_e32 v3, v13
	s_sub_co_i32 s2, 0, s48
	v_nop
	s_delay_alu instid0(TRANS32_DEP_1) | instskip(NEXT) | instid1(VALU_DEP_1)
	v_mul_f32_e32 v3, 0x4f7ffffe, v3
	v_cvt_u32_f32_e32 v3, v3
	s_delay_alu instid0(VALU_DEP_1) | instskip(NEXT) | instid1(VALU_DEP_1)
	v_mul_lo_u32 v16, s2, v3
	v_mul_hi_u32 v16, v3, v16
	s_delay_alu instid0(VALU_DEP_1) | instskip(NEXT) | instid1(VALU_DEP_1)
	v_add_nc_u32_e32 v3, v3, v16
	v_mul_hi_u32 v3, v26, v3
	s_delay_alu instid0(VALU_DEP_1) | instskip(NEXT) | instid1(VALU_DEP_1)
	v_mul_lo_u32 v16, v3, s48
	v_dual_add_nc_u32 v17, 1, v3 :: v_dual_sub_nc_u32 v16, v26, v16
	s_delay_alu instid0(VALU_DEP_1) | instskip(SKIP_1) | instid1(VALU_DEP_2)
	v_subrev_nc_u32_e32 v18, s48, v16
	v_cmp_le_u32_e32 vcc_lo, s48, v16
	v_dual_cndmask_b32 v16, v16, v18 :: v_dual_cndmask_b32 v3, v3, v17
	s_delay_alu instid0(VALU_DEP_1) | instskip(NEXT) | instid1(VALU_DEP_2)
	v_cmp_le_u32_e32 vcc_lo, s48, v16
	v_add_nc_u32_e32 v17, 1, v3
	s_delay_alu instid0(VALU_DEP_1)
	v_dual_cndmask_b32 v16, v3, v17 :: v_dual_mov_b32 v17, v2
.LBB23_31:                              ;   in Loop: Header=BB23_3 Depth=1
	s_or_b32 exec_lo, exec_lo, s0
	v_or_b32_e32 v3, s49, v29
                                        ; implicit-def: $vgpr18_vgpr19
	s_mov_b32 s0, exec_lo
	s_delay_alu instid0(VALU_DEP_1)
	v_cmpx_ne_u64_e32 0, v[2:3]
	s_xor_b32 s88, exec_lo, s0
	s_cbranch_execz .LBB23_33
; %bb.32:                               ;   in Loop: Header=BB23_3 Depth=1
	s_ashr_i32 s82, s49, 31
	v_dual_mov_b32 v21, v20 :: v_dual_mov_b32 v25, v2
	s_mov_b32 s83, s82
	v_mov_b32_e32 v39, v2
	s_add_nc_u64 s[84:85], s[48:49], s[82:83]
	s_delay_alu instid0(VALU_DEP_2)
	v_add_nc_u64_e32 v[18:19], v[28:29], v[20:21]
	s_xor_b64 s[84:85], s[84:85], s[82:83]
	v_mov_b32_e32 v29, v2
	s_cvt_f32_u32 s0, s84
	s_cvt_f32_u32 s2, s85
	s_sub_nc_u64 s[92:93], 0, s[84:85]
	s_delay_alu instid0(VALU_DEP_2) | instskip(NEXT) | instid1(SALU_CYCLE_1)
	v_xor_b32_e32 v28, v19, v20
	s_fmamk_f32 s0, s2, 0x4f800000, s0
	v_xor_b32_e32 v24, v18, v20
	v_xor_b32_e32 v20, s82, v20
	s_delay_alu instid0(SALU_CYCLE_1) | instskip(NEXT) | instid1(TRANS32_DEP_1)
	v_s_rcp_f32 s0, s0
	s_mul_f32 s0, s0, 0x5f7ffffc
	s_delay_alu instid0(SALU_CYCLE_3) | instskip(NEXT) | instid1(SALU_CYCLE_3)
	s_mul_f32 s2, s0, 0x2f800000
	s_trunc_f32 s2, s2
	s_delay_alu instid0(SALU_CYCLE_3) | instskip(SKIP_1) | instid1(SALU_CYCLE_2)
	s_fmamk_f32 s0, s2, 0xcf800000, s0
	s_cvt_u32_f32 s91, s2
	s_cvt_u32_f32 s90, s0
	s_delay_alu instid0(SALU_CYCLE_3) | instskip(NEXT) | instid1(SALU_CYCLE_1)
	s_mul_u64 s[94:95], s[92:93], s[90:91]
	s_mul_hi_u32 s97, s90, s95
	s_mul_i32 s96, s90, s95
	s_mul_hi_u32 s2, s90, s94
	s_mul_i32 s83, s91, s94
	s_add_nc_u64 s[96:97], s[2:3], s[96:97]
	s_mul_hi_u32 s0, s91, s94
	s_mul_hi_u32 s89, s91, s95
	s_add_co_u32 s2, s96, s83
	s_add_co_ci_u32 s2, s97, s0
	s_mul_i32 s94, s91, s95
	s_add_co_ci_u32 s95, s89, 0
	s_delay_alu instid0(SALU_CYCLE_1) | instskip(NEXT) | instid1(SALU_CYCLE_1)
	s_add_nc_u64 s[94:95], s[2:3], s[94:95]
	s_add_co_u32 s90, s90, s94
	s_cselect_b32 s0, -1, 0
	s_delay_alu instid0(SALU_CYCLE_1) | instskip(SKIP_1) | instid1(SALU_CYCLE_1)
	s_cmp_lg_u32 s0, 0
	s_add_co_ci_u32 s91, s91, s95
	s_mul_u64 s[92:93], s[92:93], s[90:91]
	s_delay_alu instid0(SALU_CYCLE_1)
	s_mul_hi_u32 s95, s90, s93
	s_mul_i32 s94, s90, s93
	s_mul_hi_u32 s2, s90, s92
	s_mul_i32 s83, s91, s92
	s_add_nc_u64 s[94:95], s[2:3], s[94:95]
	s_mul_hi_u32 s0, s91, s92
	s_mul_hi_u32 s89, s91, s93
	s_add_co_u32 s2, s94, s83
	s_add_co_ci_u32 s2, s95, s0
	s_mul_i32 s92, s91, s93
	s_add_co_ci_u32 s93, s89, 0
	s_delay_alu instid0(SALU_CYCLE_1) | instskip(NEXT) | instid1(SALU_CYCLE_1)
	s_add_nc_u64 s[92:93], s[2:3], s[92:93]
	s_add_co_u32 s0, s90, s92
	s_cselect_b32 s2, -1, 0
	v_nop
	v_mul_hi_u32 v38, v24, s0
	s_cmp_lg_u32 s2, 0
	s_add_co_ci_u32 s2, s91, s93
	s_and_b64 s[90:91], s[0:1], s[76:77]
	v_mul_u64_e32 v[26:27], s[2:3], v[24:25]
	v_mul_u64_e32 v[18:19], s[90:91], v[28:29]
	;; [unrolled: 1-line block ×3, first 2 shown]
	s_delay_alu instid0(VALU_DEP_3) | instskip(NEXT) | instid1(VALU_DEP_1)
	v_add_nc_u64_e32 v[26:27], v[38:39], v[26:27]
	v_add_co_u32 v3, vcc_lo, v26, v18
	s_delay_alu instid0(VALU_DEP_2) | instskip(NEXT) | instid1(VALU_DEP_4)
	v_add_co_ci_u32_e32 v38, vcc_lo, v27, v19, vcc_lo
	v_add_co_ci_u32_e32 v37, vcc_lo, 0, v37, vcc_lo
	s_delay_alu instid0(VALU_DEP_1) | instskip(NEXT) | instid1(VALU_DEP_1)
	v_add_nc_u64_e32 v[18:19], v[38:39], v[36:37]
	v_mul_u64_e32 v[26:27], s[84:85], v[18:19]
	s_delay_alu instid0(VALU_DEP_1) | instskip(NEXT) | instid1(VALU_DEP_2)
	v_sub_nc_u32_e32 v3, v28, v27
	v_sub_co_u32 v21, vcc_lo, v24, v26
	s_delay_alu instid0(VALU_DEP_1) | instskip(NEXT) | instid1(VALU_DEP_3)
	v_sub_co_ci_u32_e64 v28, null, v28, v27, vcc_lo
	v_subrev_co_ci_u32_e64 v3, null, s85, v3, vcc_lo
	s_delay_alu instid0(VALU_DEP_3) | instskip(SKIP_1) | instid1(VALU_DEP_3)
	v_sub_co_u32 v23, s0, v21, s84
	v_add_nc_u64_e32 v[26:27], 1, v[18:19]
	v_subrev_co_ci_u32_e64 v3, null, 0, v3, s0
	s_delay_alu instid0(VALU_DEP_3) | instskip(SKIP_1) | instid1(VALU_DEP_3)
	v_cmp_le_u32_e32 vcc_lo, s84, v23
	v_cndmask_b32_e64 v23, 0, -1, vcc_lo
	v_cmp_le_u32_e32 vcc_lo, s85, v3
	v_cndmask_b32_e64 v24, 0, -1, vcc_lo
	;; [unrolled: 2-line block ×4, first 2 shown]
	v_cmp_eq_u32_e32 vcc_lo, s85, v3
	v_cndmask_b32_e32 v3, v24, v23, vcc_lo
	v_cmp_eq_u32_e32 vcc_lo, s85, v28
	v_add_nc_u64_e32 v[24:25], 2, v[18:19]
	v_cndmask_b32_e32 v21, v29, v21, vcc_lo
	s_delay_alu instid0(VALU_DEP_4) | instskip(NEXT) | instid1(VALU_DEP_2)
	v_cmp_ne_u32_e32 vcc_lo, 0, v3
                                        ; implicit-def: $vgpr28_vgpr29
	v_cmp_ne_u32_e64 s0, 0, v21
	s_delay_alu instid0(VALU_DEP_4) | instskip(NEXT) | instid1(VALU_DEP_1)
	v_dual_cndmask_b32 v3, v27, v25, vcc_lo :: v_dual_cndmask_b32 v21, v26, v24, vcc_lo
	v_dual_cndmask_b32 v3, v19, v3, s0 :: v_dual_cndmask_b32 v18, v18, v21, s0
	s_delay_alu instid0(VALU_DEP_1) | instskip(NEXT) | instid1(VALU_DEP_2)
	v_dual_mov_b32 v21, v20 :: v_dual_bitop2_b32 v19, v3, v20 bitop3:0x14
	v_xor_b32_e32 v18, v18, v20
	s_delay_alu instid0(VALU_DEP_1)
	v_sub_nc_u64_e32 v[18:19], v[18:19], v[20:21]
.LBB23_33:                              ;   in Loop: Header=BB23_3 Depth=1
	s_and_not1_saveexec_b32 s0, s88
	s_cbranch_execz .LBB23_35
; %bb.34:                               ;   in Loop: Header=BB23_3 Depth=1
	v_rcp_iflag_f32_e32 v3, v13
	s_sub_co_i32 s2, 0, s48
	v_nop
	s_delay_alu instid0(TRANS32_DEP_1) | instskip(NEXT) | instid1(VALU_DEP_1)
	v_mul_f32_e32 v3, 0x4f7ffffe, v3
	v_cvt_u32_f32_e32 v3, v3
	s_delay_alu instid0(VALU_DEP_1) | instskip(NEXT) | instid1(VALU_DEP_1)
	v_mul_lo_u32 v18, s2, v3
	v_mul_hi_u32 v18, v3, v18
	s_delay_alu instid0(VALU_DEP_1) | instskip(NEXT) | instid1(VALU_DEP_1)
	v_add_nc_u32_e32 v3, v3, v18
	v_mul_hi_u32 v3, v28, v3
	s_delay_alu instid0(VALU_DEP_1) | instskip(NEXT) | instid1(VALU_DEP_1)
	v_mul_lo_u32 v18, v3, s48
	v_dual_add_nc_u32 v19, 1, v3 :: v_dual_sub_nc_u32 v18, v28, v18
	s_delay_alu instid0(VALU_DEP_1) | instskip(SKIP_1) | instid1(VALU_DEP_2)
	v_subrev_nc_u32_e32 v20, s48, v18
	v_cmp_le_u32_e32 vcc_lo, s48, v18
	v_dual_cndmask_b32 v18, v18, v20 :: v_dual_cndmask_b32 v3, v3, v19
	s_delay_alu instid0(VALU_DEP_1) | instskip(NEXT) | instid1(VALU_DEP_2)
	v_cmp_le_u32_e32 vcc_lo, s48, v18
	v_add_nc_u32_e32 v19, 1, v3
	s_delay_alu instid0(VALU_DEP_1)
	v_dual_cndmask_b32 v18, v3, v19 :: v_dual_mov_b32 v19, v2
.LBB23_35:                              ;   in Loop: Header=BB23_3 Depth=1
	s_or_b32 exec_lo, exec_lo, s0
	v_or_b32_e32 v3, s49, v31
                                        ; implicit-def: $vgpr20_vgpr21
	s_mov_b32 s0, exec_lo
	s_delay_alu instid0(VALU_DEP_1)
	v_cmpx_ne_u64_e32 0, v[2:3]
	s_xor_b32 s88, exec_lo, s0
	s_cbranch_execz .LBB23_37
; %bb.36:                               ;   in Loop: Header=BB23_3 Depth=1
	s_ashr_i32 s82, s49, 31
	v_dual_mov_b32 v23, v22 :: v_dual_mov_b32 v25, v2
	s_mov_b32 s83, s82
	v_mov_b32_e32 v29, v2
	s_add_nc_u64 s[84:85], s[48:49], s[82:83]
	s_delay_alu instid0(VALU_DEP_2)
	v_add_nc_u64_e32 v[20:21], v[30:31], v[22:23]
	s_xor_b64 s[84:85], s[84:85], s[82:83]
	v_mov_b32_e32 v37, v2
	s_cvt_f32_u32 s0, s84
	s_cvt_f32_u32 s2, s85
	s_sub_nc_u64 s[92:93], 0, s[84:85]
	s_delay_alu instid0(VALU_DEP_2) | instskip(NEXT) | instid1(SALU_CYCLE_1)
	v_xor_b32_e32 v24, v20, v22
	s_fmamk_f32 s0, s2, 0x4f800000, s0
	v_xor_b32_e32 v28, v21, v22
	v_xor_b32_e32 v22, s82, v22
	s_delay_alu instid0(SALU_CYCLE_1) | instskip(NEXT) | instid1(TRANS32_DEP_1)
	v_s_rcp_f32 s0, s0
	s_mul_f32 s0, s0, 0x5f7ffffc
	s_delay_alu instid0(SALU_CYCLE_3) | instskip(NEXT) | instid1(SALU_CYCLE_3)
	s_mul_f32 s2, s0, 0x2f800000
	s_trunc_f32 s2, s2
	s_delay_alu instid0(SALU_CYCLE_3) | instskip(SKIP_1) | instid1(SALU_CYCLE_2)
	s_fmamk_f32 s0, s2, 0xcf800000, s0
	s_cvt_u32_f32 s91, s2
	s_cvt_u32_f32 s90, s0
	s_delay_alu instid0(SALU_CYCLE_3) | instskip(NEXT) | instid1(SALU_CYCLE_1)
	s_mul_u64 s[94:95], s[92:93], s[90:91]
	s_mul_hi_u32 s97, s90, s95
	s_mul_i32 s96, s90, s95
	s_mul_hi_u32 s2, s90, s94
	s_mul_i32 s83, s91, s94
	s_add_nc_u64 s[96:97], s[2:3], s[96:97]
	s_mul_hi_u32 s0, s91, s94
	s_mul_hi_u32 s89, s91, s95
	s_add_co_u32 s2, s96, s83
	s_add_co_ci_u32 s2, s97, s0
	s_mul_i32 s94, s91, s95
	s_add_co_ci_u32 s95, s89, 0
	s_delay_alu instid0(SALU_CYCLE_1) | instskip(NEXT) | instid1(SALU_CYCLE_1)
	s_add_nc_u64 s[94:95], s[2:3], s[94:95]
	s_add_co_u32 s90, s90, s94
	s_cselect_b32 s0, -1, 0
	s_delay_alu instid0(SALU_CYCLE_1) | instskip(SKIP_1) | instid1(SALU_CYCLE_1)
	s_cmp_lg_u32 s0, 0
	s_add_co_ci_u32 s91, s91, s95
	s_mul_u64 s[92:93], s[92:93], s[90:91]
	s_delay_alu instid0(SALU_CYCLE_1)
	s_mul_hi_u32 s95, s90, s93
	s_mul_i32 s94, s90, s93
	s_mul_hi_u32 s2, s90, s92
	s_mul_i32 s83, s91, s92
	s_add_nc_u64 s[94:95], s[2:3], s[94:95]
	s_mul_hi_u32 s0, s91, s92
	s_mul_hi_u32 s89, s91, s93
	s_add_co_u32 s2, s94, s83
	s_add_co_ci_u32 s2, s95, s0
	s_mul_i32 s92, s91, s93
	s_add_co_ci_u32 s93, s89, 0
	s_delay_alu instid0(SALU_CYCLE_1) | instskip(NEXT) | instid1(SALU_CYCLE_1)
	s_add_nc_u64 s[92:93], s[2:3], s[92:93]
	s_add_co_u32 s0, s90, s92
	s_cselect_b32 s2, -1, 0
	v_nop
	v_mul_hi_u32 v36, v24, s0
	s_cmp_lg_u32 s2, 0
	s_add_co_ci_u32 s2, s91, s93
	s_and_b64 s[90:91], s[0:1], s[76:77]
	v_mul_u64_e32 v[26:27], s[2:3], v[24:25]
	v_mul_u64_e32 v[20:21], s[90:91], v[28:29]
	;; [unrolled: 1-line block ×3, first 2 shown]
	s_delay_alu instid0(VALU_DEP_3) | instskip(NEXT) | instid1(VALU_DEP_1)
	v_add_nc_u64_e32 v[26:27], v[36:37], v[26:27]
	v_add_co_u32 v3, vcc_lo, v26, v20
	s_delay_alu instid0(VALU_DEP_2) | instskip(NEXT) | instid1(VALU_DEP_4)
	v_add_co_ci_u32_e32 v36, vcc_lo, v27, v21, vcc_lo
	v_add_co_ci_u32_e32 v31, vcc_lo, 0, v31, vcc_lo
	s_delay_alu instid0(VALU_DEP_1) | instskip(NEXT) | instid1(VALU_DEP_1)
	v_add_nc_u64_e32 v[20:21], v[36:37], v[30:31]
                                        ; implicit-def: $vgpr30_vgpr31
	v_mul_u64_e32 v[26:27], s[84:85], v[20:21]
	s_delay_alu instid0(VALU_DEP_1) | instskip(NEXT) | instid1(VALU_DEP_2)
	v_sub_nc_u32_e32 v3, v28, v27
	v_sub_co_u32 v13, vcc_lo, v24, v26
	s_delay_alu instid0(VALU_DEP_1) | instskip(NEXT) | instid1(VALU_DEP_3)
	v_sub_co_ci_u32_e64 v28, null, v28, v27, vcc_lo
	v_subrev_co_ci_u32_e64 v3, null, s85, v3, vcc_lo
	s_delay_alu instid0(VALU_DEP_3) | instskip(SKIP_1) | instid1(VALU_DEP_3)
	v_sub_co_u32 v23, s0, v13, s84
	v_add_nc_u64_e32 v[26:27], 1, v[20:21]
	v_subrev_co_ci_u32_e64 v3, null, 0, v3, s0
	s_delay_alu instid0(VALU_DEP_3) | instskip(SKIP_1) | instid1(VALU_DEP_3)
	v_cmp_le_u32_e32 vcc_lo, s84, v23
	v_cndmask_b32_e64 v23, 0, -1, vcc_lo
	v_cmp_le_u32_e32 vcc_lo, s85, v3
	v_cndmask_b32_e64 v24, 0, -1, vcc_lo
	;; [unrolled: 2-line block ×4, first 2 shown]
	v_cmp_eq_u32_e32 vcc_lo, s85, v3
	v_cndmask_b32_e32 v3, v24, v23, vcc_lo
	v_cmp_eq_u32_e32 vcc_lo, s85, v28
	v_add_nc_u64_e32 v[24:25], 2, v[20:21]
	v_cndmask_b32_e32 v13, v29, v13, vcc_lo
	s_delay_alu instid0(VALU_DEP_4) | instskip(NEXT) | instid1(VALU_DEP_2)
	v_cmp_ne_u32_e32 vcc_lo, 0, v3
	v_cmp_ne_u32_e64 s0, 0, v13
	s_delay_alu instid0(VALU_DEP_4) | instskip(NEXT) | instid1(VALU_DEP_1)
	v_dual_cndmask_b32 v3, v27, v25, vcc_lo :: v_dual_cndmask_b32 v13, v26, v24, vcc_lo
	v_dual_cndmask_b32 v3, v21, v3, s0 :: v_dual_cndmask_b32 v13, v20, v13, s0
	s_delay_alu instid0(VALU_DEP_1) | instskip(NEXT) | instid1(VALU_DEP_2)
	v_dual_mov_b32 v23, v22 :: v_dual_bitop2_b32 v21, v3, v22 bitop3:0x14
	v_xor_b32_e32 v20, v13, v22
                                        ; implicit-def: $vgpr13
	s_delay_alu instid0(VALU_DEP_1)
	v_sub_nc_u64_e32 v[20:21], v[20:21], v[22:23]
.LBB23_37:                              ;   in Loop: Header=BB23_3 Depth=1
	s_and_not1_saveexec_b32 s0, s88
	s_cbranch_execz .LBB23_39
; %bb.38:                               ;   in Loop: Header=BB23_3 Depth=1
	v_rcp_iflag_f32_e32 v3, v13
	s_sub_co_i32 s2, 0, s48
	v_nop
	s_delay_alu instid0(TRANS32_DEP_1) | instskip(NEXT) | instid1(VALU_DEP_1)
	v_mul_f32_e32 v3, 0x4f7ffffe, v3
	v_cvt_u32_f32_e32 v3, v3
	s_delay_alu instid0(VALU_DEP_1) | instskip(NEXT) | instid1(VALU_DEP_1)
	v_mul_lo_u32 v13, s2, v3
	v_mul_hi_u32 v13, v3, v13
	s_delay_alu instid0(VALU_DEP_1) | instskip(NEXT) | instid1(VALU_DEP_1)
	v_add_nc_u32_e32 v3, v3, v13
	v_mul_hi_u32 v3, v30, v3
	s_delay_alu instid0(VALU_DEP_1) | instskip(NEXT) | instid1(VALU_DEP_1)
	v_mul_lo_u32 v13, v3, s48
	v_sub_nc_u32_e32 v13, v30, v13
	s_delay_alu instid0(VALU_DEP_1) | instskip(SKIP_1) | instid1(VALU_DEP_2)
	v_subrev_nc_u32_e32 v21, s48, v13
	v_cmp_le_u32_e32 vcc_lo, s48, v13
	v_dual_cndmask_b32 v13, v13, v21 :: v_dual_add_nc_u32 v20, 1, v3
	s_delay_alu instid0(VALU_DEP_1) | instskip(NEXT) | instid1(VALU_DEP_2)
	v_dual_cndmask_b32 v3, v3, v20, vcc_lo :: v_dual_mov_b32 v21, v2
	v_cmp_le_u32_e32 vcc_lo, s48, v13
	s_delay_alu instid0(VALU_DEP_2) | instskip(NEXT) | instid1(VALU_DEP_1)
	v_add_nc_u32_e32 v20, 1, v3
	v_cndmask_b32_e32 v20, v3, v20, vcc_lo
.LBB23_39:                              ;   in Loop: Header=BB23_3 Depth=1
	s_or_b32 exec_lo, exec_lo, s0
	v_or_b32_e32 v3, s53, v1
                                        ; implicit-def: $vgpr22_vgpr23
	s_mov_b32 s0, exec_lo
	s_delay_alu instid0(VALU_DEP_1)
	v_cmpx_ne_u64_e32 0, v[2:3]
	s_xor_b32 s88, exec_lo, s0
	s_cbranch_execz .LBB23_41
; %bb.40:                               ;   in Loop: Header=BB23_3 Depth=1
	s_ashr_i32 s82, s53, 31
	v_dual_mov_b32 v27, v2 :: v_dual_ashrrev_i32 v22, 31, v1
	s_mov_b32 s83, s82
	v_mov_b32_e32 v39, v2
	s_add_nc_u64 s[84:85], s[52:53], s[82:83]
	s_delay_alu instid0(VALU_DEP_2) | instskip(SKIP_1) | instid1(SALU_CYCLE_1)
	v_mov_b32_e32 v23, v22
	s_xor_b64 s[84:85], s[84:85], s[82:83]
	s_cvt_f32_u32 s0, s84
	s_cvt_f32_u32 s2, s85
	s_sub_nc_u64 s[92:93], 0, s[84:85]
	v_add_nc_u64_e32 v[24:25], v[0:1], v[22:23]
	v_mov_b32_e32 v31, v2
	s_fmamk_f32 s0, s2, 0x4f800000, s0
	s_delay_alu instid0(SALU_CYCLE_3) | instskip(NEXT) | instid1(VALU_DEP_2)
	v_s_rcp_f32 s0, s0
	v_xor_b32_e32 v26, v24, v22
	s_delay_alu instid0(VALU_DEP_3) | instskip(SKIP_1) | instid1(TRANS32_DEP_1)
	v_xor_b32_e32 v30, v25, v22
	v_xor_b32_e32 v22, s82, v22
	s_mul_f32 s0, s0, 0x5f7ffffc
	s_delay_alu instid0(SALU_CYCLE_3) | instskip(NEXT) | instid1(SALU_CYCLE_3)
	s_mul_f32 s2, s0, 0x2f800000
	s_trunc_f32 s2, s2
	s_delay_alu instid0(SALU_CYCLE_3) | instskip(SKIP_1) | instid1(SALU_CYCLE_2)
	s_fmamk_f32 s0, s2, 0xcf800000, s0
	s_cvt_u32_f32 s91, s2
	s_cvt_u32_f32 s90, s0
	s_delay_alu instid0(SALU_CYCLE_3) | instskip(NEXT) | instid1(SALU_CYCLE_1)
	s_mul_u64 s[94:95], s[92:93], s[90:91]
	s_mul_hi_u32 s97, s90, s95
	s_mul_i32 s96, s90, s95
	s_mul_hi_u32 s2, s90, s94
	s_mul_i32 s83, s91, s94
	s_add_nc_u64 s[96:97], s[2:3], s[96:97]
	s_mul_hi_u32 s0, s91, s94
	s_mul_hi_u32 s89, s91, s95
	s_add_co_u32 s2, s96, s83
	s_add_co_ci_u32 s2, s97, s0
	s_mul_i32 s94, s91, s95
	s_add_co_ci_u32 s95, s89, 0
	s_delay_alu instid0(SALU_CYCLE_1) | instskip(NEXT) | instid1(SALU_CYCLE_1)
	s_add_nc_u64 s[94:95], s[2:3], s[94:95]
	s_add_co_u32 s90, s90, s94
	s_cselect_b32 s0, -1, 0
	s_delay_alu instid0(SALU_CYCLE_1) | instskip(SKIP_1) | instid1(SALU_CYCLE_1)
	s_cmp_lg_u32 s0, 0
	s_add_co_ci_u32 s91, s91, s95
	s_mul_u64 s[92:93], s[92:93], s[90:91]
	s_delay_alu instid0(SALU_CYCLE_1)
	s_mul_hi_u32 s95, s90, s93
	s_mul_i32 s94, s90, s93
	s_mul_hi_u32 s2, s90, s92
	s_mul_i32 s83, s91, s92
	s_add_nc_u64 s[94:95], s[2:3], s[94:95]
	s_mul_hi_u32 s0, s91, s92
	s_mul_hi_u32 s89, s91, s93
	s_add_co_u32 s2, s94, s83
	s_add_co_ci_u32 s2, s95, s0
	s_mul_i32 s92, s91, s93
	s_add_co_ci_u32 s93, s89, 0
	s_delay_alu instid0(SALU_CYCLE_1) | instskip(NEXT) | instid1(SALU_CYCLE_1)
	s_add_nc_u64 s[92:93], s[2:3], s[92:93]
	s_add_co_u32 s0, s90, s92
	s_cselect_b32 s2, -1, 0
	v_mul_hi_u32 v38, v26, s0
	s_cmp_lg_u32 s2, 0
	s_add_co_ci_u32 s2, s91, s93
	s_and_b64 s[90:91], s[0:1], s[76:77]
	v_mul_u64_e32 v[28:29], s[2:3], v[26:27]
	v_mul_u64_e32 v[24:25], s[90:91], v[30:31]
	;; [unrolled: 1-line block ×3, first 2 shown]
	s_delay_alu instid0(VALU_DEP_3) | instskip(NEXT) | instid1(VALU_DEP_1)
	v_add_nc_u64_e32 v[28:29], v[38:39], v[28:29]
	v_add_co_u32 v3, vcc_lo, v28, v24
	s_delay_alu instid0(VALU_DEP_2) | instskip(NEXT) | instid1(VALU_DEP_4)
	v_add_co_ci_u32_e32 v38, vcc_lo, v29, v25, vcc_lo
	v_add_co_ci_u32_e32 v37, vcc_lo, 0, v37, vcc_lo
	s_delay_alu instid0(VALU_DEP_1) | instskip(NEXT) | instid1(VALU_DEP_1)
	v_add_nc_u64_e32 v[24:25], v[38:39], v[36:37]
	v_mul_u64_e32 v[28:29], s[84:85], v[24:25]
	s_delay_alu instid0(VALU_DEP_1) | instskip(NEXT) | instid1(VALU_DEP_2)
	v_sub_nc_u32_e32 v3, v30, v29
	v_sub_co_u32 v13, vcc_lo, v26, v28
	s_delay_alu instid0(VALU_DEP_1) | instskip(NEXT) | instid1(VALU_DEP_3)
	v_sub_co_ci_u32_e64 v30, null, v30, v29, vcc_lo
	v_subrev_co_ci_u32_e64 v3, null, s85, v3, vcc_lo
	s_delay_alu instid0(VALU_DEP_3) | instskip(SKIP_1) | instid1(VALU_DEP_3)
	v_sub_co_u32 v23, s0, v13, s84
	v_add_nc_u64_e32 v[28:29], 1, v[24:25]
	v_subrev_co_ci_u32_e64 v3, null, 0, v3, s0
	s_delay_alu instid0(VALU_DEP_3) | instskip(SKIP_1) | instid1(VALU_DEP_3)
	v_cmp_le_u32_e32 vcc_lo, s84, v23
	v_cndmask_b32_e64 v23, 0, -1, vcc_lo
	v_cmp_le_u32_e32 vcc_lo, s85, v3
	v_cndmask_b32_e64 v26, 0, -1, vcc_lo
	v_cmp_le_u32_e32 vcc_lo, s84, v13
	v_cndmask_b32_e64 v13, 0, -1, vcc_lo
	v_cmp_le_u32_e32 vcc_lo, s85, v30
	v_cndmask_b32_e64 v31, 0, -1, vcc_lo
	v_cmp_eq_u32_e32 vcc_lo, s85, v3
	v_cndmask_b32_e32 v3, v26, v23, vcc_lo
	v_cmp_eq_u32_e32 vcc_lo, s85, v30
	v_add_nc_u64_e32 v[26:27], 2, v[24:25]
	v_dual_mov_b32 v23, v22 :: v_dual_cndmask_b32 v13, v31, v13, vcc_lo
	s_delay_alu instid0(VALU_DEP_4) | instskip(NEXT) | instid1(VALU_DEP_2)
	v_cmp_ne_u32_e32 vcc_lo, 0, v3
	v_cmp_ne_u32_e64 s0, 0, v13
	s_delay_alu instid0(VALU_DEP_4) | instskip(NEXT) | instid1(VALU_DEP_1)
	v_dual_cndmask_b32 v13, v28, v26, vcc_lo :: v_dual_cndmask_b32 v3, v29, v27, vcc_lo
	v_dual_cndmask_b32 v13, v24, v13, s0 :: v_dual_cndmask_b32 v3, v25, v3, s0
	s_delay_alu instid0(VALU_DEP_1) | instskip(NEXT) | instid1(VALU_DEP_2)
	v_xor_b32_e32 v24, v13, v22
	v_xor_b32_e32 v25, v3, v22
	s_delay_alu instid0(VALU_DEP_1)
	v_sub_nc_u64_e32 v[22:23], v[24:25], v[22:23]
.LBB23_41:                              ;   in Loop: Header=BB23_3 Depth=1
	s_and_not1_saveexec_b32 s0, s88
	s_cbranch_execz .LBB23_43
; %bb.42:                               ;   in Loop: Header=BB23_3 Depth=1
	v_cvt_f32_u32_e32 v3, s52
	s_sub_co_i32 s2, 0, s52
	s_delay_alu instid0(VALU_DEP_1) | instskip(SKIP_1) | instid1(TRANS32_DEP_1)
	v_rcp_iflag_f32_e32 v3, v3
	v_nop
	v_mul_f32_e32 v3, 0x4f7ffffe, v3
	s_delay_alu instid0(VALU_DEP_1) | instskip(NEXT) | instid1(VALU_DEP_1)
	v_cvt_u32_f32_e32 v3, v3
	v_mul_lo_u32 v13, s2, v3
	s_delay_alu instid0(VALU_DEP_1) | instskip(NEXT) | instid1(VALU_DEP_1)
	v_mul_hi_u32 v13, v3, v13
	v_add_nc_u32_e32 v3, v3, v13
	s_delay_alu instid0(VALU_DEP_1) | instskip(NEXT) | instid1(VALU_DEP_1)
	v_mul_hi_u32 v3, v0, v3
	v_mul_lo_u32 v13, v3, s52
	s_delay_alu instid0(VALU_DEP_1) | instskip(NEXT) | instid1(VALU_DEP_1)
	v_dual_add_nc_u32 v22, 1, v3 :: v_dual_sub_nc_u32 v13, v0, v13
	v_subrev_nc_u32_e32 v23, s52, v13
	v_cmp_le_u32_e32 vcc_lo, s52, v13
	s_delay_alu instid0(VALU_DEP_2) | instskip(NEXT) | instid1(VALU_DEP_4)
	v_dual_cndmask_b32 v13, v13, v23, vcc_lo :: v_dual_mov_b32 v23, v2
	v_cndmask_b32_e32 v3, v3, v22, vcc_lo
	s_delay_alu instid0(VALU_DEP_2) | instskip(NEXT) | instid1(VALU_DEP_2)
	v_cmp_le_u32_e32 vcc_lo, s52, v13
	v_add_nc_u32_e32 v22, 1, v3
	s_delay_alu instid0(VALU_DEP_1)
	v_cndmask_b32_e32 v22, v3, v22, vcc_lo
.LBB23_43:                              ;   in Loop: Header=BB23_3 Depth=1
	s_or_b32 exec_lo, exec_lo, s0
	s_delay_alu instid0(VALU_DEP_1) | instskip(SKIP_1) | instid1(VALU_DEP_1)
	v_mad_nc_u64_u32 v[24:25], s70, v22, v[0:1]
	s_mov_b32 s0, exec_lo
	v_mad_u32 v3, s71, v22, v25
	s_delay_alu instid0(VALU_DEP_1) | instskip(SKIP_2) | instid1(VALU_DEP_3)
	v_mad_u32 v25, s70, v23, v3
	v_mul_u64_e32 v[22:23], s[20:21], v[22:23]
	v_or_b32_e32 v3, s55, v1
	v_mul_u64_e32 v[24:25], s[22:23], v[24:25]
	s_delay_alu instid0(VALU_DEP_3) | instskip(NEXT) | instid1(VALU_DEP_1)
	v_lshl_add_u64 v[22:23], v[22:23], 2, s[50:51]
	v_lshl_add_u64 v[22:23], v[24:25], 2, v[22:23]
	global_load_b32 v28, v[22:23], off
                                        ; implicit-def: $vgpr22_vgpr23
	s_wait_xcnt 0x0
	v_cmpx_ne_u64_e32 0, v[2:3]
	s_xor_b32 s88, exec_lo, s0
	s_cbranch_execz .LBB23_45
; %bb.44:                               ;   in Loop: Header=BB23_3 Depth=1
	s_ashr_i32 s82, s55, 31
	v_dual_mov_b32 v27, v2 :: v_dual_ashrrev_i32 v22, 31, v1
	s_mov_b32 s83, s82
	s_delay_alu instid0(SALU_CYCLE_1) | instskip(NEXT) | instid1(VALU_DEP_1)
	s_add_nc_u64 s[84:85], s[54:55], s[82:83]
	v_mov_b32_e32 v23, v22
	s_xor_b64 s[84:85], s[84:85], s[82:83]
	s_delay_alu instid0(SALU_CYCLE_1)
	s_cvt_f32_u32 s0, s84
	s_cvt_f32_u32 s2, s85
	s_sub_nc_u64 s[92:93], 0, s[84:85]
	v_add_nc_u64_e32 v[24:25], v[0:1], v[22:23]
	v_mov_b32_e32 v37, v2
	s_fmamk_f32 s0, s2, 0x4f800000, s0
	s_delay_alu instid0(SALU_CYCLE_3) | instskip(NEXT) | instid1(VALU_DEP_2)
	v_s_rcp_f32 s0, s0
	v_xor_b32_e32 v26, v24, v22
	s_delay_alu instid0(VALU_DEP_3) | instskip(NEXT) | instid1(TRANS32_DEP_1)
	v_dual_mov_b32 v41, v2 :: v_dual_bitop2_b32 v36, v25, v22 bitop3:0x14
	s_mul_f32 s0, s0, 0x5f7ffffc
	s_delay_alu instid0(SALU_CYCLE_3) | instskip(NEXT) | instid1(SALU_CYCLE_3)
	s_mul_f32 s2, s0, 0x2f800000
	s_trunc_f32 s2, s2
	s_delay_alu instid0(SALU_CYCLE_3) | instskip(SKIP_1) | instid1(SALU_CYCLE_2)
	s_fmamk_f32 s0, s2, 0xcf800000, s0
	s_cvt_u32_f32 s91, s2
	s_cvt_u32_f32 s90, s0
	s_delay_alu instid0(SALU_CYCLE_3) | instskip(NEXT) | instid1(SALU_CYCLE_1)
	s_mul_u64 s[94:95], s[92:93], s[90:91]
	s_mul_hi_u32 s97, s90, s95
	s_mul_i32 s96, s90, s95
	s_mul_hi_u32 s2, s90, s94
	s_mul_i32 s83, s91, s94
	s_add_nc_u64 s[96:97], s[2:3], s[96:97]
	s_mul_hi_u32 s0, s91, s94
	s_mul_hi_u32 s89, s91, s95
	s_add_co_u32 s2, s96, s83
	s_add_co_ci_u32 s2, s97, s0
	s_mul_i32 s94, s91, s95
	s_add_co_ci_u32 s95, s89, 0
	s_delay_alu instid0(SALU_CYCLE_1) | instskip(NEXT) | instid1(SALU_CYCLE_1)
	s_add_nc_u64 s[94:95], s[2:3], s[94:95]
	s_add_co_u32 s90, s90, s94
	s_cselect_b32 s0, -1, 0
	s_delay_alu instid0(SALU_CYCLE_1) | instskip(SKIP_1) | instid1(SALU_CYCLE_1)
	s_cmp_lg_u32 s0, 0
	s_add_co_ci_u32 s91, s91, s95
	s_mul_u64 s[92:93], s[92:93], s[90:91]
	s_delay_alu instid0(SALU_CYCLE_1)
	s_mul_hi_u32 s95, s90, s93
	s_mul_i32 s94, s90, s93
	s_mul_hi_u32 s2, s90, s92
	s_mul_i32 s83, s91, s92
	s_add_nc_u64 s[94:95], s[2:3], s[94:95]
	s_mul_hi_u32 s0, s91, s92
	s_mul_hi_u32 s89, s91, s93
	s_add_co_u32 s2, s94, s83
	s_add_co_ci_u32 s2, s95, s0
	s_mul_i32 s92, s91, s93
	s_add_co_ci_u32 s93, s89, 0
	s_delay_alu instid0(SALU_CYCLE_1) | instskip(NEXT) | instid1(SALU_CYCLE_1)
	s_add_nc_u64 s[92:93], s[2:3], s[92:93]
	s_add_co_u32 s0, s90, s92
	s_cselect_b32 s2, -1, 0
	v_mul_hi_u32 v40, v26, s0
	s_cmp_lg_u32 s2, 0
	s_add_co_ci_u32 s2, s91, s93
	s_and_b64 s[90:91], s[0:1], s[76:77]
	v_mul_u64_e32 v[30:31], s[2:3], v[26:27]
	v_mul_u64_e32 v[24:25], s[90:91], v[36:37]
	;; [unrolled: 1-line block ×3, first 2 shown]
	s_delay_alu instid0(VALU_DEP_3) | instskip(NEXT) | instid1(VALU_DEP_1)
	v_add_nc_u64_e32 v[30:31], v[40:41], v[30:31]
	v_add_co_u32 v3, vcc_lo, v30, v24
	s_delay_alu instid0(VALU_DEP_2) | instskip(NEXT) | instid1(VALU_DEP_4)
	v_add_co_ci_u32_e32 v40, vcc_lo, v31, v25, vcc_lo
	v_add_co_ci_u32_e32 v39, vcc_lo, 0, v39, vcc_lo
	s_delay_alu instid0(VALU_DEP_1) | instskip(NEXT) | instid1(VALU_DEP_1)
	v_add_nc_u64_e32 v[24:25], v[40:41], v[38:39]
	v_mul_u64_e32 v[30:31], s[84:85], v[24:25]
	s_delay_alu instid0(VALU_DEP_1) | instskip(NEXT) | instid1(VALU_DEP_2)
	v_sub_nc_u32_e32 v3, v36, v31
	v_sub_co_u32 v13, vcc_lo, v26, v30
	s_delay_alu instid0(VALU_DEP_1) | instskip(NEXT) | instid1(VALU_DEP_3)
	v_sub_co_ci_u32_e64 v29, null, v36, v31, vcc_lo
	v_subrev_co_ci_u32_e64 v3, null, s85, v3, vcc_lo
	s_delay_alu instid0(VALU_DEP_3) | instskip(SKIP_1) | instid1(VALU_DEP_3)
	v_sub_co_u32 v23, s0, v13, s84
	v_add_nc_u64_e32 v[30:31], 1, v[24:25]
	v_subrev_co_ci_u32_e64 v3, null, 0, v3, s0
	s_delay_alu instid0(VALU_DEP_3) | instskip(SKIP_1) | instid1(VALU_DEP_3)
	v_cmp_le_u32_e32 vcc_lo, s84, v23
	v_cndmask_b32_e64 v23, 0, -1, vcc_lo
	v_cmp_le_u32_e32 vcc_lo, s85, v3
	v_cndmask_b32_e64 v26, 0, -1, vcc_lo
	;; [unrolled: 2-line block ×4, first 2 shown]
	v_cmp_eq_u32_e32 vcc_lo, s85, v3
	v_cndmask_b32_e32 v3, v26, v23, vcc_lo
	v_cmp_eq_u32_e32 vcc_lo, s85, v29
	v_add_nc_u64_e32 v[26:27], 2, v[24:25]
	v_cndmask_b32_e32 v13, v36, v13, vcc_lo
	s_delay_alu instid0(VALU_DEP_4) | instskip(NEXT) | instid1(VALU_DEP_2)
	v_cmp_ne_u32_e32 vcc_lo, 0, v3
	v_cmp_ne_u32_e64 s0, 0, v13
	s_delay_alu instid0(VALU_DEP_4) | instskip(NEXT) | instid1(VALU_DEP_1)
	v_dual_cndmask_b32 v3, v31, v27, vcc_lo :: v_dual_cndmask_b32 v13, v30, v26, vcc_lo
	v_dual_cndmask_b32 v3, v25, v3, s0 :: v_dual_bitop2_b32 v22, s82, v22 bitop3:0x14
	s_delay_alu instid0(VALU_DEP_1) | instskip(NEXT) | instid1(VALU_DEP_2)
	v_dual_cndmask_b32 v13, v24, v13, s0 :: v_dual_mov_b32 v23, v22
	v_xor_b32_e32 v25, v3, v22
	s_delay_alu instid0(VALU_DEP_2) | instskip(NEXT) | instid1(VALU_DEP_1)
	v_xor_b32_e32 v24, v13, v22
	v_sub_nc_u64_e32 v[22:23], v[24:25], v[22:23]
.LBB23_45:                              ;   in Loop: Header=BB23_3 Depth=1
	s_and_not1_saveexec_b32 s0, s88
	s_cbranch_execz .LBB23_47
; %bb.46:                               ;   in Loop: Header=BB23_3 Depth=1
	v_cvt_f32_u32_e32 v3, s54
	s_sub_co_i32 s2, 0, s54
	s_delay_alu instid0(VALU_DEP_1) | instskip(SKIP_1) | instid1(TRANS32_DEP_1)
	v_rcp_iflag_f32_e32 v3, v3
	v_nop
	v_mul_f32_e32 v3, 0x4f7ffffe, v3
	s_delay_alu instid0(VALU_DEP_1) | instskip(NEXT) | instid1(VALU_DEP_1)
	v_cvt_u32_f32_e32 v3, v3
	v_mul_lo_u32 v13, s2, v3
	s_delay_alu instid0(VALU_DEP_1) | instskip(NEXT) | instid1(VALU_DEP_1)
	v_mul_hi_u32 v13, v3, v13
	v_add_nc_u32_e32 v3, v3, v13
	s_delay_alu instid0(VALU_DEP_1) | instskip(NEXT) | instid1(VALU_DEP_1)
	v_mul_hi_u32 v3, v0, v3
	v_mul_lo_u32 v13, v3, s54
	s_delay_alu instid0(VALU_DEP_1) | instskip(NEXT) | instid1(VALU_DEP_1)
	v_dual_add_nc_u32 v22, 1, v3 :: v_dual_sub_nc_u32 v13, v0, v13
	v_subrev_nc_u32_e32 v23, s54, v13
	v_cmp_le_u32_e32 vcc_lo, s54, v13
	s_delay_alu instid0(VALU_DEP_2) | instskip(NEXT) | instid1(VALU_DEP_4)
	v_dual_cndmask_b32 v13, v13, v23, vcc_lo :: v_dual_mov_b32 v23, v2
	v_cndmask_b32_e32 v3, v3, v22, vcc_lo
	s_delay_alu instid0(VALU_DEP_2) | instskip(NEXT) | instid1(VALU_DEP_2)
	v_cmp_le_u32_e32 vcc_lo, s54, v13
	v_add_nc_u32_e32 v22, 1, v3
	s_delay_alu instid0(VALU_DEP_1)
	v_cndmask_b32_e32 v22, v3, v22, vcc_lo
.LBB23_47:                              ;   in Loop: Header=BB23_3 Depth=1
	s_or_b32 exec_lo, exec_lo, s0
	s_delay_alu instid0(VALU_DEP_1) | instskip(SKIP_1) | instid1(VALU_DEP_1)
	v_mad_nc_u64_u32 v[24:25], s72, v22, v[0:1]
	s_mov_b32 s0, exec_lo
	v_mad_u32 v3, s73, v22, v25
	s_delay_alu instid0(VALU_DEP_1) | instskip(SKIP_2) | instid1(VALU_DEP_3)
	v_mad_u32 v25, s72, v23, v3
	v_mul_u64_e32 v[22:23], s[24:25], v[22:23]
	v_or_b32_e32 v3, s59, v1
	v_mul_u64_e32 v[24:25], s[26:27], v[24:25]
	s_delay_alu instid0(VALU_DEP_3) | instskip(NEXT) | instid1(VALU_DEP_1)
	v_lshl_add_u64 v[22:23], v[22:23], 2, s[60:61]
	v_lshl_add_u64 v[22:23], v[24:25], 2, v[22:23]
	global_load_b32 v13, v[22:23], off
                                        ; implicit-def: $vgpr22_vgpr23
	s_wait_xcnt 0x0
	v_cmpx_ne_u64_e32 0, v[2:3]
	s_xor_b32 s88, exec_lo, s0
	s_cbranch_execz .LBB23_63
; %bb.48:                               ;   in Loop: Header=BB23_3 Depth=1
	s_ashr_i32 s82, s59, 31
	v_dual_mov_b32 v27, v2 :: v_dual_ashrrev_i32 v22, 31, v1
	s_mov_b32 s83, s82
	s_delay_alu instid0(SALU_CYCLE_1) | instskip(NEXT) | instid1(VALU_DEP_1)
	s_add_nc_u64 s[84:85], s[58:59], s[82:83]
	v_mov_b32_e32 v23, v22
	s_xor_b64 s[84:85], s[84:85], s[82:83]
	s_delay_alu instid0(SALU_CYCLE_1)
	s_cvt_f32_u32 s0, s84
	s_cvt_f32_u32 s2, s85
	s_sub_nc_u64 s[92:93], 0, s[84:85]
	v_add_nc_u64_e32 v[24:25], v[0:1], v[22:23]
	v_mov_b32_e32 v37, v2
	s_fmamk_f32 s0, s2, 0x4f800000, s0
	s_delay_alu instid0(SALU_CYCLE_3) | instskip(NEXT) | instid1(VALU_DEP_2)
	v_s_rcp_f32 s0, s0
	v_xor_b32_e32 v26, v24, v22
	s_delay_alu instid0(VALU_DEP_3) | instskip(NEXT) | instid1(TRANS32_DEP_1)
	v_dual_mov_b32 v41, v2 :: v_dual_bitop2_b32 v36, v25, v22 bitop3:0x14
	s_mul_f32 s0, s0, 0x5f7ffffc
	s_delay_alu instid0(SALU_CYCLE_3) | instskip(NEXT) | instid1(SALU_CYCLE_3)
	s_mul_f32 s2, s0, 0x2f800000
	s_trunc_f32 s2, s2
	s_delay_alu instid0(SALU_CYCLE_3) | instskip(SKIP_1) | instid1(SALU_CYCLE_2)
	s_fmamk_f32 s0, s2, 0xcf800000, s0
	s_cvt_u32_f32 s91, s2
	s_cvt_u32_f32 s90, s0
	s_delay_alu instid0(SALU_CYCLE_3) | instskip(NEXT) | instid1(SALU_CYCLE_1)
	s_mul_u64 s[94:95], s[92:93], s[90:91]
	s_mul_hi_u32 s97, s90, s95
	s_mul_i32 s96, s90, s95
	s_mul_hi_u32 s2, s90, s94
	s_mul_i32 s83, s91, s94
	s_add_nc_u64 s[96:97], s[2:3], s[96:97]
	s_mul_hi_u32 s0, s91, s94
	s_mul_hi_u32 s89, s91, s95
	s_add_co_u32 s2, s96, s83
	s_add_co_ci_u32 s2, s97, s0
	s_mul_i32 s94, s91, s95
	s_add_co_ci_u32 s95, s89, 0
	s_delay_alu instid0(SALU_CYCLE_1) | instskip(NEXT) | instid1(SALU_CYCLE_1)
	s_add_nc_u64 s[94:95], s[2:3], s[94:95]
	s_add_co_u32 s90, s90, s94
	s_cselect_b32 s0, -1, 0
	s_delay_alu instid0(SALU_CYCLE_1) | instskip(SKIP_1) | instid1(SALU_CYCLE_1)
	s_cmp_lg_u32 s0, 0
	s_add_co_ci_u32 s91, s91, s95
	s_mul_u64 s[92:93], s[92:93], s[90:91]
	s_delay_alu instid0(SALU_CYCLE_1)
	s_mul_hi_u32 s95, s90, s93
	s_mul_i32 s94, s90, s93
	s_mul_hi_u32 s2, s90, s92
	s_mul_i32 s83, s91, s92
	s_add_nc_u64 s[94:95], s[2:3], s[94:95]
	s_mul_hi_u32 s0, s91, s92
	s_mul_hi_u32 s89, s91, s93
	s_add_co_u32 s2, s94, s83
	s_add_co_ci_u32 s2, s95, s0
	s_mul_i32 s92, s91, s93
	s_add_co_ci_u32 s93, s89, 0
	s_delay_alu instid0(SALU_CYCLE_1) | instskip(NEXT) | instid1(SALU_CYCLE_1)
	s_add_nc_u64 s[92:93], s[2:3], s[92:93]
	s_add_co_u32 s0, s90, s92
	s_cselect_b32 s2, -1, 0
	v_mul_hi_u32 v40, v26, s0
	s_cmp_lg_u32 s2, 0
	s_add_co_ci_u32 s2, s91, s93
	s_and_b64 s[90:91], s[0:1], s[76:77]
	v_mul_u64_e32 v[30:31], s[2:3], v[26:27]
	v_mul_u64_e32 v[24:25], s[90:91], v[36:37]
	;; [unrolled: 1-line block ×3, first 2 shown]
	s_delay_alu instid0(VALU_DEP_3) | instskip(NEXT) | instid1(VALU_DEP_1)
	v_add_nc_u64_e32 v[30:31], v[40:41], v[30:31]
	v_add_co_u32 v3, vcc_lo, v30, v24
	s_delay_alu instid0(VALU_DEP_2) | instskip(NEXT) | instid1(VALU_DEP_4)
	v_add_co_ci_u32_e32 v40, vcc_lo, v31, v25, vcc_lo
	v_add_co_ci_u32_e32 v39, vcc_lo, 0, v39, vcc_lo
	s_delay_alu instid0(VALU_DEP_1) | instskip(NEXT) | instid1(VALU_DEP_1)
	v_add_nc_u64_e32 v[24:25], v[40:41], v[38:39]
	v_mul_u64_e32 v[30:31], s[84:85], v[24:25]
	s_delay_alu instid0(VALU_DEP_1) | instskip(NEXT) | instid1(VALU_DEP_2)
	v_sub_nc_u32_e32 v3, v36, v31
	v_sub_co_u32 v23, vcc_lo, v26, v30
	s_delay_alu instid0(VALU_DEP_1) | instskip(NEXT) | instid1(VALU_DEP_3)
	v_sub_co_ci_u32_e64 v29, null, v36, v31, vcc_lo
	v_subrev_co_ci_u32_e64 v3, null, s85, v3, vcc_lo
	s_delay_alu instid0(VALU_DEP_3) | instskip(SKIP_1) | instid1(VALU_DEP_3)
	v_sub_co_u32 v26, s0, v23, s84
	v_add_nc_u64_e32 v[30:31], 1, v[24:25]
	v_subrev_co_ci_u32_e64 v3, null, 0, v3, s0
	s_delay_alu instid0(VALU_DEP_3) | instskip(SKIP_1) | instid1(VALU_DEP_3)
	v_cmp_le_u32_e32 vcc_lo, s84, v26
	v_cndmask_b32_e64 v26, 0, -1, vcc_lo
	v_cmp_le_u32_e32 vcc_lo, s85, v3
	v_cndmask_b32_e64 v27, 0, -1, vcc_lo
	;; [unrolled: 2-line block ×4, first 2 shown]
	v_cmp_eq_u32_e32 vcc_lo, s85, v3
	v_cndmask_b32_e32 v3, v27, v26, vcc_lo
	v_cmp_eq_u32_e32 vcc_lo, s85, v29
	v_add_nc_u64_e32 v[26:27], 2, v[24:25]
	v_cndmask_b32_e32 v23, v36, v23, vcc_lo
	s_delay_alu instid0(VALU_DEP_4) | instskip(NEXT) | instid1(VALU_DEP_2)
	v_cmp_ne_u32_e32 vcc_lo, 0, v3
	v_cmp_ne_u32_e64 s0, 0, v23
	s_delay_alu instid0(VALU_DEP_4) | instskip(NEXT) | instid1(VALU_DEP_1)
	v_dual_cndmask_b32 v3, v31, v27, vcc_lo :: v_dual_cndmask_b32 v23, v30, v26, vcc_lo
	v_dual_cndmask_b32 v3, v25, v3, s0 :: v_dual_bitop2_b32 v22, s82, v22 bitop3:0x14
	s_delay_alu instid0(VALU_DEP_1) | instskip(NEXT) | instid1(VALU_DEP_2)
	v_dual_cndmask_b32 v24, v24, v23, s0 :: v_dual_mov_b32 v23, v22
	v_xor_b32_e32 v25, v3, v22
	s_delay_alu instid0(VALU_DEP_2) | instskip(NEXT) | instid1(VALU_DEP_1)
	v_xor_b32_e32 v24, v24, v22
	v_sub_nc_u64_e32 v[22:23], v[24:25], v[22:23]
	s_and_not1_saveexec_b32 s0, s88
	s_cbranch_execnz .LBB23_64
.LBB23_49:                              ;   in Loop: Header=BB23_3 Depth=1
	s_or_b32 exec_lo, exec_lo, s0
	s_delay_alu instid0(SALU_CYCLE_1)
	s_and_not1_b32 vcc_lo, exec_lo, s1
	s_cbranch_vccnz .LBB23_65
.LBB23_50:                              ;   in Loop: Header=BB23_3 Depth=1
	v_or_b32_e32 v3, s63, v1
                                        ; implicit-def: $vgpr24_vgpr25
	s_mov_b32 s0, exec_lo
	s_delay_alu instid0(VALU_DEP_1)
	v_cmpx_ne_u64_e32 0, v[2:3]
	s_xor_b32 s88, exec_lo, s0
	s_cbranch_execz .LBB23_52
; %bb.51:                               ;   in Loop: Header=BB23_3 Depth=1
	s_ashr_i32 s82, s63, 31
	v_dual_mov_b32 v31, v2 :: v_dual_ashrrev_i32 v24, 31, v1
	s_mov_b32 s83, s82
	v_mov_b32_e32 v43, v2
	s_add_nc_u64 s[84:85], s[62:63], s[82:83]
	s_delay_alu instid0(VALU_DEP_2) | instskip(SKIP_1) | instid1(SALU_CYCLE_1)
	v_mov_b32_e32 v25, v24
	s_xor_b64 s[84:85], s[84:85], s[82:83]
	s_cvt_f32_u32 s0, s84
	s_cvt_f32_u32 s2, s85
	s_sub_nc_u64 s[92:93], 0, s[84:85]
	v_add_nc_u64_e32 v[26:27], v[0:1], v[24:25]
	v_mov_b32_e32 v39, v2
	s_fmamk_f32 s0, s2, 0x4f800000, s0
	s_delay_alu instid0(SALU_CYCLE_3) | instskip(NEXT) | instid1(VALU_DEP_2)
	v_s_rcp_f32 s0, s0
	v_xor_b32_e32 v30, v26, v24
	s_delay_alu instid0(VALU_DEP_3) | instskip(SKIP_1) | instid1(TRANS32_DEP_1)
	v_xor_b32_e32 v38, v27, v24
	v_xor_b32_e32 v24, s82, v24
	s_mul_f32 s0, s0, 0x5f7ffffc
	s_delay_alu instid0(SALU_CYCLE_3) | instskip(NEXT) | instid1(SALU_CYCLE_3)
	s_mul_f32 s2, s0, 0x2f800000
	s_trunc_f32 s2, s2
	s_delay_alu instid0(SALU_CYCLE_3) | instskip(SKIP_1) | instid1(SALU_CYCLE_2)
	s_fmamk_f32 s0, s2, 0xcf800000, s0
	s_cvt_u32_f32 s91, s2
	s_cvt_u32_f32 s90, s0
	s_delay_alu instid0(SALU_CYCLE_3) | instskip(NEXT) | instid1(SALU_CYCLE_1)
	s_mul_u64 s[94:95], s[92:93], s[90:91]
	s_mul_hi_u32 s97, s90, s95
	s_mul_i32 s96, s90, s95
	s_mul_hi_u32 s2, s90, s94
	s_mul_i32 s83, s91, s94
	s_add_nc_u64 s[96:97], s[2:3], s[96:97]
	s_mul_hi_u32 s0, s91, s94
	s_mul_hi_u32 s89, s91, s95
	s_add_co_u32 s2, s96, s83
	s_add_co_ci_u32 s2, s97, s0
	s_mul_i32 s94, s91, s95
	s_add_co_ci_u32 s95, s89, 0
	s_delay_alu instid0(SALU_CYCLE_1) | instskip(NEXT) | instid1(SALU_CYCLE_1)
	s_add_nc_u64 s[94:95], s[2:3], s[94:95]
	s_add_co_u32 s90, s90, s94
	s_cselect_b32 s0, -1, 0
	s_delay_alu instid0(SALU_CYCLE_1) | instskip(SKIP_1) | instid1(SALU_CYCLE_1)
	s_cmp_lg_u32 s0, 0
	s_add_co_ci_u32 s91, s91, s95
	s_mul_u64 s[92:93], s[92:93], s[90:91]
	s_delay_alu instid0(SALU_CYCLE_1)
	s_mul_hi_u32 s95, s90, s93
	s_mul_i32 s94, s90, s93
	s_mul_hi_u32 s2, s90, s92
	s_mul_i32 s83, s91, s92
	s_add_nc_u64 s[94:95], s[2:3], s[94:95]
	s_mul_hi_u32 s0, s91, s92
	s_mul_hi_u32 s89, s91, s93
	s_add_co_u32 s2, s94, s83
	s_add_co_ci_u32 s2, s95, s0
	s_mul_i32 s92, s91, s93
	s_add_co_ci_u32 s93, s89, 0
	s_delay_alu instid0(SALU_CYCLE_1) | instskip(NEXT) | instid1(SALU_CYCLE_1)
	s_add_nc_u64 s[92:93], s[2:3], s[92:93]
	s_add_co_u32 s0, s90, s92
	s_cselect_b32 s2, -1, 0
	v_mul_hi_u32 v42, v30, s0
	s_cmp_lg_u32 s2, 0
	s_add_co_ci_u32 s2, s91, s93
	s_and_b64 s[90:91], s[0:1], s[76:77]
	v_mul_u64_e32 v[36:37], s[2:3], v[30:31]
	v_mul_u64_e32 v[26:27], s[90:91], v[38:39]
	;; [unrolled: 1-line block ×3, first 2 shown]
	s_delay_alu instid0(VALU_DEP_3) | instskip(NEXT) | instid1(VALU_DEP_1)
	v_add_nc_u64_e32 v[36:37], v[42:43], v[36:37]
	v_add_co_u32 v3, vcc_lo, v36, v26
	s_delay_alu instid0(VALU_DEP_2) | instskip(NEXT) | instid1(VALU_DEP_4)
	v_add_co_ci_u32_e32 v42, vcc_lo, v37, v27, vcc_lo
	v_add_co_ci_u32_e32 v41, vcc_lo, 0, v41, vcc_lo
	s_delay_alu instid0(VALU_DEP_1) | instskip(NEXT) | instid1(VALU_DEP_1)
	v_add_nc_u64_e32 v[26:27], v[42:43], v[40:41]
	v_mul_u64_e32 v[36:37], s[84:85], v[26:27]
	s_delay_alu instid0(VALU_DEP_1) | instskip(NEXT) | instid1(VALU_DEP_2)
	v_sub_nc_u32_e32 v3, v38, v37
	v_sub_co_u32 v25, vcc_lo, v30, v36
	s_delay_alu instid0(VALU_DEP_1) | instskip(NEXT) | instid1(VALU_DEP_3)
	v_sub_co_ci_u32_e64 v38, null, v38, v37, vcc_lo
	v_subrev_co_ci_u32_e64 v3, null, s85, v3, vcc_lo
	s_delay_alu instid0(VALU_DEP_3) | instskip(SKIP_1) | instid1(VALU_DEP_3)
	v_sub_co_u32 v29, s0, v25, s84
	v_add_nc_u64_e32 v[36:37], 1, v[26:27]
	v_subrev_co_ci_u32_e64 v3, null, 0, v3, s0
	s_delay_alu instid0(VALU_DEP_3) | instskip(SKIP_1) | instid1(VALU_DEP_3)
	v_cmp_le_u32_e32 vcc_lo, s84, v29
	v_cndmask_b32_e64 v29, 0, -1, vcc_lo
	v_cmp_le_u32_e32 vcc_lo, s85, v3
	v_cndmask_b32_e64 v30, 0, -1, vcc_lo
	;; [unrolled: 2-line block ×4, first 2 shown]
	v_cmp_eq_u32_e32 vcc_lo, s85, v3
	v_cndmask_b32_e32 v3, v30, v29, vcc_lo
	v_cmp_eq_u32_e32 vcc_lo, s85, v38
	v_add_nc_u64_e32 v[30:31], 2, v[26:27]
	v_cndmask_b32_e32 v25, v39, v25, vcc_lo
	s_delay_alu instid0(VALU_DEP_4) | instskip(NEXT) | instid1(VALU_DEP_2)
	v_cmp_ne_u32_e32 vcc_lo, 0, v3
	v_cmp_ne_u32_e64 s0, 0, v25
	s_delay_alu instid0(VALU_DEP_4) | instskip(NEXT) | instid1(VALU_DEP_1)
	v_dual_cndmask_b32 v25, v36, v30, vcc_lo :: v_dual_cndmask_b32 v3, v37, v31, vcc_lo
	v_dual_cndmask_b32 v26, v26, v25, s0 :: v_dual_cndmask_b32 v3, v27, v3, s0
	s_delay_alu instid0(VALU_DEP_1) | instskip(NEXT) | instid1(VALU_DEP_2)
	v_dual_mov_b32 v25, v24 :: v_dual_bitop2_b32 v26, v26, v24 bitop3:0x14
	v_xor_b32_e32 v27, v3, v24
	s_delay_alu instid0(VALU_DEP_1)
	v_sub_nc_u64_e32 v[24:25], v[26:27], v[24:25]
.LBB23_52:                              ;   in Loop: Header=BB23_3 Depth=1
	s_and_not1_saveexec_b32 s0, s88
	s_cbranch_execz .LBB23_54
; %bb.53:                               ;   in Loop: Header=BB23_3 Depth=1
	v_cvt_f32_u32_e32 v3, s62
	s_sub_co_i32 s2, 0, s62
	s_delay_alu instid0(VALU_DEP_1) | instskip(SKIP_1) | instid1(TRANS32_DEP_1)
	v_rcp_iflag_f32_e32 v3, v3
	v_nop
	v_mul_f32_e32 v3, 0x4f7ffffe, v3
	s_delay_alu instid0(VALU_DEP_1) | instskip(NEXT) | instid1(VALU_DEP_1)
	v_cvt_u32_f32_e32 v3, v3
	v_mul_lo_u32 v24, s2, v3
	s_delay_alu instid0(VALU_DEP_1) | instskip(NEXT) | instid1(VALU_DEP_1)
	v_mul_hi_u32 v24, v3, v24
	v_add_nc_u32_e32 v3, v3, v24
	s_delay_alu instid0(VALU_DEP_1) | instskip(NEXT) | instid1(VALU_DEP_1)
	v_mul_hi_u32 v3, v0, v3
	v_mul_lo_u32 v24, v3, s62
	s_delay_alu instid0(VALU_DEP_1) | instskip(NEXT) | instid1(VALU_DEP_1)
	v_dual_add_nc_u32 v25, 1, v3 :: v_dual_sub_nc_u32 v24, v0, v24
	v_subrev_nc_u32_e32 v26, s62, v24
	v_cmp_le_u32_e32 vcc_lo, s62, v24
	s_delay_alu instid0(VALU_DEP_2) | instskip(NEXT) | instid1(VALU_DEP_1)
	v_dual_cndmask_b32 v24, v24, v26 :: v_dual_cndmask_b32 v3, v3, v25
	v_cmp_le_u32_e32 vcc_lo, s62, v24
	s_delay_alu instid0(VALU_DEP_2) | instskip(NEXT) | instid1(VALU_DEP_1)
	v_add_nc_u32_e32 v25, 1, v3
	v_dual_cndmask_b32 v24, v3, v25 :: v_dual_mov_b32 v25, v2
.LBB23_54:                              ;   in Loop: Header=BB23_3 Depth=1
	s_or_b32 exec_lo, exec_lo, s0
	s_delay_alu instid0(VALU_DEP_1) | instskip(NEXT) | instid1(VALU_DEP_1)
	v_mad_nc_u64_u32 v[26:27], s78, v24, v[0:1]
	v_mad_u32 v3, s79, v24, v27
	s_delay_alu instid0(VALU_DEP_1) | instskip(SKIP_1) | instid1(VALU_DEP_2)
	v_mad_u32 v27, s78, v25, v3
	v_mul_u64_e32 v[24:25], s[8:9], v[24:25]
	v_mul_u64_e32 v[26:27], s[10:11], v[26:27]
	s_delay_alu instid0(VALU_DEP_2) | instskip(NEXT) | instid1(VALU_DEP_1)
	v_lshl_add_u64 v[24:25], v[24:25], 2, s[42:43]
	v_lshl_add_u64 v[24:25], v[26:27], 2, v[24:25]
	global_load_b32 v24, v[24:25], off
	s_and_not1_b32 vcc_lo, exec_lo, s33
	s_cbranch_vccnz .LBB23_66
.LBB23_55:                              ;   in Loop: Header=BB23_3 Depth=1
	v_or_b32_e32 v3, s65, v1
                                        ; implicit-def: $vgpr26_vgpr27
	s_mov_b32 s0, exec_lo
	s_wait_xcnt 0x0
	s_delay_alu instid0(VALU_DEP_1)
	v_cmpx_ne_u64_e32 0, v[2:3]
	s_xor_b32 s88, exec_lo, s0
	s_cbranch_execz .LBB23_57
; %bb.56:                               ;   in Loop: Header=BB23_3 Depth=1
	s_ashr_i32 s82, s65, 31
	v_dual_mov_b32 v37, v2 :: v_dual_ashrrev_i32 v26, 31, v1
	s_mov_b32 s83, s82
	v_mov_b32_e32 v41, v2
	s_add_nc_u64 s[84:85], s[64:65], s[82:83]
	s_delay_alu instid0(VALU_DEP_2)
	v_mov_b32_e32 v27, v26
	s_xor_b64 s[84:85], s[84:85], s[82:83]
	v_mov_b32_e32 v45, v2
	s_cvt_f32_u32 s0, s84
	s_cvt_f32_u32 s2, s85
	s_sub_nc_u64 s[92:93], 0, s[84:85]
	v_add_nc_u64_e32 v[30:31], v[0:1], v[26:27]
	s_delay_alu instid0(SALU_CYCLE_1) | instskip(NEXT) | instid1(SALU_CYCLE_3)
	s_fmamk_f32 s0, s2, 0x4f800000, s0
	v_s_rcp_f32 s0, s0
	s_delay_alu instid0(VALU_DEP_1) | instskip(NEXT) | instid1(VALU_DEP_2)
	v_xor_b32_e32 v40, v31, v26
	v_xor_b32_e32 v36, v30, v26
	;; [unrolled: 1-line block ×3, first 2 shown]
	s_delay_alu instid0(TRANS32_DEP_1) | instskip(NEXT) | instid1(SALU_CYCLE_3)
	s_mul_f32 s0, s0, 0x5f7ffffc
	s_mul_f32 s2, s0, 0x2f800000
	s_delay_alu instid0(SALU_CYCLE_3) | instskip(NEXT) | instid1(SALU_CYCLE_3)
	s_trunc_f32 s2, s2
	s_fmamk_f32 s0, s2, 0xcf800000, s0
	s_cvt_u32_f32 s91, s2
	s_delay_alu instid0(SALU_CYCLE_2) | instskip(NEXT) | instid1(SALU_CYCLE_3)
	s_cvt_u32_f32 s90, s0
	s_mul_u64 s[94:95], s[92:93], s[90:91]
	s_delay_alu instid0(SALU_CYCLE_1)
	s_mul_hi_u32 s97, s90, s95
	s_mul_i32 s96, s90, s95
	s_mul_hi_u32 s2, s90, s94
	s_mul_i32 s83, s91, s94
	s_add_nc_u64 s[96:97], s[2:3], s[96:97]
	s_mul_hi_u32 s0, s91, s94
	s_mul_hi_u32 s89, s91, s95
	s_add_co_u32 s2, s96, s83
	s_add_co_ci_u32 s2, s97, s0
	s_mul_i32 s94, s91, s95
	s_add_co_ci_u32 s95, s89, 0
	s_delay_alu instid0(SALU_CYCLE_1) | instskip(NEXT) | instid1(SALU_CYCLE_1)
	s_add_nc_u64 s[94:95], s[2:3], s[94:95]
	s_add_co_u32 s90, s90, s94
	s_cselect_b32 s0, -1, 0
	s_delay_alu instid0(SALU_CYCLE_1) | instskip(SKIP_1) | instid1(SALU_CYCLE_1)
	s_cmp_lg_u32 s0, 0
	s_add_co_ci_u32 s91, s91, s95
	s_mul_u64 s[92:93], s[92:93], s[90:91]
	s_delay_alu instid0(SALU_CYCLE_1)
	s_mul_hi_u32 s95, s90, s93
	s_mul_i32 s94, s90, s93
	s_mul_hi_u32 s2, s90, s92
	s_mul_i32 s83, s91, s92
	s_add_nc_u64 s[94:95], s[2:3], s[94:95]
	s_mul_hi_u32 s0, s91, s92
	s_mul_hi_u32 s89, s91, s93
	s_add_co_u32 s2, s94, s83
	s_add_co_ci_u32 s2, s95, s0
	s_mul_i32 s92, s91, s93
	s_add_co_ci_u32 s93, s89, 0
	s_delay_alu instid0(SALU_CYCLE_1) | instskip(NEXT) | instid1(SALU_CYCLE_1)
	s_add_nc_u64 s[92:93], s[2:3], s[92:93]
	s_add_co_u32 s0, s90, s92
	s_cselect_b32 s2, -1, 0
	v_mul_hi_u32 v44, v36, s0
	s_cmp_lg_u32 s2, 0
	s_add_co_ci_u32 s2, s91, s93
	s_and_b64 s[90:91], s[0:1], s[76:77]
	v_mul_u64_e32 v[38:39], s[2:3], v[36:37]
	v_mul_u64_e32 v[30:31], s[90:91], v[40:41]
	;; [unrolled: 1-line block ×3, first 2 shown]
	s_delay_alu instid0(VALU_DEP_3) | instskip(NEXT) | instid1(VALU_DEP_1)
	v_add_nc_u64_e32 v[38:39], v[44:45], v[38:39]
	v_add_co_u32 v3, vcc_lo, v38, v30
	s_delay_alu instid0(VALU_DEP_2) | instskip(NEXT) | instid1(VALU_DEP_4)
	v_add_co_ci_u32_e32 v44, vcc_lo, v39, v31, vcc_lo
	v_add_co_ci_u32_e32 v43, vcc_lo, 0, v43, vcc_lo
	s_delay_alu instid0(VALU_DEP_1) | instskip(NEXT) | instid1(VALU_DEP_1)
	v_add_nc_u64_e32 v[30:31], v[44:45], v[42:43]
	v_mul_u64_e32 v[38:39], s[84:85], v[30:31]
	s_delay_alu instid0(VALU_DEP_1) | instskip(NEXT) | instid1(VALU_DEP_2)
	v_sub_nc_u32_e32 v3, v40, v39
	v_sub_co_u32 v25, vcc_lo, v36, v38
	s_delay_alu instid0(VALU_DEP_1) | instskip(NEXT) | instid1(VALU_DEP_3)
	v_sub_co_ci_u32_e64 v29, null, v40, v39, vcc_lo
	v_subrev_co_ci_u32_e64 v3, null, s85, v3, vcc_lo
	s_delay_alu instid0(VALU_DEP_3) | instskip(SKIP_1) | instid1(VALU_DEP_3)
	v_sub_co_u32 v27, s0, v25, s84
	v_add_nc_u64_e32 v[38:39], 1, v[30:31]
	v_subrev_co_ci_u32_e64 v3, null, 0, v3, s0
	s_delay_alu instid0(VALU_DEP_3) | instskip(SKIP_1) | instid1(VALU_DEP_3)
	v_cmp_le_u32_e32 vcc_lo, s84, v27
	v_cndmask_b32_e64 v27, 0, -1, vcc_lo
	v_cmp_le_u32_e32 vcc_lo, s85, v3
	v_cndmask_b32_e64 v36, 0, -1, vcc_lo
	;; [unrolled: 2-line block ×4, first 2 shown]
	v_cmp_eq_u32_e32 vcc_lo, s85, v3
	v_cndmask_b32_e32 v3, v36, v27, vcc_lo
	v_cmp_eq_u32_e32 vcc_lo, s85, v29
	v_add_nc_u64_e32 v[36:37], 2, v[30:31]
	v_dual_mov_b32 v27, v26 :: v_dual_cndmask_b32 v25, v40, v25, vcc_lo
	s_delay_alu instid0(VALU_DEP_4) | instskip(NEXT) | instid1(VALU_DEP_2)
	v_cmp_ne_u32_e32 vcc_lo, 0, v3
	v_cmp_ne_u32_e64 s0, 0, v25
	s_delay_alu instid0(VALU_DEP_4) | instskip(NEXT) | instid1(VALU_DEP_1)
	v_dual_cndmask_b32 v3, v39, v37, vcc_lo :: v_dual_cndmask_b32 v25, v38, v36, vcc_lo
	v_dual_cndmask_b32 v3, v31, v3, s0 :: v_dual_cndmask_b32 v25, v30, v25, s0
	s_delay_alu instid0(VALU_DEP_1) | instskip(NEXT) | instid1(VALU_DEP_2)
	v_xor_b32_e32 v31, v3, v26
	v_xor_b32_e32 v30, v25, v26
	s_delay_alu instid0(VALU_DEP_1)
	v_sub_nc_u64_e32 v[26:27], v[30:31], v[26:27]
.LBB23_57:                              ;   in Loop: Header=BB23_3 Depth=1
	s_and_not1_saveexec_b32 s0, s88
	s_cbranch_execz .LBB23_59
; %bb.58:                               ;   in Loop: Header=BB23_3 Depth=1
	v_cvt_f32_u32_e32 v3, s64
	s_sub_co_i32 s2, 0, s64
	s_delay_alu instid0(VALU_DEP_1) | instskip(SKIP_1) | instid1(TRANS32_DEP_1)
	v_rcp_iflag_f32_e32 v3, v3
	v_nop
	v_mul_f32_e32 v3, 0x4f7ffffe, v3
	s_delay_alu instid0(VALU_DEP_1) | instskip(NEXT) | instid1(VALU_DEP_1)
	v_cvt_u32_f32_e32 v3, v3
	v_mul_lo_u32 v25, s2, v3
	s_delay_alu instid0(VALU_DEP_1) | instskip(NEXT) | instid1(VALU_DEP_1)
	v_mul_hi_u32 v25, v3, v25
	v_add_nc_u32_e32 v3, v3, v25
	s_delay_alu instid0(VALU_DEP_1) | instskip(NEXT) | instid1(VALU_DEP_1)
	v_mul_hi_u32 v3, v0, v3
	v_mul_lo_u32 v25, v3, s64
	s_delay_alu instid0(VALU_DEP_1) | instskip(NEXT) | instid1(VALU_DEP_1)
	v_dual_add_nc_u32 v26, 1, v3 :: v_dual_sub_nc_u32 v25, v0, v25
	v_subrev_nc_u32_e32 v27, s64, v25
	v_cmp_le_u32_e32 vcc_lo, s64, v25
	s_delay_alu instid0(VALU_DEP_2) | instskip(NEXT) | instid1(VALU_DEP_4)
	v_dual_cndmask_b32 v25, v25, v27, vcc_lo :: v_dual_mov_b32 v27, v2
	v_cndmask_b32_e32 v3, v3, v26, vcc_lo
	s_delay_alu instid0(VALU_DEP_2) | instskip(NEXT) | instid1(VALU_DEP_2)
	v_cmp_le_u32_e32 vcc_lo, s64, v25
	v_add_nc_u32_e32 v26, 1, v3
	s_delay_alu instid0(VALU_DEP_1)
	v_cndmask_b32_e32 v26, v3, v26, vcc_lo
.LBB23_59:                              ;   in Loop: Header=BB23_3 Depth=1
	s_or_b32 exec_lo, exec_lo, s0
	s_delay_alu instid0(VALU_DEP_1) | instskip(NEXT) | instid1(VALU_DEP_1)
	v_mad_nc_u64_u32 v[30:31], s80, v26, v[0:1]
	v_mad_u32 v3, s81, v26, v31
	s_delay_alu instid0(VALU_DEP_1) | instskip(SKIP_1) | instid1(VALU_DEP_2)
	v_mad_u32 v31, s80, v27, v3
	v_mul_u64_e32 v[26:27], s[28:29], v[26:27]
	v_mul_u64_e32 v[30:31], s[30:31], v[30:31]
	s_delay_alu instid0(VALU_DEP_2) | instskip(NEXT) | instid1(VALU_DEP_1)
	v_lshl_add_u64 v[26:27], v[26:27], 2, s[44:45]
	v_lshl_add_u64 v[26:27], v[30:31], 2, v[26:27]
	global_load_b32 v3, v[26:27], off
	s_wait_loadcnt 0x1
	v_cmp_ngt_f32_e64 s0, 0x3f200000, |v13|
                                        ; implicit-def: $vgpr25
	s_wait_xcnt 0x0
	s_and_saveexec_b32 s2, s0
	s_delay_alu instid0(SALU_CYCLE_1)
	s_xor_b32 s0, exec_lo, s2
	s_cbranch_execz .LBB23_61
.LBB23_60:                              ;   in Loop: Header=BB23_3 Depth=1
	v_add_f32_e64 v25, |v13|, |v13|
	s_delay_alu instid0(VALU_DEP_1) | instskip(SKIP_1) | instid1(VALU_DEP_2)
	v_mul_f32_e32 v26, 0x3fb8aa3b, v25
	v_cmp_ngt_f32_e32 vcc_lo, 0xc2ce8ed0, v25
	v_rndne_f32_e32 v27, v26
	v_fma_f32 v29, 0x3fb8aa3b, v25, -v26
	s_delay_alu instid0(VALU_DEP_1) | instskip(SKIP_1) | instid1(VALU_DEP_2)
	v_dual_sub_f32 v26, v26, v27 :: v_dual_fmac_f32 v29, 0x32a5705f, v25
	v_cvt_i32_f32_e32 v27, v27
	v_add_f32_e32 v26, v26, v29
	s_delay_alu instid0(VALU_DEP_1) | instskip(SKIP_1) | instid1(TRANS32_DEP_1)
	v_exp_f32_e32 v26, v26
	v_nop
	v_ldexp_f32 v26, v26, v27
	s_delay_alu instid0(VALU_DEP_1) | instskip(SKIP_1) | instid1(VALU_DEP_2)
	v_cndmask_b32_e32 v26, 0, v26, vcc_lo
	v_cmp_nlt_f32_e32 vcc_lo, 0x42b17218, v25
	v_cndmask_b32_e32 v25, 0x7f800000, v26, vcc_lo
	s_delay_alu instid0(VALU_DEP_1) | instskip(NEXT) | instid1(VALU_DEP_1)
	v_add_f32_e32 v25, 1.0, v25
	v_rcp_f32_e32 v25, v25
	v_nop
	s_delay_alu instid0(TRANS32_DEP_1)
	v_fma_f32 v25, v25, -2.0, 1.0
.LBB23_61:                              ;   in Loop: Header=BB23_3 Depth=1
	s_and_not1_saveexec_b32 s0, s0
	s_cbranch_execz .LBB23_2
; %bb.62:                               ;   in Loop: Header=BB23_3 Depth=1
	v_mul_f32_e32 v25, v13, v13
	s_delay_alu instid0(VALU_DEP_1) | instskip(NEXT) | instid1(VALU_DEP_1)
	v_fmaak_f32 v26, s86, v25, 0x3ca908c9
	v_fmaak_f32 v26, v25, v26, 0xbd5c1c4e
	s_delay_alu instid0(VALU_DEP_1) | instskip(NEXT) | instid1(VALU_DEP_1)
	v_fmaak_f32 v26, v25, v26, 0x3e088382
	v_fmaak_f32 v26, v25, v26, 0xbeaaaa99
	s_delay_alu instid0(VALU_DEP_1) | instskip(NEXT) | instid1(VALU_DEP_1)
	v_mul_f32_e64 v26, |v13|, v26
	v_fma_f32 v25, v25, v26, |v13|
	s_branch .LBB23_2
.LBB23_63:                              ;   in Loop: Header=BB23_3 Depth=1
	s_and_not1_saveexec_b32 s0, s88
	s_cbranch_execz .LBB23_49
.LBB23_64:                              ;   in Loop: Header=BB23_3 Depth=1
	v_cvt_f32_u32_e32 v3, s58
	s_sub_co_i32 s2, 0, s58
	s_delay_alu instid0(VALU_DEP_1) | instskip(SKIP_1) | instid1(TRANS32_DEP_1)
	v_rcp_iflag_f32_e32 v3, v3
	v_nop
	v_mul_f32_e32 v3, 0x4f7ffffe, v3
	s_delay_alu instid0(VALU_DEP_1) | instskip(NEXT) | instid1(VALU_DEP_1)
	v_cvt_u32_f32_e32 v3, v3
	v_mul_lo_u32 v22, s2, v3
	s_delay_alu instid0(VALU_DEP_1) | instskip(NEXT) | instid1(VALU_DEP_1)
	v_mul_hi_u32 v22, v3, v22
	v_add_nc_u32_e32 v3, v3, v22
	s_delay_alu instid0(VALU_DEP_1) | instskip(NEXT) | instid1(VALU_DEP_1)
	v_mul_hi_u32 v3, v0, v3
	v_mul_lo_u32 v22, v3, s58
	s_delay_alu instid0(VALU_DEP_1) | instskip(NEXT) | instid1(VALU_DEP_1)
	v_dual_add_nc_u32 v23, 1, v3 :: v_dual_sub_nc_u32 v22, v0, v22
	v_subrev_nc_u32_e32 v24, s58, v22
	v_cmp_le_u32_e32 vcc_lo, s58, v22
	s_delay_alu instid0(VALU_DEP_2) | instskip(NEXT) | instid1(VALU_DEP_1)
	v_dual_cndmask_b32 v22, v22, v24 :: v_dual_cndmask_b32 v3, v3, v23
	v_cmp_le_u32_e32 vcc_lo, s58, v22
	s_delay_alu instid0(VALU_DEP_2) | instskip(NEXT) | instid1(VALU_DEP_1)
	v_add_nc_u32_e32 v23, 1, v3
	v_dual_cndmask_b32 v22, v3, v23 :: v_dual_mov_b32 v23, v2
	s_or_b32 exec_lo, exec_lo, s0
	s_delay_alu instid0(SALU_CYCLE_1)
	s_and_not1_b32 vcc_lo, exec_lo, s1
	s_cbranch_vccz .LBB23_50
.LBB23_65:                              ;   in Loop: Header=BB23_3 Depth=1
	v_mov_b32_e32 v24, 0
	s_and_not1_b32 vcc_lo, exec_lo, s33
	s_cbranch_vccz .LBB23_55
.LBB23_66:                              ;   in Loop: Header=BB23_3 Depth=1
	v_mov_b32_e32 v3, 0
	s_wait_loadcnt 0x0
	v_cmp_ngt_f32_e64 s0, 0x3f200000, |v13|
                                        ; implicit-def: $vgpr25
	s_wait_xcnt 0x0
	s_and_saveexec_b32 s2, s0
	s_delay_alu instid0(SALU_CYCLE_1)
	s_xor_b32 s0, exec_lo, s2
	s_cbranch_execz .LBB23_61
	s_branch .LBB23_60
.LBB23_67:
	s_endpgm
	.section	.rodata,"a",@progbits
	.p2align	6, 0x0
	.amdhsa_kernel _ZN2at6native12_GLOBAL__N_16kernel18lstm_cell_backwardIfflLi2EEEvNS_4cuda6detail10TensorInfoIT_T1_EES9_S9_S9_S9_S9_S9_S8_S8_
		.amdhsa_group_segment_fixed_size 0
		.amdhsa_private_segment_fixed_size 0
		.amdhsa_kernarg_size 3184
		.amdhsa_user_sgpr_count 2
		.amdhsa_user_sgpr_dispatch_ptr 0
		.amdhsa_user_sgpr_queue_ptr 0
		.amdhsa_user_sgpr_kernarg_segment_ptr 1
		.amdhsa_user_sgpr_dispatch_id 0
		.amdhsa_user_sgpr_kernarg_preload_length 0
		.amdhsa_user_sgpr_kernarg_preload_offset 0
		.amdhsa_user_sgpr_private_segment_size 0
		.amdhsa_wavefront_size32 1
		.amdhsa_uses_dynamic_stack 0
		.amdhsa_enable_private_segment 0
		.amdhsa_system_sgpr_workgroup_id_x 1
		.amdhsa_system_sgpr_workgroup_id_y 0
		.amdhsa_system_sgpr_workgroup_id_z 0
		.amdhsa_system_sgpr_workgroup_info 0
		.amdhsa_system_vgpr_workitem_id 0
		.amdhsa_next_free_vgpr 46
		.amdhsa_next_free_sgpr 98
		.amdhsa_named_barrier_count 0
		.amdhsa_reserve_vcc 1
		.amdhsa_float_round_mode_32 0
		.amdhsa_float_round_mode_16_64 0
		.amdhsa_float_denorm_mode_32 3
		.amdhsa_float_denorm_mode_16_64 3
		.amdhsa_fp16_overflow 0
		.amdhsa_memory_ordered 1
		.amdhsa_forward_progress 1
		.amdhsa_inst_pref_size 95
		.amdhsa_round_robin_scheduling 0
		.amdhsa_exception_fp_ieee_invalid_op 0
		.amdhsa_exception_fp_denorm_src 0
		.amdhsa_exception_fp_ieee_div_zero 0
		.amdhsa_exception_fp_ieee_overflow 0
		.amdhsa_exception_fp_ieee_underflow 0
		.amdhsa_exception_fp_ieee_inexact 0
		.amdhsa_exception_int_div_zero 0
	.end_amdhsa_kernel
	.section	.text._ZN2at6native12_GLOBAL__N_16kernel18lstm_cell_backwardIfflLi2EEEvNS_4cuda6detail10TensorInfoIT_T1_EES9_S9_S9_S9_S9_S9_S8_S8_,"axG",@progbits,_ZN2at6native12_GLOBAL__N_16kernel18lstm_cell_backwardIfflLi2EEEvNS_4cuda6detail10TensorInfoIT_T1_EES9_S9_S9_S9_S9_S9_S8_S8_,comdat
.Lfunc_end23:
	.size	_ZN2at6native12_GLOBAL__N_16kernel18lstm_cell_backwardIfflLi2EEEvNS_4cuda6detail10TensorInfoIT_T1_EES9_S9_S9_S9_S9_S9_S8_S8_, .Lfunc_end23-_ZN2at6native12_GLOBAL__N_16kernel18lstm_cell_backwardIfflLi2EEEvNS_4cuda6detail10TensorInfoIT_T1_EES9_S9_S9_S9_S9_S9_S8_S8_
                                        ; -- End function
	.set _ZN2at6native12_GLOBAL__N_16kernel18lstm_cell_backwardIfflLi2EEEvNS_4cuda6detail10TensorInfoIT_T1_EES9_S9_S9_S9_S9_S9_S8_S8_.num_vgpr, 46
	.set _ZN2at6native12_GLOBAL__N_16kernel18lstm_cell_backwardIfflLi2EEEvNS_4cuda6detail10TensorInfoIT_T1_EES9_S9_S9_S9_S9_S9_S8_S8_.num_agpr, 0
	.set _ZN2at6native12_GLOBAL__N_16kernel18lstm_cell_backwardIfflLi2EEEvNS_4cuda6detail10TensorInfoIT_T1_EES9_S9_S9_S9_S9_S9_S8_S8_.numbered_sgpr, 98
	.set _ZN2at6native12_GLOBAL__N_16kernel18lstm_cell_backwardIfflLi2EEEvNS_4cuda6detail10TensorInfoIT_T1_EES9_S9_S9_S9_S9_S9_S8_S8_.num_named_barrier, 0
	.set _ZN2at6native12_GLOBAL__N_16kernel18lstm_cell_backwardIfflLi2EEEvNS_4cuda6detail10TensorInfoIT_T1_EES9_S9_S9_S9_S9_S9_S8_S8_.private_seg_size, 0
	.set _ZN2at6native12_GLOBAL__N_16kernel18lstm_cell_backwardIfflLi2EEEvNS_4cuda6detail10TensorInfoIT_T1_EES9_S9_S9_S9_S9_S9_S8_S8_.uses_vcc, 1
	.set _ZN2at6native12_GLOBAL__N_16kernel18lstm_cell_backwardIfflLi2EEEvNS_4cuda6detail10TensorInfoIT_T1_EES9_S9_S9_S9_S9_S9_S8_S8_.uses_flat_scratch, 0
	.set _ZN2at6native12_GLOBAL__N_16kernel18lstm_cell_backwardIfflLi2EEEvNS_4cuda6detail10TensorInfoIT_T1_EES9_S9_S9_S9_S9_S9_S8_S8_.has_dyn_sized_stack, 0
	.set _ZN2at6native12_GLOBAL__N_16kernel18lstm_cell_backwardIfflLi2EEEvNS_4cuda6detail10TensorInfoIT_T1_EES9_S9_S9_S9_S9_S9_S8_S8_.has_recursion, 0
	.set _ZN2at6native12_GLOBAL__N_16kernel18lstm_cell_backwardIfflLi2EEEvNS_4cuda6detail10TensorInfoIT_T1_EES9_S9_S9_S9_S9_S9_S8_S8_.has_indirect_call, 0
	.section	.AMDGPU.csdata,"",@progbits
; Kernel info:
; codeLenInByte = 12120
; TotalNumSgprs: 100
; NumVgprs: 46
; ScratchSize: 0
; MemoryBound: 0
; FloatMode: 240
; IeeeMode: 1
; LDSByteSize: 0 bytes/workgroup (compile time only)
; SGPRBlocks: 0
; VGPRBlocks: 2
; NumSGPRsForWavesPerEU: 100
; NumVGPRsForWavesPerEU: 46
; NamedBarCnt: 0
; Occupancy: 16
; WaveLimiterHint : 1
; COMPUTE_PGM_RSRC2:SCRATCH_EN: 0
; COMPUTE_PGM_RSRC2:USER_SGPR: 2
; COMPUTE_PGM_RSRC2:TRAP_HANDLER: 0
; COMPUTE_PGM_RSRC2:TGID_X_EN: 1
; COMPUTE_PGM_RSRC2:TGID_Y_EN: 0
; COMPUTE_PGM_RSRC2:TGID_Z_EN: 0
; COMPUTE_PGM_RSRC2:TIDIG_COMP_CNT: 0
	.section	.text._ZN2at6native12_GLOBAL__N_16kernel18lstm_cell_backwardIN3c104HalfEfiLi1EEEvNS_4cuda6detail10TensorInfoIT_T1_EESB_SB_SB_SB_SB_SB_SA_SA_,"axG",@progbits,_ZN2at6native12_GLOBAL__N_16kernel18lstm_cell_backwardIN3c104HalfEfiLi1EEEvNS_4cuda6detail10TensorInfoIT_T1_EESB_SB_SB_SB_SB_SB_SA_SA_,comdat
	.globl	_ZN2at6native12_GLOBAL__N_16kernel18lstm_cell_backwardIN3c104HalfEfiLi1EEEvNS_4cuda6detail10TensorInfoIT_T1_EESB_SB_SB_SB_SB_SB_SA_SA_ ; -- Begin function _ZN2at6native12_GLOBAL__N_16kernel18lstm_cell_backwardIN3c104HalfEfiLi1EEEvNS_4cuda6detail10TensorInfoIT_T1_EESB_SB_SB_SB_SB_SB_SA_SA_
	.p2align	8
	.type	_ZN2at6native12_GLOBAL__N_16kernel18lstm_cell_backwardIN3c104HalfEfiLi1EEEvNS_4cuda6detail10TensorInfoIT_T1_EESB_SB_SB_SB_SB_SB_SA_SA_,@function
_ZN2at6native12_GLOBAL__N_16kernel18lstm_cell_backwardIN3c104HalfEfiLi1EEEvNS_4cuda6detail10TensorInfoIT_T1_EESB_SB_SB_SB_SB_SB_SA_SA_: ; @_ZN2at6native12_GLOBAL__N_16kernel18lstm_cell_backwardIN3c104HalfEfiLi1EEEvNS_4cuda6detail10TensorInfoIT_T1_EESB_SB_SB_SB_SB_SB_SA_SA_
; %bb.0:
	s_clause 0x1
	s_load_b32 s4, s[0:1], 0x5fc
	s_load_b64 s[2:3], s[0:1], 0x5e8
	s_bfe_u32 s5, ttmp6, 0x4000c
	s_and_b32 s6, ttmp6, 15
	s_add_co_i32 s5, s5, 1
	s_getreg_b32 s7, hwreg(HW_REG_IB_STS2, 6, 4)
	s_mul_i32 s5, ttmp9, s5
	s_delay_alu instid0(SALU_CYCLE_1)
	s_add_co_i32 s6, s6, s5
	s_wait_kmcnt 0x0
	s_and_b32 s4, s4, 0xffff
	s_cmp_eq_u32 s7, 0
	s_cselect_b32 s5, ttmp9, s6
	s_mov_b32 s6, exec_lo
	v_mad_u32 v4, s5, s4, v0
	s_mov_b32 s5, 0
	s_delay_alu instid0(VALU_DEP_1)
	v_cmpx_gt_i32_e64 s3, v4
	s_cbranch_execz .LBB24_12
; %bb.1:
	s_clause 0x8
	s_load_b64 s[6:7], s[0:1], 0x360
	s_load_b64 s[8:9], s[0:1], 0x438
	;; [unrolled: 1-line block ×3, first 2 shown]
	s_load_b32 s28, s[0:1], 0x21c
	s_load_b64 s[12:13], s[0:1], 0x288
	s_load_b32 s29, s[0:1], 0x2f4
	s_load_b32 s31, s[0:1], 0x3cc
	;; [unrolled: 1-line block ×4, first 2 shown]
	s_add_nc_u64 s[14:15], s[0:1], 0x5f0
	v_mov_b32_e32 v1, 0
	s_load_b32 s26, s[14:15], 0x0
	s_clause 0x3
	s_load_b64 s[16:17], s[0:1], 0x0
	s_load_b32 s23, s[0:1], 0x6c
	s_load_b64 s[18:19], s[0:1], 0xd8
	s_load_b32 s24, s[0:1], 0x144
	s_wait_kmcnt 0x0
	s_cmp_lg_u64 s[6:7], 0
	s_load_b64 s[14:15], s[0:1], 0x510
	s_cselect_b32 s20, -1, 0
	s_cmp_lg_u64 s[8:9], 0
	v_mul_lo_u32 v5, v4, s28
	s_cselect_b32 s21, -1, 0
	s_abs_i32 s22, s2
	v_mul_lo_u32 v6, v4, s29
	s_cvt_f32_u32 s25, s22
	v_mul_lo_u32 v7, v4, s30
	v_mul_lo_u32 v8, v4, s31
	s_mul_i32 s26, s26, s4
	v_rcp_iflag_f32_e32 v0, s25
	v_mul_lo_u32 v9, v4, s33
	s_sub_co_i32 s34, 0, s22
	s_wait_xcnt 0x0
	s_mul_i32 s0, s2, 3
	s_mov_b32 s1, 0xbbbac73d
	s_mov_b32 s25, 1.0
	s_mul_i32 s28, s26, s28
	v_readfirstlane_b32 s27, v0
	s_mul_i32 s29, s26, s29
	s_mul_i32 s30, s26, s30
	;; [unrolled: 1-line block ×4, first 2 shown]
	s_mul_f32 s4, s27, 0x4f7ffffe
	s_ashr_i32 s27, s2, 31
	s_delay_alu instid0(SALU_CYCLE_2) | instskip(NEXT) | instid1(SALU_CYCLE_3)
	s_cvt_u32_f32 s4, s4
	s_mul_i32 s34, s34, s4
	s_delay_alu instid0(SALU_CYCLE_1) | instskip(NEXT) | instid1(SALU_CYCLE_1)
	s_mul_hi_u32 s34, s4, s34
	s_add_co_i32 s4, s4, s34
	s_mov_b32 s34, s5
	s_branch .LBB24_3
.LBB24_2:                               ;   in Loop: Header=BB24_3 Depth=1
	s_or_b32 exec_lo, exec_lo, s35
	s_delay_alu instid0(VALU_DEP_1)
	v_bfi_b32 v3, 0x7fffffff, v19, v3
	v_cvt_f32_f16_e32 v20, v11
	v_mul_lo_u32 v22, v18, s24
	v_cvt_f32_f16_e32 v23, v10
	v_cvt_f32_f16_e32 v16, v16
	v_mov_b32_e32 v21, v3
	v_cvt_f32_f16_e32 v24, v0
	v_mul_lo_u32 v17, v17, s24
	v_mul_lo_u32 v14, v14, s24
	v_mul_lo_u32 v15, v15, s24
	v_pk_mul_f32 v[18:19], v[2:3], v[20:21]
	v_cvt_f32_f16_e32 v21, v13
	v_dual_mul_f32 v2, v2, v3 :: v_dual_sub_f32 v3, 1.0, v20
	v_fma_mix_f32 v13, -v13, v13, s25 op_sel_hi:[1,1,0]
	s_delay_alu instid0(VALU_DEP_4) | instskip(SKIP_1) | instid1(VALU_DEP_2)
	v_dual_sub_f32 v19, 1.0, v19 :: v_dual_add_nc_u32 v4, s26, v4
	v_dual_add_nc_u32 v5, s28, v5 :: v_dual_add_nc_u32 v6, s29, v6
	v_dual_mul_f32 v2, v3, v2 :: v_dual_fmac_f32 v12, v18, v19
	v_dual_sub_f32 v18, 1.0, v23 :: v_dual_sub_f32 v19, 1.0, v24
	s_delay_alu instid0(VALU_DEP_4) | instskip(NEXT) | instid1(VALU_DEP_3)
	v_cmp_le_i32_e32 vcc_lo, s3, v4
	v_fma_mixlo_f16 v2, v2, v11, 0 op_sel_hi:[0,1,0]
	s_delay_alu instid0(VALU_DEP_4) | instskip(SKIP_2) | instid1(VALU_DEP_2)
	v_dual_mul_f32 v21, v12, v21 :: v_dual_mul_f32 v16, v12, v16
	v_dual_add_nc_u32 v8, s31, v8 :: v_dual_add_nc_u32 v9, s33, v9
	s_or_b32 s34, vcc_lo, s34
	v_dual_mul_f32 v18, v18, v21 :: v_dual_mul_f32 v16, v19, v16
	v_mul_f32_e32 v19, v12, v23
	s_delay_alu instid0(VALU_DEP_2) | instskip(NEXT) | instid1(VALU_DEP_3)
	v_fma_mixlo_f16 v3, v18, v10, 0 op_sel_hi:[0,1,0]
	v_fma_mixlo_f16 v10, v16, v0, 0 op_sel_hi:[0,1,0]
	s_delay_alu instid0(VALU_DEP_3)
	v_fma_mixlo_f16 v13, v13, v19, 0
	v_fma_mixlo_f16 v0, v12, v0, 0 op_sel_hi:[0,1,0]
	s_clause 0x3
	global_store_b16 v17, v3, s[18:19] scale_offset
	global_store_b16 v22, v10, s[18:19] scale_offset
	;; [unrolled: 1-line block ×4, first 2 shown]
	s_wait_kmcnt 0x0
	global_store_b16 v7, v0, s[14:15] scale_offset
	s_wait_xcnt 0x0
	v_add_nc_u32_e32 v7, s30, v7
	s_and_not1_b32 exec_lo, exec_lo, s34
	s_cbranch_execz .LBB24_12
.LBB24_3:                               ; =>This Inner Loop Header: Depth=1
	v_sub_nc_u32_e32 v0, 0, v4
	s_delay_alu instid0(VALU_DEP_1) | instskip(NEXT) | instid1(VALU_DEP_1)
	v_max_i32_e32 v0, v4, v0
	v_mul_u64_e32 v[2:3], s[4:5], v[0:1]
	s_delay_alu instid0(VALU_DEP_1) | instskip(NEXT) | instid1(VALU_DEP_1)
	v_mul_lo_u32 v2, v3, s22
	v_dual_sub_nc_u32 v0, v0, v2 :: v_dual_add_nc_u32 v2, 1, v3
	s_delay_alu instid0(VALU_DEP_1) | instskip(NEXT) | instid1(VALU_DEP_2)
	v_cmp_le_u32_e32 vcc_lo, s22, v0
	v_dual_cndmask_b32 v2, v3, v2 :: v_dual_ashrrev_i32 v3, 31, v4
	v_subrev_nc_u32_e32 v10, s22, v0
	s_delay_alu instid0(VALU_DEP_1) | instskip(NEXT) | instid1(VALU_DEP_3)
	v_dual_cndmask_b32 v0, v0, v10, vcc_lo :: v_dual_bitop2_b32 v3, s27, v3 bitop3:0x14
	v_add_nc_u32_e32 v10, 1, v2
	s_delay_alu instid0(VALU_DEP_2) | instskip(NEXT) | instid1(VALU_DEP_2)
	v_cmp_le_u32_e32 vcc_lo, s22, v0
	v_cndmask_b32_e32 v0, v2, v10, vcc_lo
	s_delay_alu instid0(VALU_DEP_4) | instskip(SKIP_1) | instid1(VALU_DEP_2)
	v_mul_i32_i24_e32 v2, 3, v3
	s_and_not1_b32 vcc_lo, exec_lo, s20
	v_xor_b32_e32 v0, v0, v3
	s_delay_alu instid0(VALU_DEP_1) | instskip(NEXT) | instid1(VALU_DEP_1)
	v_lshl_add_u32 v10, v0, 1, v0
	v_dual_sub_nc_u32 v0, v0, v3 :: v_dual_sub_nc_u32 v2, v10, v2
	s_delay_alu instid0(VALU_DEP_1) | instskip(NEXT) | instid1(VALU_DEP_2)
	v_mad_u32 v17, s0, v0, v4
	v_mul_lo_u32 v3, s2, v2
	v_dual_add_nc_u32 v10, 2, v2 :: v_dual_add_nc_u32 v2, 3, v2
	s_delay_alu instid0(VALU_DEP_1) | instskip(NEXT) | instid1(VALU_DEP_2)
	v_mad_u32 v14, s2, v10, v4
	v_mad_u32 v15, s2, v2, v4
	v_mul_lo_u32 v2, v17, s23
	v_add3_u32 v18, v3, s2, v4
	s_delay_alu instid0(VALU_DEP_1)
	v_mul_lo_u32 v12, v18, s23
	v_mul_lo_u32 v19, v14, s23
	;; [unrolled: 1-line block ×3, first 2 shown]
	global_load_u16 v16, v5, s[10:11] scale_offset
	s_clause 0x3
	global_load_u16 v10, v2, s[16:17] scale_offset
	global_load_u16 v0, v12, s[16:17] scale_offset
	;; [unrolled: 1-line block ×5, first 2 shown]
	s_wait_xcnt 0x4
	v_mov_b32_e32 v2, 0
	s_cbranch_vccnz .LBB24_5
; %bb.4:                                ;   in Loop: Header=BB24_3 Depth=1
	global_load_u16 v2, v8, s[6:7] scale_offset
	s_wait_loadcnt 0x0
	v_cvt_f32_f16_e32 v2, v2
.LBB24_5:                               ;   in Loop: Header=BB24_3 Depth=1
	s_and_not1_b32 vcc_lo, exec_lo, s21
	s_cbranch_vccnz .LBB24_7
; %bb.6:                                ;   in Loop: Header=BB24_3 Depth=1
	global_load_u16 v12, v9, s[8:9] scale_offset
	s_wait_loadcnt 0x0
	v_cvt_f32_f16_e32 v12, v12
	s_branch .LBB24_8
.LBB24_7:                               ;   in Loop: Header=BB24_3 Depth=1
	s_wait_xcnt 0x3
	v_mov_b32_e32 v12, 0
.LBB24_8:                               ;   in Loop: Header=BB24_3 Depth=1
	s_wait_loadcnt 0x0
	v_cvt_f32_f16_e32 v3, v3
                                        ; implicit-def: $vgpr19
	s_delay_alu instid0(VALU_DEP_1) | instskip(SKIP_2) | instid1(SALU_CYCLE_1)
	v_cmp_ngt_f32_e64 s35, 0x3f200000, |v3|
	s_wait_xcnt 0x0
	s_and_saveexec_b32 s36, s35
	s_xor_b32 s35, exec_lo, s36
	s_cbranch_execz .LBB24_10
; %bb.9:                                ;   in Loop: Header=BB24_3 Depth=1
	v_add_f32_e64 v19, |v3|, |v3|
	s_delay_alu instid0(VALU_DEP_1) | instskip(SKIP_1) | instid1(VALU_DEP_2)
	v_mul_f32_e32 v20, 0x3fb8aa3b, v19
	v_cmp_ngt_f32_e32 vcc_lo, 0xc2ce8ed0, v19
	v_rndne_f32_e32 v21, v20
	v_fma_f32 v22, 0x3fb8aa3b, v19, -v20
	s_delay_alu instid0(VALU_DEP_2) | instskip(NEXT) | instid1(VALU_DEP_2)
	v_sub_f32_e32 v20, v20, v21
	v_fmac_f32_e32 v22, 0x32a5705f, v19
	v_cvt_i32_f32_e32 v21, v21
	s_delay_alu instid0(VALU_DEP_2) | instskip(NEXT) | instid1(VALU_DEP_1)
	v_add_f32_e32 v20, v20, v22
	v_exp_f32_e32 v20, v20
	v_nop
	s_delay_alu instid0(TRANS32_DEP_1) | instskip(NEXT) | instid1(VALU_DEP_1)
	v_ldexp_f32 v20, v20, v21
	v_cndmask_b32_e32 v20, 0, v20, vcc_lo
	v_cmp_nlt_f32_e32 vcc_lo, 0x42b17218, v19
	s_delay_alu instid0(VALU_DEP_2) | instskip(NEXT) | instid1(VALU_DEP_1)
	v_cndmask_b32_e32 v19, 0x7f800000, v20, vcc_lo
	v_add_f32_e32 v19, 1.0, v19
	s_delay_alu instid0(VALU_DEP_1) | instskip(SKIP_1) | instid1(TRANS32_DEP_1)
	v_rcp_f32_e32 v19, v19
	v_nop
	v_fma_f32 v19, v19, -2.0, 1.0
.LBB24_10:                              ;   in Loop: Header=BB24_3 Depth=1
	s_and_not1_saveexec_b32 s35, s35
	s_cbranch_execz .LBB24_2
; %bb.11:                               ;   in Loop: Header=BB24_3 Depth=1
	v_mul_f32_e32 v19, v3, v3
	s_delay_alu instid0(VALU_DEP_1) | instskip(NEXT) | instid1(VALU_DEP_1)
	v_fmaak_f32 v20, s1, v19, 0x3ca908c9
	v_fmaak_f32 v20, v19, v20, 0xbd5c1c4e
	s_delay_alu instid0(VALU_DEP_1) | instskip(NEXT) | instid1(VALU_DEP_1)
	v_fmaak_f32 v20, v19, v20, 0x3e088382
	v_fmaak_f32 v20, v19, v20, 0xbeaaaa99
	s_delay_alu instid0(VALU_DEP_1) | instskip(NEXT) | instid1(VALU_DEP_1)
	v_mul_f32_e64 v20, |v3|, v20
	v_fma_f32 v19, v19, v20, |v3|
	s_branch .LBB24_2
.LBB24_12:
	s_endpgm
	.section	.rodata,"a",@progbits
	.p2align	6, 0x0
	.amdhsa_kernel _ZN2at6native12_GLOBAL__N_16kernel18lstm_cell_backwardIN3c104HalfEfiLi1EEEvNS_4cuda6detail10TensorInfoIT_T1_EESB_SB_SB_SB_SB_SB_SA_SA_
		.amdhsa_group_segment_fixed_size 0
		.amdhsa_private_segment_fixed_size 0
		.amdhsa_kernarg_size 1776
		.amdhsa_user_sgpr_count 2
		.amdhsa_user_sgpr_dispatch_ptr 0
		.amdhsa_user_sgpr_queue_ptr 0
		.amdhsa_user_sgpr_kernarg_segment_ptr 1
		.amdhsa_user_sgpr_dispatch_id 0
		.amdhsa_user_sgpr_kernarg_preload_length 0
		.amdhsa_user_sgpr_kernarg_preload_offset 0
		.amdhsa_user_sgpr_private_segment_size 0
		.amdhsa_wavefront_size32 1
		.amdhsa_uses_dynamic_stack 0
		.amdhsa_enable_private_segment 0
		.amdhsa_system_sgpr_workgroup_id_x 1
		.amdhsa_system_sgpr_workgroup_id_y 0
		.amdhsa_system_sgpr_workgroup_id_z 0
		.amdhsa_system_sgpr_workgroup_info 0
		.amdhsa_system_vgpr_workitem_id 0
		.amdhsa_next_free_vgpr 25
		.amdhsa_next_free_sgpr 37
		.amdhsa_named_barrier_count 0
		.amdhsa_reserve_vcc 1
		.amdhsa_float_round_mode_32 0
		.amdhsa_float_round_mode_16_64 0
		.amdhsa_float_denorm_mode_32 3
		.amdhsa_float_denorm_mode_16_64 3
		.amdhsa_fp16_overflow 0
		.amdhsa_memory_ordered 1
		.amdhsa_forward_progress 1
		.amdhsa_inst_pref_size 11
		.amdhsa_round_robin_scheduling 0
		.amdhsa_exception_fp_ieee_invalid_op 0
		.amdhsa_exception_fp_denorm_src 0
		.amdhsa_exception_fp_ieee_div_zero 0
		.amdhsa_exception_fp_ieee_overflow 0
		.amdhsa_exception_fp_ieee_underflow 0
		.amdhsa_exception_fp_ieee_inexact 0
		.amdhsa_exception_int_div_zero 0
	.end_amdhsa_kernel
	.section	.text._ZN2at6native12_GLOBAL__N_16kernel18lstm_cell_backwardIN3c104HalfEfiLi1EEEvNS_4cuda6detail10TensorInfoIT_T1_EESB_SB_SB_SB_SB_SB_SA_SA_,"axG",@progbits,_ZN2at6native12_GLOBAL__N_16kernel18lstm_cell_backwardIN3c104HalfEfiLi1EEEvNS_4cuda6detail10TensorInfoIT_T1_EESB_SB_SB_SB_SB_SB_SA_SA_,comdat
.Lfunc_end24:
	.size	_ZN2at6native12_GLOBAL__N_16kernel18lstm_cell_backwardIN3c104HalfEfiLi1EEEvNS_4cuda6detail10TensorInfoIT_T1_EESB_SB_SB_SB_SB_SB_SA_SA_, .Lfunc_end24-_ZN2at6native12_GLOBAL__N_16kernel18lstm_cell_backwardIN3c104HalfEfiLi1EEEvNS_4cuda6detail10TensorInfoIT_T1_EESB_SB_SB_SB_SB_SB_SA_SA_
                                        ; -- End function
	.set _ZN2at6native12_GLOBAL__N_16kernel18lstm_cell_backwardIN3c104HalfEfiLi1EEEvNS_4cuda6detail10TensorInfoIT_T1_EESB_SB_SB_SB_SB_SB_SA_SA_.num_vgpr, 25
	.set _ZN2at6native12_GLOBAL__N_16kernel18lstm_cell_backwardIN3c104HalfEfiLi1EEEvNS_4cuda6detail10TensorInfoIT_T1_EESB_SB_SB_SB_SB_SB_SA_SA_.num_agpr, 0
	.set _ZN2at6native12_GLOBAL__N_16kernel18lstm_cell_backwardIN3c104HalfEfiLi1EEEvNS_4cuda6detail10TensorInfoIT_T1_EESB_SB_SB_SB_SB_SB_SA_SA_.numbered_sgpr, 37
	.set _ZN2at6native12_GLOBAL__N_16kernel18lstm_cell_backwardIN3c104HalfEfiLi1EEEvNS_4cuda6detail10TensorInfoIT_T1_EESB_SB_SB_SB_SB_SB_SA_SA_.num_named_barrier, 0
	.set _ZN2at6native12_GLOBAL__N_16kernel18lstm_cell_backwardIN3c104HalfEfiLi1EEEvNS_4cuda6detail10TensorInfoIT_T1_EESB_SB_SB_SB_SB_SB_SA_SA_.private_seg_size, 0
	.set _ZN2at6native12_GLOBAL__N_16kernel18lstm_cell_backwardIN3c104HalfEfiLi1EEEvNS_4cuda6detail10TensorInfoIT_T1_EESB_SB_SB_SB_SB_SB_SA_SA_.uses_vcc, 1
	.set _ZN2at6native12_GLOBAL__N_16kernel18lstm_cell_backwardIN3c104HalfEfiLi1EEEvNS_4cuda6detail10TensorInfoIT_T1_EESB_SB_SB_SB_SB_SB_SA_SA_.uses_flat_scratch, 0
	.set _ZN2at6native12_GLOBAL__N_16kernel18lstm_cell_backwardIN3c104HalfEfiLi1EEEvNS_4cuda6detail10TensorInfoIT_T1_EESB_SB_SB_SB_SB_SB_SA_SA_.has_dyn_sized_stack, 0
	.set _ZN2at6native12_GLOBAL__N_16kernel18lstm_cell_backwardIN3c104HalfEfiLi1EEEvNS_4cuda6detail10TensorInfoIT_T1_EESB_SB_SB_SB_SB_SB_SA_SA_.has_recursion, 0
	.set _ZN2at6native12_GLOBAL__N_16kernel18lstm_cell_backwardIN3c104HalfEfiLi1EEEvNS_4cuda6detail10TensorInfoIT_T1_EESB_SB_SB_SB_SB_SB_SA_SA_.has_indirect_call, 0
	.section	.AMDGPU.csdata,"",@progbits
; Kernel info:
; codeLenInByte = 1376
; TotalNumSgprs: 39
; NumVgprs: 25
; ScratchSize: 0
; MemoryBound: 0
; FloatMode: 240
; IeeeMode: 1
; LDSByteSize: 0 bytes/workgroup (compile time only)
; SGPRBlocks: 0
; VGPRBlocks: 1
; NumSGPRsForWavesPerEU: 39
; NumVGPRsForWavesPerEU: 25
; NamedBarCnt: 0
; Occupancy: 16
; WaveLimiterHint : 1
; COMPUTE_PGM_RSRC2:SCRATCH_EN: 0
; COMPUTE_PGM_RSRC2:USER_SGPR: 2
; COMPUTE_PGM_RSRC2:TRAP_HANDLER: 0
; COMPUTE_PGM_RSRC2:TGID_X_EN: 1
; COMPUTE_PGM_RSRC2:TGID_Y_EN: 0
; COMPUTE_PGM_RSRC2:TGID_Z_EN: 0
; COMPUTE_PGM_RSRC2:TIDIG_COMP_CNT: 0
	.section	.text._ZN2at6native12_GLOBAL__N_16kernel18lstm_cell_backwardIN3c104HalfEfiLi2EEEvNS_4cuda6detail10TensorInfoIT_T1_EESB_SB_SB_SB_SB_SB_SA_SA_,"axG",@progbits,_ZN2at6native12_GLOBAL__N_16kernel18lstm_cell_backwardIN3c104HalfEfiLi2EEEvNS_4cuda6detail10TensorInfoIT_T1_EESB_SB_SB_SB_SB_SB_SA_SA_,comdat
	.globl	_ZN2at6native12_GLOBAL__N_16kernel18lstm_cell_backwardIN3c104HalfEfiLi2EEEvNS_4cuda6detail10TensorInfoIT_T1_EESB_SB_SB_SB_SB_SB_SA_SA_ ; -- Begin function _ZN2at6native12_GLOBAL__N_16kernel18lstm_cell_backwardIN3c104HalfEfiLi2EEEvNS_4cuda6detail10TensorInfoIT_T1_EESB_SB_SB_SB_SB_SB_SA_SA_
	.p2align	8
	.type	_ZN2at6native12_GLOBAL__N_16kernel18lstm_cell_backwardIN3c104HalfEfiLi2EEEvNS_4cuda6detail10TensorInfoIT_T1_EESB_SB_SB_SB_SB_SB_SA_SA_,@function
_ZN2at6native12_GLOBAL__N_16kernel18lstm_cell_backwardIN3c104HalfEfiLi2EEEvNS_4cuda6detail10TensorInfoIT_T1_EESB_SB_SB_SB_SB_SB_SA_SA_: ; @_ZN2at6native12_GLOBAL__N_16kernel18lstm_cell_backwardIN3c104HalfEfiLi2EEEvNS_4cuda6detail10TensorInfoIT_T1_EESB_SB_SB_SB_SB_SB_SA_SA_
; %bb.0:
	s_clause 0x1
	s_load_b32 s2, s[0:1], 0x5fc
	s_load_b64 s[4:5], s[0:1], 0x5e8
	s_bfe_u32 s3, ttmp6, 0x4000c
	s_and_b32 s6, ttmp6, 15
	s_add_co_i32 s3, s3, 1
	s_getreg_b32 s7, hwreg(HW_REG_IB_STS2, 6, 4)
	s_mul_i32 s3, ttmp9, s3
	s_delay_alu instid0(SALU_CYCLE_1)
	s_add_co_i32 s6, s6, s3
	s_wait_kmcnt 0x0
	s_and_b32 s2, s2, 0xffff
	s_cmp_eq_u32 s7, 0
	s_mov_b32 s7, 0
	s_cselect_b32 s3, ttmp9, s6
	s_delay_alu instid0(SALU_CYCLE_1) | instskip(SKIP_1) | instid1(VALU_DEP_1)
	v_mad_u32 v12, s3, s2, v0
	s_mov_b32 s3, exec_lo
	v_cmpx_gt_i32_e64 s5, v12
	s_cbranch_execz .LBB25_12
; %bb.1:
	s_clause 0x4
	s_load_b64 s[8:9], s[0:1], 0x360
	s_load_b64 s[10:11], s[0:1], 0x438
	s_load_b32 s33, s[0:1], 0xc
	s_load_b32 s3, s[0:1], 0x36c
	s_load_b64 s[12:13], s[0:1], 0x3cc
	s_add_nc_u64 s[20:21], s[0:1], 0x5f0
	s_clause 0x2
	s_load_b64 s[14:15], s[0:1], 0x0
	s_load_b64 s[16:17], s[0:1], 0x6c
	;; [unrolled: 1-line block ×3, first 2 shown]
	s_load_b32 s57, s[20:21], 0x0
	s_load_b32 s52, s[0:1], 0xe4
	s_wait_xcnt 0x0
	s_clause 0xa
	s_load_b64 s[20:21], s[0:1], 0x144
	s_load_b64 s[22:23], s[0:1], 0x1b0
	s_load_b32 s73, s[0:1], 0x1bc
	s_load_b64 s[24:25], s[0:1], 0x21c
	s_load_b64 s[26:27], s[0:1], 0x288
	s_load_b32 s74, s[0:1], 0x294
	s_load_b64 s[28:29], s[0:1], 0x2f4
	s_load_b32 s77, s[0:1], 0x444
	s_load_b64 s[30:31], s[0:1], 0x4a4
	s_load_b64 s[34:35], s[0:1], 0x510
	s_load_b32 s75, s[0:1], 0x51c
	s_mov_b32 s43, s7
	s_mov_b32 s47, s7
	;; [unrolled: 1-line block ×3, first 2 shown]
	s_mul_i32 s72, s4, 3
	s_mov_b32 s78, 0xbbbac73d
	s_mov_b32 s79, 1.0
	s_mov_b32 s80, s7
	s_wait_kmcnt 0x0
	s_cmp_lg_u64 s[8:9], 0
	s_cselect_b32 s53, -1, 0
	s_cmp_lg_u64 s[10:11], 0
	s_cselect_b32 s54, -1, 0
	s_abs_i32 s55, s4
	s_abs_i32 s56, s33
	s_cvt_f32_u32 s6, s55
	s_cvt_f32_u32 s36, s56
	s_abs_i32 s58, s52
	s_mul_i32 s57, s57, s2
	v_rcp_iflag_f32_e32 v0, s6
	v_rcp_iflag_f32_e32 v1, s36
	s_load_b64 s[36:37], s[0:1], 0x57c
	s_wait_xcnt 0x0
	s_cvt_f32_u32 s0, s58
	s_abs_i32 s61, s73
	s_sub_co_i32 s6, 0, s56
	s_cvt_f32_u32 s38, s61
	v_readfirstlane_b32 s1, v0
	v_readfirstlane_b32 s2, v1
	v_rcp_iflag_f32_e32 v0, s0
	s_abs_i32 s63, s74
	s_abs_i32 s64, s75
	s_mul_f32 s0, s1, 0x4f7ffffe
	s_mul_f32 s1, s2, 0x4f7ffffe
	s_sub_co_i32 s2, 0, s55
	s_cvt_f32_u32 s41, s63
	s_cvt_u32_f32 s0, s0
	s_cvt_u32_f32 s1, s1
	v_nop
	v_readfirstlane_b32 s39, v0
	v_rcp_iflag_f32_e32 v0, s38
	s_mul_i32 s2, s2, s0
	s_mul_i32 s6, s6, s1
	s_mul_hi_u32 s2, s0, s2
	s_mul_hi_u32 s40, s1, s6
	s_add_co_i32 s6, s0, s2
	s_mul_f32 s0, s39, 0x4f7ffffe
	v_nop
	v_readfirstlane_b32 s2, v0
	s_add_co_i32 s38, s1, s40
	s_sub_co_i32 s1, 0, s58
	s_cvt_u32_f32 s0, s0
	v_rcp_iflag_f32_e32 v0, s41
	s_mul_f32 s2, s2, 0x4f7ffffe
	s_abs_i32 s66, s3
	s_mul_i32 s1, s1, s0
	s_abs_i32 s68, s77
	s_mul_hi_u32 s1, s0, s1
	s_sub_co_i32 s44, 0, s63
	s_add_co_i32 s40, s0, s1
	s_cvt_u32_f32 s0, s2
	s_cvt_f32_u32 s1, s64
	s_sub_co_i32 s2, 0, s61
	s_sub_co_i32 s45, 0, s64
	s_mul_i32 s2, s2, s0
	v_rcp_iflag_f32_e32 v1, s1
	v_nop
	v_readfirstlane_b32 s1, v0
	s_mul_hi_u32 s2, s0, s2
	s_sub_co_i32 s49, 0, s68
	s_add_co_i32 s42, s0, s2
	s_cvt_f32_u32 s2, s66
	s_mul_f32 s0, s1, 0x4f7ffffe
	v_readfirstlane_b32 s1, v1
	s_ashr_i32 s59, s4, 31
	v_rcp_iflag_f32_e32 v0, s2
	s_cvt_f32_u32 s2, s68
	s_cvt_u32_f32 s0, s0
	s_mul_f32 s1, s1, 0x4f7ffffe
	s_ashr_i32 s60, s33, 31
	v_rcp_iflag_f32_e32 v1, s2
	s_mul_i32 s44, s44, s0
	v_nop
	v_readfirstlane_b32 s2, v0
	s_cvt_u32_f32 s1, s1
	s_mul_hi_u32 s44, s0, s44
	s_mov_b32 s39, s7
	s_add_co_i32 s44, s0, s44
	v_readfirstlane_b32 s48, v1
	s_mul_i32 s0, s45, s1
	s_mul_f32 s2, s2, 0x4f7ffffe
	s_mul_hi_u32 s0, s1, s0
	v_mov_b32_e32 v1, 0
	s_add_co_i32 s46, s1, s0
	s_cvt_u32_f32 s0, s2
	s_mul_f32 s1, s48, 0x4f7ffffe
	s_sub_co_i32 s2, 0, s66
	s_ashr_i32 s62, s52, 31
	s_mul_i32 s2, s2, s0
	s_cvt_u32_f32 s1, s1
	s_mul_hi_u32 s2, s0, s2
	s_mov_b32 s41, s7
	s_add_co_i32 s48, s0, s2
	s_mul_i32 s0, s49, s1
	s_ashr_i32 s65, s73, 31
	s_mul_hi_u32 s0, s1, s0
	s_ashr_i32 s67, s74, 31
	s_mov_b32 s45, s7
	s_ashr_i32 s69, s75, 31
	s_ashr_i32 s70, s3, 31
	s_mov_b32 s49, s7
	s_ashr_i32 s71, s77, 31
	s_add_co_i32 s50, s1, s0
	s_sub_co_i32 s73, 0, s73
	s_sub_co_i32 s74, 0, s74
	s_sub_co_i32 s75, 0, s75
	s_sub_co_i32 s76, 0, s3
	s_sub_co_i32 s77, 0, s77
	s_branch .LBB25_3
.LBB25_2:                               ;   in Loop: Header=BB25_3 Depth=1
	s_or_b32 exec_lo, exec_lo, s0
	v_mul_u64_e32 v[30:31], s[40:41], v[2:3]
	v_mul_u64_e32 v[32:33], s[40:41], v[6:7]
	;; [unrolled: 1-line block ×5, first 2 shown]
	v_xor_b32_e32 v3, s62, v20
	v_xor_b32_e32 v7, s62, v23
	;; [unrolled: 1-line block ×3, first 2 shown]
	v_bfi_b32 v11, 0x7fffffff, v28, v27
	v_xor_b32_e32 v5, s62, v22
	v_cvt_f32_f16_e32 v27, v19
	v_xor_b32_e32 v9, s62, v24
	v_cvt_f32_f16_e32 v22, v18
	v_dual_mul_f32 v29, v10, v11 :: v_dual_mov_b32 v23, v11
	s_delay_alu instid0(VALU_DEP_4)
	v_sub_f32_e32 v40, 1.0, v27
	v_cvt_f32_f16_e32 v28, v17
	v_cvt_f32_f16_e32 v26, v26
	;; [unrolled: 1-line block ×3, first 2 shown]
	v_mul_lo_u32 v30, v31, s58
	v_mul_lo_u32 v32, v33, s58
	;; [unrolled: 1-line block ×5, first 2 shown]
	v_add_nc_u32_e32 v41, 1, v31
	v_add_nc_u32_e32 v43, 1, v35
	v_dual_add_nc_u32 v45, 1, v39 :: v_dual_add_nc_u32 v42, 1, v33
	v_dual_add_nc_u32 v44, 1, v37 :: v_dual_sub_nc_u32 v2, v2, v30
	v_dual_sub_nc_u32 v6, v6, v32 :: v_dual_sub_nc_u32 v4, v4, v34
	s_delay_alu instid0(VALU_DEP_2) | instskip(SKIP_1) | instid1(VALU_DEP_3)
	v_cmp_le_u32_e32 vcc_lo, s58, v2
	v_sub_nc_u32_e32 v8, v8, v36
	v_cmp_le_u32_e64 s0, s58, v6
	s_delay_alu instid0(VALU_DEP_4) | instskip(SKIP_3) | instid1(VALU_DEP_4)
	v_cmp_le_u32_e64 s1, s58, v4
	v_dual_sub_nc_u32 v0, v0, v38 :: v_dual_cndmask_b32 v30, v31, v41, vcc_lo
	v_subrev_nc_u32_e32 v31, s58, v2
	v_cmp_le_u32_e64 s2, s58, v8
	v_cndmask_b32_e64 v34, v35, v43, s1
	s_delay_alu instid0(VALU_DEP_4) | instskip(SKIP_4) | instid1(VALU_DEP_3)
	v_cmp_le_u32_e64 s3, s64, v0
	v_cndmask_b32_e64 v32, v33, v42, s0
	v_subrev_nc_u32_e32 v33, s58, v6
	v_dual_cndmask_b32 v36, v37, v44, s2 :: v_dual_cndmask_b32 v2, v2, v31, vcc_lo
	v_subrev_nc_u32_e32 v35, s58, v4
	v_dual_add_nc_u32 v31, 1, v30 :: v_dual_cndmask_b32 v6, v6, v33, s0
	v_subrev_nc_u32_e32 v37, s58, v8
	s_delay_alu instid0(VALU_DEP_4) | instskip(SKIP_2) | instid1(VALU_DEP_4)
	v_cmp_le_u32_e32 vcc_lo, s58, v2
	v_dual_cndmask_b32 v38, v39, v45, s3 :: v_dual_add_nc_u32 v33, 1, v32
	v_dual_cndmask_b32 v4, v4, v35, s1 :: v_dual_add_nc_u32 v35, 1, v34
	v_dual_cndmask_b32 v8, v8, v37, s2 :: v_dual_cndmask_b32 v2, v30, v31, vcc_lo
	v_add_nc_u32_e32 v30, 1, v36
	v_cmp_le_u32_e32 vcc_lo, s58, v6
	v_subrev_nc_u32_e32 v39, s64, v0
	s_delay_alu instid0(VALU_DEP_4) | instskip(SKIP_1) | instid1(VALU_DEP_2)
	v_dual_cndmask_b32 v6, v32, v33, vcc_lo :: v_dual_bitop2_b32 v2, v2, v3 bitop3:0x14
	v_cmp_le_u32_e32 vcc_lo, s58, v4
	v_dual_cndmask_b32 v0, v0, v39, s3 :: v_dual_bitop2_b32 v6, v6, v5 bitop3:0x14
	v_cndmask_b32_e32 v4, v34, v35, vcc_lo
	v_cmp_le_u32_e32 vcc_lo, s58, v8
	s_delay_alu instid0(VALU_DEP_3) | instskip(SKIP_1) | instid1(VALU_DEP_4)
	v_dual_cndmask_b32 v8, v36, v30 :: v_dual_sub_nc_u32 v5, v6, v5
	v_dual_sub_nc_u32 v30, v2, v3 :: v_dual_add_nc_u32 v3, 1, v38
	v_xor_b32_e32 v2, v4, v7
	v_cmp_le_u32_e32 vcc_lo, s64, v0
	s_delay_alu instid0(VALU_DEP_4) | instskip(NEXT) | instid1(VALU_DEP_4)
	v_xor_b32_e32 v4, v8, v9
	v_mul_lo_u32 v6, v30, s52
	v_mul_lo_u32 v8, v5, s52
	v_sub_nc_u32_e32 v7, v2, v7
	s_delay_alu instid0(VALU_DEP_4) | instskip(SKIP_2) | instid1(VALU_DEP_4)
	v_dual_cndmask_b32 v0, v38, v3, vcc_lo :: v_dual_sub_nc_u32 v4, v4, v9
	v_pk_mul_f32 v[2:3], v[10:11], v[22:23]
	v_sub_f32_e32 v11, 1.0, v28
	v_mul_lo_u32 v9, v7, s52
	s_delay_alu instid0(VALU_DEP_4) | instskip(SKIP_2) | instid1(VALU_DEP_3)
	v_xor_b32_e32 v0, v0, v20
	v_mul_lo_u32 v10, v4, s52
	v_dual_sub_f32 v3, 1.0, v3 :: v_dual_sub_nc_u32 v6, v13, v6
	v_dual_sub_f32 v13, 1.0, v22 :: v_dual_sub_nc_u32 v0, v0, v20
	s_delay_alu instid0(VALU_DEP_2) | instskip(SKIP_1) | instid1(VALU_DEP_3)
	v_dual_fmac_f32 v25, v2, v3 :: v_dual_add_nc_u32 v2, v12, v6
	v_dual_sub_nc_u32 v3, v14, v8 :: v_dual_sub_nc_u32 v6, v16, v9
	v_mad_u32 v8, s75, v0, v12
	v_sub_nc_u32_e32 v9, v15, v10
	s_delay_alu instid0(VALU_DEP_4) | instskip(NEXT) | instid1(VALU_DEP_4)
	v_mul_lo_u32 v2, v2, s21
	v_dual_add_nc_u32 v3, v12, v3 :: v_dual_add_nc_u32 v6, v12, v6
	s_delay_alu instid0(VALU_DEP_3) | instskip(SKIP_1) | instid1(VALU_DEP_3)
	v_dual_mul_f32 v10, v25, v24 :: v_dual_add_nc_u32 v9, v12, v9
	v_mul_f32_e32 v14, v25, v26
	v_mul_lo_u32 v3, v3, s21
	s_delay_alu instid0(VALU_DEP_4) | instskip(NEXT) | instid1(VALU_DEP_4)
	v_mul_lo_u32 v6, v6, s21
	v_dual_mul_f32 v10, v40, v10 :: v_dual_mul_f32 v13, v13, v29
	v_mul_lo_u32 v9, v9, s21
	s_wait_kmcnt 0x0
	v_mul_lo_u32 v8, v8, s37
	v_mad_u32 v2, v30, s20, v2
	v_dual_add_nc_u32 v12, s57, v12 :: v_dual_mul_f32 v16, v25, v27
	v_mul_f32_e32 v11, v11, v14
	v_fma_mixlo_f16 v10, v10, v19, 0 op_sel_hi:[0,1,0]
	v_mad_u32 v3, v5, s20, v3
	v_mad_u32 v5, v7, s20, v6
	v_fma_mix_f32 v15, -v21, v21, s79 op_sel_hi:[1,1,0]
	v_cmp_le_i32_e32 vcc_lo, s5, v12
	v_mad_u32 v4, v4, s20, v9
	v_mad_u32 v0, v0, s36, v8
	global_store_b16 v2, v10, s[18:19] scale_offset
	s_wait_xcnt 0x0
	v_fma_mixlo_f16 v2, v11, v17, 0 op_sel_hi:[0,1,0]
	v_fma_mixlo_f16 v7, v13, v18, 0 op_sel_hi:[0,1,0]
	v_fma_mixlo_f16 v6, v15, v16, 0
	v_fma_mixlo_f16 v8, v25, v17, 0 op_sel_hi:[0,1,0]
	s_or_b32 s80, vcc_lo, s80
	s_clause 0x2
	global_store_b16 v3, v2, s[18:19] scale_offset
	global_store_b16 v5, v6, s[18:19] scale_offset
	;; [unrolled: 1-line block ×4, first 2 shown]
	s_wait_xcnt 0x0
	s_and_not1_b32 exec_lo, exec_lo, s80
	s_cbranch_execz .LBB25_12
.LBB25_3:                               ; =>This Inner Loop Header: Depth=1
	v_dual_mov_b32 v7, v1 :: v_dual_sub_nc_u32 v0, 0, v12
	s_delay_alu instid0(VALU_DEP_1) | instskip(NEXT) | instid1(VALU_DEP_1)
	v_max_i32_e32 v0, v12, v0
	v_mul_u64_e32 v[2:3], s[6:7], v[0:1]
	s_delay_alu instid0(VALU_DEP_1) | instskip(NEXT) | instid1(VALU_DEP_1)
	v_mul_lo_u32 v2, v3, s55
	v_dual_add_nc_u32 v4, 1, v3 :: v_dual_sub_nc_u32 v2, v0, v2
	s_delay_alu instid0(VALU_DEP_1) | instskip(NEXT) | instid1(VALU_DEP_2)
	v_cmp_le_u32_e32 vcc_lo, s55, v2
	v_cndmask_b32_e32 v3, v3, v4, vcc_lo
	v_subrev_nc_u32_e32 v5, s55, v2
	s_delay_alu instid0(VALU_DEP_2) | instskip(NEXT) | instid1(VALU_DEP_2)
	v_dual_ashrrev_i32 v11, 31, v12 :: v_dual_add_nc_u32 v4, 1, v3
	v_cndmask_b32_e32 v2, v2, v5, vcc_lo
	v_mul_u64_e32 v[16:17], s[42:43], v[0:1]
	v_mul_u64_e32 v[18:19], s[44:45], v[0:1]
	s_delay_alu instid0(VALU_DEP_4) | instskip(NEXT) | instid1(VALU_DEP_4)
	v_xor_b32_e32 v21, s65, v11
	v_cmp_le_u32_e32 vcc_lo, s55, v2
	v_dual_cndmask_b32 v2, v3, v4, vcc_lo :: v_dual_bitop2_b32 v5, s59, v11 bitop3:0x14
	s_delay_alu instid0(VALU_DEP_1) | instskip(NEXT) | instid1(VALU_DEP_2)
	v_mul_i32_i24_e32 v4, 3, v5
	v_xor_b32_e32 v2, v2, v5
	s_delay_alu instid0(VALU_DEP_1) | instskip(SKIP_1) | instid1(VALU_DEP_1)
	v_sub_nc_u32_e32 v3, v2, v5
	v_lshl_add_u32 v2, v2, 1, v2
	v_sub_nc_u32_e32 v2, v2, v4
	s_delay_alu instid0(VALU_DEP_3) | instskip(NEXT) | instid1(VALU_DEP_2)
	v_mul_lo_u32 v13, s72, v3
	v_mad_u32 v14, s4, v2, s4
	v_dual_add_nc_u32 v3, 2, v2 :: v_dual_add_nc_u32 v2, 3, v2
	v_mul_lo_u32 v10, v17, s61
	v_mul_lo_u32 v18, v19, s63
	v_add_nc_u32_e32 v25, 1, v17
	s_delay_alu instid0(VALU_DEP_4) | instskip(SKIP_2) | instid1(VALU_DEP_2)
	v_mul_lo_u32 v16, s4, v3
	v_add_nc_u32_e32 v4, v12, v13
	v_mul_lo_u32 v15, s4, v2
	v_dual_add_nc_u32 v2, v12, v14 :: v_dual_ashrrev_i32 v20, 31, v4
	v_dual_mov_b32 v3, v1 :: v_dual_sub_nc_u32 v10, v0, v10
	v_sub_nc_u32_e32 v18, v0, v18
	s_delay_alu instid0(VALU_DEP_3) | instskip(NEXT) | instid1(VALU_DEP_4)
	v_ashrrev_i32_e32 v22, 31, v2
	v_add3_u32 v4, v20, v13, v12
	v_dual_add_nc_u32 v5, v12, v16 :: v_dual_add_nc_u32 v6, v12, v15
	v_cmp_le_u32_e32 vcc_lo, s61, v10
	s_delay_alu instid0(VALU_DEP_2) | instskip(SKIP_1) | instid1(VALU_DEP_4)
	v_dual_ashrrev_i32 v23, 31, v5 :: v_dual_bitop2_b32 v2, v4, v20 bitop3:0x14
	v_add3_u32 v4, v22, v14, v12
	v_dual_mov_b32 v5, v1 :: v_dual_ashrrev_i32 v24, 31, v6
	s_delay_alu instid0(VALU_DEP_3) | instskip(NEXT) | instid1(VALU_DEP_3)
	v_mul_u64_e32 v[26:27], s[38:39], v[2:3]
	v_dual_add_nc_u32 v26, 1, v19 :: v_dual_bitop2_b32 v6, v4, v22 bitop3:0x14
	v_add3_u32 v4, v23, v16, v12
	s_delay_alu instid0(VALU_DEP_4)
	v_add3_u32 v8, v24, v15, v12
	v_mov_b32_e32 v9, v1
	v_cmp_le_u32_e64 s0, s63, v18
	v_mul_u64_e32 v[28:29], s[38:39], v[6:7]
	v_xor_b32_e32 v4, v4, v23
	v_xor_b32_e32 v8, v8, v24
	v_subrev_nc_u32_e32 v28, s61, v10
	v_dual_cndmask_b32 v17, v17, v25, vcc_lo :: v_dual_cndmask_b32 v19, v19, v26, s0
	s_delay_alu instid0(VALU_DEP_4) | instskip(NEXT) | instid1(VALU_DEP_4)
	v_mul_u64_e32 v[30:31], s[38:39], v[4:5]
	v_mul_u64_e32 v[32:33], s[38:39], v[8:9]
	s_delay_alu instid0(VALU_DEP_3) | instskip(SKIP_3) | instid1(VALU_DEP_4)
	v_dual_cndmask_b32 v10, v10, v28, vcc_lo :: v_dual_add_nc_u32 v26, 1, v17
	v_subrev_nc_u32_e32 v25, s63, v18
	v_xor_b32_e32 v30, s67, v11
	v_xor_b32_e32 v34, s60, v23
	v_cmp_le_u32_e32 vcc_lo, s61, v10
	s_delay_alu instid0(VALU_DEP_4)
	v_dual_cndmask_b32 v18, v18, v25, s0 :: v_dual_bitop2_b32 v35, s60, v24 bitop3:0x14
	v_dual_cndmask_b32 v10, v17, v26 :: v_dual_add_nc_u32 v25, 1, v19
	v_dual_add_nc_u32 v36, 1, v27 :: v_dual_bitop2_b32 v17, s60, v20 bitop3:0x14
	v_mul_lo_u32 v28, v27, s56
	v_xor_b32_e32 v26, s60, v22
	v_mul_lo_u32 v32, v29, s56
	s_delay_alu instid0(VALU_DEP_3) | instskip(SKIP_3) | instid1(VALU_DEP_4)
	v_dual_add_nc_u32 v37, 1, v29 :: v_dual_sub_nc_u32 v28, v2, v28
	v_mul_lo_u32 v38, v31, s56
	v_mul_lo_u32 v39, v33, s56
	v_add_nc_u32_e32 v41, 1, v33
	v_cmp_le_u32_e32 vcc_lo, s56, v28
	v_subrev_nc_u32_e32 v40, s56, v28
	v_cndmask_b32_e32 v27, v27, v36, vcc_lo
	v_sub_nc_u32_e32 v32, v6, v32
	s_delay_alu instid0(VALU_DEP_3) | instskip(NEXT) | instid1(VALU_DEP_3)
	v_dual_cndmask_b32 v28, v28, v40, vcc_lo :: v_dual_add_nc_u32 v36, 1, v31
	v_add_nc_u32_e32 v40, 1, v27
	s_delay_alu instid0(VALU_DEP_3) | instskip(SKIP_3) | instid1(VALU_DEP_1)
	v_cmp_le_u32_e32 vcc_lo, s56, v32
	v_cndmask_b32_e32 v29, v29, v37, vcc_lo
	v_subrev_nc_u32_e32 v37, s56, v32
	v_cmp_le_u32_e64 s0, s56, v28
	v_dual_sub_nc_u32 v38, v4, v38 :: v_dual_cndmask_b32 v27, v27, v40, s0
	s_delay_alu instid0(VALU_DEP_3) | instskip(NEXT) | instid1(VALU_DEP_2)
	v_cndmask_b32_e32 v28, v32, v37, vcc_lo
	v_cmp_le_u32_e32 vcc_lo, s56, v38
	v_sub_nc_u32_e32 v39, v8, v39
	v_subrev_nc_u32_e32 v32, s56, v38
	v_cndmask_b32_e32 v31, v31, v36, vcc_lo
	s_delay_alu instid0(VALU_DEP_3) | instskip(SKIP_1) | instid1(VALU_DEP_4)
	v_subrev_nc_u32_e32 v36, s56, v39
	v_cmp_le_u32_e64 s0, s56, v39
	v_dual_cndmask_b32 v32, v38, v32 :: v_dual_add_nc_u32 v37, 1, v29
	v_cmp_le_u32_e32 vcc_lo, s56, v28
	s_delay_alu instid0(VALU_DEP_3) | instskip(NEXT) | instid1(VALU_DEP_3)
	v_dual_add_nc_u32 v38, 1, v31 :: v_dual_cndmask_b32 v33, v33, v41, s0
	v_dual_cndmask_b32 v36, v39, v36, s0 :: v_dual_cndmask_b32 v28, v29, v37, vcc_lo
	s_delay_alu instid0(VALU_DEP_4) | instskip(NEXT) | instid1(VALU_DEP_3)
	v_cmp_le_u32_e32 vcc_lo, s56, v32
	v_dual_add_nc_u32 v39, 1, v33 :: v_dual_cndmask_b32 v29, v31, v38, vcc_lo
	s_delay_alu instid0(VALU_DEP_3) | instskip(NEXT) | instid1(VALU_DEP_2)
	v_cmp_le_u32_e32 vcc_lo, s56, v36
	v_cndmask_b32_e32 v31, v33, v39, vcc_lo
	v_cmp_le_u32_e32 vcc_lo, s63, v18
	v_cndmask_b32_e32 v18, v19, v25, vcc_lo
	v_xor_b32_e32 v19, v27, v17
	v_xor_b32_e32 v27, v29, v34
	;; [unrolled: 1-line block ×5, first 2 shown]
	v_sub_nc_u32_e32 v17, v19, v17
	s_and_not1_b32 vcc_lo, exec_lo, s53
	s_delay_alu instid0(VALU_DEP_3) | instskip(SKIP_1) | instid1(VALU_DEP_3)
	v_dual_sub_nc_u32 v19, v25, v26 :: v_dual_sub_nc_u32 v26, v28, v35
	v_sub_nc_u32_e32 v25, v27, v34
	v_mul_lo_u32 v27, v17, s33
	v_xor_b32_e32 v18, v18, v30
	s_delay_alu instid0(VALU_DEP_4) | instskip(SKIP_4) | instid1(VALU_DEP_4)
	v_mul_lo_u32 v28, v19, s33
	v_mul_lo_u32 v31, v26, s33
	;; [unrolled: 1-line block ×3, first 2 shown]
	v_dual_sub_nc_u32 v10, v10, v21 :: v_dual_sub_nc_u32 v27, v13, v27
	v_sub_nc_u32_e32 v18, v18, v30
	v_dual_sub_nc_u32 v28, v14, v28 :: v_dual_sub_nc_u32 v31, v15, v31
	s_delay_alu instid0(VALU_DEP_3) | instskip(SKIP_1) | instid1(VALU_DEP_4)
	v_mad_u32 v21, s73, v10, v12
	v_sub_nc_u32_e32 v29, v16, v29
	v_mad_u32 v30, s74, v18, v12
	s_delay_alu instid0(VALU_DEP_4) | instskip(NEXT) | instid1(VALU_DEP_3)
	v_dual_add_nc_u32 v27, v12, v27 :: v_dual_add_nc_u32 v28, v12, v28
	v_dual_add_nc_u32 v31, v12, v31 :: v_dual_add_nc_u32 v29, v12, v29
	s_delay_alu instid0(VALU_DEP_2) | instskip(NEXT) | instid1(VALU_DEP_3)
	v_mul_lo_u32 v27, v27, s17
	v_mul_lo_u32 v28, v28, s17
	s_delay_alu instid0(VALU_DEP_3)
	v_mul_lo_u32 v31, v31, s17
	v_mul_lo_u32 v21, v21, s25
	;; [unrolled: 1-line block ×4, first 2 shown]
	v_mad_u32 v17, v17, s16, v27
	v_mad_u32 v27, v26, s16, v31
	;; [unrolled: 1-line block ×6, first 2 shown]
	global_load_u16 v26, v10, s[22:23] scale_offset
	s_clause 0x3
	global_load_u16 v19, v17, s[14:15] scale_offset
	global_load_u16 v17, v21, s[14:15] scale_offset
	;; [unrolled: 1-line block ×5, first 2 shown]
	v_mov_b32_e32 v10, v1
	s_cbranch_vccnz .LBB25_5
; %bb.4:                                ;   in Loop: Header=BB25_3 Depth=1
	s_wait_xcnt 0x0
	v_mul_u64_e32 v[28:29], s[48:49], v[0:1]
	s_delay_alu instid0(VALU_DEP_1) | instskip(NEXT) | instid1(VALU_DEP_1)
	v_mul_lo_u32 v10, v29, s66
	v_dual_add_nc_u32 v25, 1, v29 :: v_dual_sub_nc_u32 v10, v0, v10
	s_delay_alu instid0(VALU_DEP_1) | instskip(SKIP_1) | instid1(VALU_DEP_2)
	v_subrev_nc_u32_e32 v28, s66, v10
	v_cmp_le_u32_e32 vcc_lo, s66, v10
	v_dual_cndmask_b32 v25, v29, v25 :: v_dual_cndmask_b32 v10, v10, v28
	s_delay_alu instid0(VALU_DEP_1) | instskip(NEXT) | instid1(VALU_DEP_2)
	v_dual_add_nc_u32 v28, 1, v25 :: v_dual_bitop2_b32 v29, s70, v11 bitop3:0x14
	v_cmp_le_u32_e32 vcc_lo, s66, v10
	s_delay_alu instid0(VALU_DEP_2) | instskip(NEXT) | instid1(VALU_DEP_1)
	v_cndmask_b32_e32 v10, v25, v28, vcc_lo
	v_xor_b32_e32 v10, v10, v29
	s_delay_alu instid0(VALU_DEP_1) | instskip(NEXT) | instid1(VALU_DEP_1)
	v_sub_nc_u32_e32 v10, v10, v29
	v_mad_u32 v25, s76, v10, v12
	s_delay_alu instid0(VALU_DEP_1) | instskip(NEXT) | instid1(VALU_DEP_1)
	v_mul_lo_u32 v25, v25, s13
	v_mad_u32 v10, v10, s12, v25
	global_load_u16 v10, v10, s[8:9] scale_offset
	s_wait_loadcnt 0x0
	s_wait_xcnt 0x0
	v_cvt_f32_f16_e32 v10, v10
.LBB25_5:                               ;   in Loop: Header=BB25_3 Depth=1
	s_and_not1_b32 vcc_lo, exec_lo, s54
	s_cbranch_vccnz .LBB25_7
; %bb.6:                                ;   in Loop: Header=BB25_3 Depth=1
	s_wait_xcnt 0x0
	v_mul_u64_e32 v[28:29], s[50:51], v[0:1]
	s_delay_alu instid0(VALU_DEP_1) | instskip(SKIP_1) | instid1(VALU_DEP_2)
	v_mul_lo_u32 v25, v29, s68
	v_add_nc_u32_e32 v28, 1, v29
	v_sub_nc_u32_e32 v25, v0, v25
	s_delay_alu instid0(VALU_DEP_1) | instskip(NEXT) | instid1(VALU_DEP_3)
	v_cmp_le_u32_e32 vcc_lo, s68, v25
	v_cndmask_b32_e32 v28, v29, v28, vcc_lo
	v_subrev_nc_u32_e32 v30, s68, v25
	s_delay_alu instid0(VALU_DEP_1) | instskip(SKIP_1) | instid1(VALU_DEP_2)
	v_dual_add_nc_u32 v29, 1, v28 :: v_dual_cndmask_b32 v25, v25, v30, vcc_lo
	v_xor_b32_e32 v30, s71, v11
	v_cmp_le_u32_e32 vcc_lo, s68, v25
	s_delay_alu instid0(VALU_DEP_3) | instskip(NEXT) | instid1(VALU_DEP_1)
	v_cndmask_b32_e32 v25, v28, v29, vcc_lo
	v_xor_b32_e32 v25, v25, v30
	s_delay_alu instid0(VALU_DEP_1) | instskip(NEXT) | instid1(VALU_DEP_1)
	v_sub_nc_u32_e32 v25, v25, v30
	v_mad_u32 v28, s77, v25, v12
	s_delay_alu instid0(VALU_DEP_1) | instskip(NEXT) | instid1(VALU_DEP_1)
	v_mul_lo_u32 v28, v28, s31
	v_mad_u32 v25, v25, s30, v28
	global_load_u16 v25, v25, s[10:11] scale_offset
	s_wait_loadcnt 0x0
	s_wait_xcnt 0x0
	v_cvt_f32_f16_e32 v25, v25
	s_branch .LBB25_8
.LBB25_7:                               ;   in Loop: Header=BB25_3 Depth=1
	v_mov_b32_e32 v25, 0
.LBB25_8:                               ;   in Loop: Header=BB25_3 Depth=1
	s_wait_loadcnt 0x0
	v_cvt_f32_f16_e32 v27, v27
                                        ; implicit-def: $vgpr28
	s_delay_alu instid0(VALU_DEP_1) | instskip(SKIP_2) | instid1(SALU_CYCLE_1)
	v_cmp_ngt_f32_e64 s0, 0x3f200000, |v27|
	s_wait_xcnt 0x0
	s_and_saveexec_b32 s1, s0
	s_xor_b32 s0, exec_lo, s1
	s_cbranch_execz .LBB25_10
; %bb.9:                                ;   in Loop: Header=BB25_3 Depth=1
	v_add_f32_e64 v28, |v27|, |v27|
	s_delay_alu instid0(VALU_DEP_1) | instskip(SKIP_1) | instid1(VALU_DEP_2)
	v_mul_f32_e32 v29, 0x3fb8aa3b, v28
	v_cmp_ngt_f32_e32 vcc_lo, 0xc2ce8ed0, v28
	v_rndne_f32_e32 v30, v29
	v_fma_f32 v31, 0x3fb8aa3b, v28, -v29
	s_delay_alu instid0(VALU_DEP_2) | instskip(NEXT) | instid1(VALU_DEP_2)
	v_sub_f32_e32 v29, v29, v30
	v_fmac_f32_e32 v31, 0x32a5705f, v28
	v_cvt_i32_f32_e32 v30, v30
	s_delay_alu instid0(VALU_DEP_2) | instskip(NEXT) | instid1(VALU_DEP_1)
	v_add_f32_e32 v29, v29, v31
	v_exp_f32_e32 v29, v29
	v_nop
	s_delay_alu instid0(TRANS32_DEP_1) | instskip(NEXT) | instid1(VALU_DEP_1)
	v_ldexp_f32 v29, v29, v30
	v_cndmask_b32_e32 v29, 0, v29, vcc_lo
	v_cmp_nlt_f32_e32 vcc_lo, 0x42b17218, v28
	s_delay_alu instid0(VALU_DEP_2) | instskip(NEXT) | instid1(VALU_DEP_1)
	v_cndmask_b32_e32 v28, 0x7f800000, v29, vcc_lo
	v_add_f32_e32 v28, 1.0, v28
	s_delay_alu instid0(VALU_DEP_1) | instskip(SKIP_1) | instid1(TRANS32_DEP_1)
	v_rcp_f32_e32 v28, v28
	v_nop
	v_fma_f32 v28, v28, -2.0, 1.0
.LBB25_10:                              ;   in Loop: Header=BB25_3 Depth=1
	s_and_not1_saveexec_b32 s0, s0
	s_cbranch_execz .LBB25_2
; %bb.11:                               ;   in Loop: Header=BB25_3 Depth=1
	v_mul_f32_e32 v28, v27, v27
	s_delay_alu instid0(VALU_DEP_1) | instskip(NEXT) | instid1(VALU_DEP_1)
	v_fmaak_f32 v29, s78, v28, 0x3ca908c9
	v_fmaak_f32 v29, v28, v29, 0xbd5c1c4e
	s_delay_alu instid0(VALU_DEP_1) | instskip(NEXT) | instid1(VALU_DEP_1)
	v_fmaak_f32 v29, v28, v29, 0x3e088382
	v_fmaak_f32 v29, v28, v29, 0xbeaaaa99
	s_delay_alu instid0(VALU_DEP_1) | instskip(NEXT) | instid1(VALU_DEP_1)
	v_mul_f32_e64 v29, |v27|, v29
	v_fma_f32 v28, v28, v29, |v27|
	s_branch .LBB25_2
.LBB25_12:
	s_endpgm
	.section	.rodata,"a",@progbits
	.p2align	6, 0x0
	.amdhsa_kernel _ZN2at6native12_GLOBAL__N_16kernel18lstm_cell_backwardIN3c104HalfEfiLi2EEEvNS_4cuda6detail10TensorInfoIT_T1_EESB_SB_SB_SB_SB_SB_SA_SA_
		.amdhsa_group_segment_fixed_size 0
		.amdhsa_private_segment_fixed_size 0
		.amdhsa_kernarg_size 1776
		.amdhsa_user_sgpr_count 2
		.amdhsa_user_sgpr_dispatch_ptr 0
		.amdhsa_user_sgpr_queue_ptr 0
		.amdhsa_user_sgpr_kernarg_segment_ptr 1
		.amdhsa_user_sgpr_dispatch_id 0
		.amdhsa_user_sgpr_kernarg_preload_length 0
		.amdhsa_user_sgpr_kernarg_preload_offset 0
		.amdhsa_user_sgpr_private_segment_size 0
		.amdhsa_wavefront_size32 1
		.amdhsa_uses_dynamic_stack 0
		.amdhsa_enable_private_segment 0
		.amdhsa_system_sgpr_workgroup_id_x 1
		.amdhsa_system_sgpr_workgroup_id_y 0
		.amdhsa_system_sgpr_workgroup_id_z 0
		.amdhsa_system_sgpr_workgroup_info 0
		.amdhsa_system_vgpr_workitem_id 0
		.amdhsa_next_free_vgpr 46
		.amdhsa_next_free_sgpr 81
		.amdhsa_named_barrier_count 0
		.amdhsa_reserve_vcc 1
		.amdhsa_float_round_mode_32 0
		.amdhsa_float_round_mode_16_64 0
		.amdhsa_float_denorm_mode_32 3
		.amdhsa_float_denorm_mode_16_64 3
		.amdhsa_fp16_overflow 0
		.amdhsa_memory_ordered 1
		.amdhsa_forward_progress 1
		.amdhsa_inst_pref_size 26
		.amdhsa_round_robin_scheduling 0
		.amdhsa_exception_fp_ieee_invalid_op 0
		.amdhsa_exception_fp_denorm_src 0
		.amdhsa_exception_fp_ieee_div_zero 0
		.amdhsa_exception_fp_ieee_overflow 0
		.amdhsa_exception_fp_ieee_underflow 0
		.amdhsa_exception_fp_ieee_inexact 0
		.amdhsa_exception_int_div_zero 0
	.end_amdhsa_kernel
	.section	.text._ZN2at6native12_GLOBAL__N_16kernel18lstm_cell_backwardIN3c104HalfEfiLi2EEEvNS_4cuda6detail10TensorInfoIT_T1_EESB_SB_SB_SB_SB_SB_SA_SA_,"axG",@progbits,_ZN2at6native12_GLOBAL__N_16kernel18lstm_cell_backwardIN3c104HalfEfiLi2EEEvNS_4cuda6detail10TensorInfoIT_T1_EESB_SB_SB_SB_SB_SB_SA_SA_,comdat
.Lfunc_end25:
	.size	_ZN2at6native12_GLOBAL__N_16kernel18lstm_cell_backwardIN3c104HalfEfiLi2EEEvNS_4cuda6detail10TensorInfoIT_T1_EESB_SB_SB_SB_SB_SB_SA_SA_, .Lfunc_end25-_ZN2at6native12_GLOBAL__N_16kernel18lstm_cell_backwardIN3c104HalfEfiLi2EEEvNS_4cuda6detail10TensorInfoIT_T1_EESB_SB_SB_SB_SB_SB_SA_SA_
                                        ; -- End function
	.set _ZN2at6native12_GLOBAL__N_16kernel18lstm_cell_backwardIN3c104HalfEfiLi2EEEvNS_4cuda6detail10TensorInfoIT_T1_EESB_SB_SB_SB_SB_SB_SA_SA_.num_vgpr, 46
	.set _ZN2at6native12_GLOBAL__N_16kernel18lstm_cell_backwardIN3c104HalfEfiLi2EEEvNS_4cuda6detail10TensorInfoIT_T1_EESB_SB_SB_SB_SB_SB_SA_SA_.num_agpr, 0
	.set _ZN2at6native12_GLOBAL__N_16kernel18lstm_cell_backwardIN3c104HalfEfiLi2EEEvNS_4cuda6detail10TensorInfoIT_T1_EESB_SB_SB_SB_SB_SB_SA_SA_.numbered_sgpr, 81
	.set _ZN2at6native12_GLOBAL__N_16kernel18lstm_cell_backwardIN3c104HalfEfiLi2EEEvNS_4cuda6detail10TensorInfoIT_T1_EESB_SB_SB_SB_SB_SB_SA_SA_.num_named_barrier, 0
	.set _ZN2at6native12_GLOBAL__N_16kernel18lstm_cell_backwardIN3c104HalfEfiLi2EEEvNS_4cuda6detail10TensorInfoIT_T1_EESB_SB_SB_SB_SB_SB_SA_SA_.private_seg_size, 0
	.set _ZN2at6native12_GLOBAL__N_16kernel18lstm_cell_backwardIN3c104HalfEfiLi2EEEvNS_4cuda6detail10TensorInfoIT_T1_EESB_SB_SB_SB_SB_SB_SA_SA_.uses_vcc, 1
	.set _ZN2at6native12_GLOBAL__N_16kernel18lstm_cell_backwardIN3c104HalfEfiLi2EEEvNS_4cuda6detail10TensorInfoIT_T1_EESB_SB_SB_SB_SB_SB_SA_SA_.uses_flat_scratch, 0
	.set _ZN2at6native12_GLOBAL__N_16kernel18lstm_cell_backwardIN3c104HalfEfiLi2EEEvNS_4cuda6detail10TensorInfoIT_T1_EESB_SB_SB_SB_SB_SB_SA_SA_.has_dyn_sized_stack, 0
	.set _ZN2at6native12_GLOBAL__N_16kernel18lstm_cell_backwardIN3c104HalfEfiLi2EEEvNS_4cuda6detail10TensorInfoIT_T1_EESB_SB_SB_SB_SB_SB_SA_SA_.has_recursion, 0
	.set _ZN2at6native12_GLOBAL__N_16kernel18lstm_cell_backwardIN3c104HalfEfiLi2EEEvNS_4cuda6detail10TensorInfoIT_T1_EESB_SB_SB_SB_SB_SB_SA_SA_.has_indirect_call, 0
	.section	.AMDGPU.csdata,"",@progbits
; Kernel info:
; codeLenInByte = 3280
; TotalNumSgprs: 83
; NumVgprs: 46
; ScratchSize: 0
; MemoryBound: 0
; FloatMode: 240
; IeeeMode: 1
; LDSByteSize: 0 bytes/workgroup (compile time only)
; SGPRBlocks: 0
; VGPRBlocks: 2
; NumSGPRsForWavesPerEU: 83
; NumVGPRsForWavesPerEU: 46
; NamedBarCnt: 0
; Occupancy: 16
; WaveLimiterHint : 1
; COMPUTE_PGM_RSRC2:SCRATCH_EN: 0
; COMPUTE_PGM_RSRC2:USER_SGPR: 2
; COMPUTE_PGM_RSRC2:TRAP_HANDLER: 0
; COMPUTE_PGM_RSRC2:TGID_X_EN: 1
; COMPUTE_PGM_RSRC2:TGID_Y_EN: 0
; COMPUTE_PGM_RSRC2:TGID_Z_EN: 0
; COMPUTE_PGM_RSRC2:TIDIG_COMP_CNT: 0
	.section	.text._ZN2at6native12_GLOBAL__N_16kernel18lstm_cell_backwardIN3c104HalfEflLi1EEEvNS_4cuda6detail10TensorInfoIT_T1_EESB_SB_SB_SB_SB_SB_SA_SA_,"axG",@progbits,_ZN2at6native12_GLOBAL__N_16kernel18lstm_cell_backwardIN3c104HalfEflLi1EEEvNS_4cuda6detail10TensorInfoIT_T1_EESB_SB_SB_SB_SB_SB_SA_SA_,comdat
	.globl	_ZN2at6native12_GLOBAL__N_16kernel18lstm_cell_backwardIN3c104HalfEflLi1EEEvNS_4cuda6detail10TensorInfoIT_T1_EESB_SB_SB_SB_SB_SB_SA_SA_ ; -- Begin function _ZN2at6native12_GLOBAL__N_16kernel18lstm_cell_backwardIN3c104HalfEflLi1EEEvNS_4cuda6detail10TensorInfoIT_T1_EESB_SB_SB_SB_SB_SB_SA_SA_
	.p2align	8
	.type	_ZN2at6native12_GLOBAL__N_16kernel18lstm_cell_backwardIN3c104HalfEflLi1EEEvNS_4cuda6detail10TensorInfoIT_T1_EESB_SB_SB_SB_SB_SB_SA_SA_,@function
_ZN2at6native12_GLOBAL__N_16kernel18lstm_cell_backwardIN3c104HalfEflLi1EEEvNS_4cuda6detail10TensorInfoIT_T1_EESB_SB_SB_SB_SB_SB_SA_SA_: ; @_ZN2at6native12_GLOBAL__N_16kernel18lstm_cell_backwardIN3c104HalfEflLi1EEEvNS_4cuda6detail10TensorInfoIT_T1_EESB_SB_SB_SB_SB_SB_SA_SA_
; %bb.0:
	s_clause 0x1
	s_load_b32 s2, s[0:1], 0xb7c
	s_load_b128 s[4:7], s[0:1], 0xb60
	s_bfe_u32 s3, ttmp6, 0x4000c
	s_and_b32 s8, ttmp6, 15
	s_add_co_i32 s3, s3, 1
	s_getreg_b32 s9, hwreg(HW_REG_IB_STS2, 6, 4)
	s_mul_i32 s3, ttmp9, s3
	v_mov_b32_e32 v2, 0
	s_add_co_i32 s8, s8, s3
	s_delay_alu instid0(VALU_DEP_1)
	v_mov_b32_e32 v1, v2
	s_wait_kmcnt 0x0
	s_and_b32 s2, s2, 0xffff
	s_cmp_eq_u32 s9, 0
	s_cselect_b32 s3, ttmp9, s8
	s_mov_b32 s8, exec_lo
	v_mad_u32 v0, s3, s2, v0
	s_mov_b32 s3, 0
	s_delay_alu instid0(VALU_DEP_1)
	v_cmpx_gt_i64_e64 s[6:7], v[0:1]
	s_cbranch_execz .LBB26_15
; %bb.1:
	s_clause 0x6
	s_load_b64 s[22:23], s[0:1], 0x410
	s_load_b64 s[24:25], s[0:1], 0x5b0
	;; [unrolled: 1-line block ×7, first 2 shown]
	s_add_nc_u64 s[8:9], s[0:1], 0xb70
	s_load_b64 s[40:41], s[0:1], 0x820
	s_load_b32 s16, s[8:9], 0x0
	s_clause 0x1
	s_load_b64 s[42:43], s[0:1], 0x340
	s_load_b64 s[44:45], s[0:1], 0x9c0
	s_wait_xcnt 0x0
	s_clause 0x3
	s_load_b64 s[8:9], s[0:1], 0x0
	s_load_b64 s[10:11], s[0:1], 0xd0
	;; [unrolled: 1-line block ×4, first 2 shown]
	s_mov_b32 s17, s3
	s_mul_u64 s[18:19], s[4:5], 3
	s_mov_b64 s[20:21], 0xffffffff
	s_wait_kmcnt 0x0
	v_mul_u64_e32 v[4:5], s[22:23], v[0:1]
	v_mul_u64_e32 v[6:7], s[24:25], v[0:1]
	;; [unrolled: 1-line block ×5, first 2 shown]
	s_cmp_lg_u64 s[36:37], 0
	s_cselect_b32 s1, -1, 0
	s_mul_i32 s16, s16, s2
	s_cmp_lg_u64 s[40:41], 0
	s_mul_u64 s[34:35], s[16:17], s[22:23]
	s_mul_u64 s[46:47], s[16:17], s[24:25]
	;; [unrolled: 1-line block ×5, first 2 shown]
	s_cselect_b32 s33, -1, 0
	s_ashr_i32 s22, s5, 31
	s_lshl_b64 s[24:25], s[34:35], 1
	s_lshl_b64 s[26:27], s[46:47], 1
	;; [unrolled: 1-line block ×5, first 2 shown]
	v_lshl_add_u64 v[4:5], v[4:5], 1, s[42:43]
	v_lshl_add_u64 v[6:7], v[6:7], 1, s[38:39]
	;; [unrolled: 1-line block ×5, first 2 shown]
	s_mov_b32 s38, 0xbbbac73d
	s_mov_b32 s39, 1.0
	s_sub_co_i32 s40, 0, s4
	s_mov_b32 s41, 0
	s_branch .LBB26_3
.LBB26_2:                               ;   in Loop: Header=BB26_3 Depth=1
	s_or_b32 exec_lo, exec_lo, s0
	s_delay_alu instid0(VALU_DEP_1)
	v_bfi_b32 v23, 0x7fffffff, v29, v23
	v_mul_u64_e32 v[20:21], s[14:15], v[20:21]
	v_mul_u64_e32 v[18:19], s[14:15], v[18:19]
	;; [unrolled: 1-line block ×3, first 2 shown]
	v_cvt_f32_f16_e32 v30, v25
	v_mov_b32_e32 v31, v23
	v_mul_u64_e32 v[14:15], s[14:15], v[14:15]
	v_cvt_f32_f16_e32 v29, v27
	v_cvt_f32_f16_e32 v34, v3
	;; [unrolled: 1-line block ×3, first 2 shown]
	v_pk_mul_f32 v[32:33], v[22:23], v[30:31]
	v_cvt_f32_f16_e32 v31, v24
	v_dual_mul_f32 v22, v22, v23 :: v_dual_sub_f32 v23, 1.0, v30
	v_add_nc_u64_e32 v[0:1], s[16:17], v[0:1]
	s_delay_alu instid0(VALU_DEP_4)
	v_sub_f32_e32 v33, 1.0, v33
	v_fma_mix_f32 v27, -v27, v27, s39 op_sel_hi:[1,1,0]
	v_add_nc_u64_e32 v[4:5], s[24:25], v[4:5]
	v_add_nc_u64_e32 v[6:7], s[26:27], v[6:7]
	;; [unrolled: 1-line block ×3, first 2 shown]
	v_dual_fmac_f32 v26, v32, v33 :: v_dual_sub_f32 v30, 1.0, v31
	v_sub_f32_e32 v32, 1.0, v34
	v_mul_f32_e32 v22, v23, v22
	v_cmp_le_i64_e32 vcc_lo, s[6:7], v[0:1]
	s_delay_alu instid0(VALU_DEP_4) | instskip(SKIP_1) | instid1(VALU_DEP_4)
	v_dual_mul_f32 v23, v26, v29 :: v_dual_mul_f32 v28, v26, v28
	v_mul_f32_e32 v29, v26, v31
	v_fma_mixlo_f16 v22, v22, v25, 0 op_sel_hi:[0,1,0]
	v_add_nc_u64_e32 v[12:13], s[34:35], v[12:13]
	s_delay_alu instid0(VALU_DEP_4) | instskip(NEXT) | instid1(VALU_DEP_4)
	v_dual_mul_f32 v23, v30, v23 :: v_dual_mul_f32 v25, v32, v28
	v_fma_mixlo_f16 v27, v27, v29, 0
	v_lshl_add_u64 v[20:21], v[20:21], 1, s[12:13]
	v_lshl_add_u64 v[18:19], v[18:19], 1, s[12:13]
	s_delay_alu instid0(VALU_DEP_4)
	v_fma_mixlo_f16 v23, v23, v24, 0 op_sel_hi:[0,1,0]
	v_fma_mixlo_f16 v24, v25, v3, 0 op_sel_hi:[0,1,0]
	v_lshl_add_u64 v[16:17], v[16:17], 1, s[12:13]
	v_lshl_add_u64 v[14:15], v[14:15], 1, s[12:13]
	v_fma_mixlo_f16 v3, v26, v3, 0 op_sel_hi:[0,1,0]
	s_clause 0x3
	global_store_b16 v[20:21], v23, off
	global_store_b16 v[18:19], v24, off
	;; [unrolled: 1-line block ×5, first 2 shown]
	s_wait_xcnt 0x0
	v_add_nc_u64_e32 v[8:9], s[28:29], v[8:9]
	s_or_b32 s41, vcc_lo, s41
	s_delay_alu instid0(SALU_CYCLE_1)
	s_and_not1_b32 exec_lo, exec_lo, s41
	s_cbranch_execz .LBB26_15
.LBB26_3:                               ; =>This Inner Loop Header: Depth=1
	v_or_b32_e32 v3, s5, v1
                                        ; implicit-def: $vgpr22_vgpr23
	s_mov_b32 s0, exec_lo
	s_delay_alu instid0(VALU_DEP_1)
	v_cmpx_ne_u64_e32 0, v[2:3]
	s_xor_b32 s42, exec_lo, s0
	s_cbranch_execz .LBB26_5
; %bb.4:                                ;   in Loop: Header=BB26_3 Depth=1
	s_mov_b32 s23, s22
	v_dual_mov_b32 v19, v2 :: v_dual_ashrrev_i32 v14, 31, v1
	s_add_nc_u64 s[36:37], s[4:5], s[22:23]
	v_mov_b32_e32 v27, v2
	s_xor_b64 s[36:37], s[36:37], s[22:23]
	s_delay_alu instid0(VALU_DEP_2) | instskip(SKIP_3) | instid1(VALU_DEP_1)
	v_mov_b32_e32 v15, v14
	s_cvt_f32_u32 s0, s36
	s_cvt_f32_u32 s2, s37
	s_sub_nc_u64 s[46:47], 0, s[36:37]
	v_add_nc_u64_e32 v[16:17], v[0:1], v[14:15]
	s_delay_alu instid0(SALU_CYCLE_1) | instskip(SKIP_1) | instid1(SALU_CYCLE_2)
	s_fmamk_f32 s0, s2, 0x4f800000, s0
	v_mov_b32_e32 v23, v2
	v_s_rcp_f32 s0, s0
	s_delay_alu instid0(VALU_DEP_2) | instskip(NEXT) | instid1(VALU_DEP_3)
	v_xor_b32_e32 v18, v16, v14
	v_xor_b32_e32 v22, v17, v14
	s_delay_alu instid0(TRANS32_DEP_1) | instskip(NEXT) | instid1(SALU_CYCLE_3)
	s_mul_f32 s0, s0, 0x5f7ffffc
	s_mul_f32 s2, s0, 0x2f800000
	s_delay_alu instid0(SALU_CYCLE_3) | instskip(NEXT) | instid1(SALU_CYCLE_3)
	s_trunc_f32 s2, s2
	s_fmamk_f32 s0, s2, 0xcf800000, s0
	s_cvt_u32_f32 s45, s2
	s_delay_alu instid0(SALU_CYCLE_2) | instskip(NEXT) | instid1(SALU_CYCLE_3)
	s_cvt_u32_f32 s44, s0
	s_mul_u64 s[48:49], s[46:47], s[44:45]
	s_delay_alu instid0(SALU_CYCLE_1)
	s_mul_hi_u32 s51, s44, s49
	s_mul_i32 s50, s44, s49
	s_mul_hi_u32 s2, s44, s48
	s_mul_i32 s23, s45, s48
	s_add_nc_u64 s[50:51], s[2:3], s[50:51]
	s_mul_hi_u32 s0, s45, s48
	s_mul_hi_u32 s43, s45, s49
	s_add_co_u32 s2, s50, s23
	s_add_co_ci_u32 s2, s51, s0
	s_mul_i32 s48, s45, s49
	s_add_co_ci_u32 s49, s43, 0
	s_delay_alu instid0(SALU_CYCLE_1) | instskip(NEXT) | instid1(SALU_CYCLE_1)
	s_add_nc_u64 s[48:49], s[2:3], s[48:49]
	s_add_co_u32 s44, s44, s48
	s_cselect_b32 s0, -1, 0
	s_delay_alu instid0(SALU_CYCLE_1) | instskip(SKIP_1) | instid1(SALU_CYCLE_1)
	s_cmp_lg_u32 s0, 0
	s_add_co_ci_u32 s45, s45, s49
	s_mul_u64 s[46:47], s[46:47], s[44:45]
	s_delay_alu instid0(SALU_CYCLE_1)
	s_mul_hi_u32 s49, s44, s47
	s_mul_i32 s48, s44, s47
	s_mul_hi_u32 s2, s44, s46
	s_mul_i32 s23, s45, s46
	s_add_nc_u64 s[48:49], s[2:3], s[48:49]
	s_mul_hi_u32 s0, s45, s46
	s_mul_hi_u32 s43, s45, s47
	s_add_co_u32 s2, s48, s23
	s_add_co_ci_u32 s2, s49, s0
	s_mul_i32 s46, s45, s47
	s_add_co_ci_u32 s47, s43, 0
	s_delay_alu instid0(SALU_CYCLE_1) | instskip(NEXT) | instid1(SALU_CYCLE_1)
	s_add_nc_u64 s[46:47], s[2:3], s[46:47]
	s_add_co_u32 s0, s44, s46
	s_cselect_b32 s2, -1, 0
	v_mul_hi_u32 v26, v18, s0
	s_cmp_lg_u32 s2, 0
	s_add_co_ci_u32 s2, s45, s47
	s_and_b64 s[44:45], s[0:1], s[20:21]
	v_mul_u64_e32 v[20:21], s[2:3], v[18:19]
	v_mul_u64_e32 v[16:17], s[44:45], v[22:23]
	;; [unrolled: 1-line block ×3, first 2 shown]
	s_delay_alu instid0(VALU_DEP_3) | instskip(NEXT) | instid1(VALU_DEP_1)
	v_add_nc_u64_e32 v[20:21], v[26:27], v[20:21]
	v_add_co_u32 v3, vcc_lo, v20, v16
	s_delay_alu instid0(VALU_DEP_2) | instskip(NEXT) | instid1(VALU_DEP_4)
	v_add_co_ci_u32_e32 v26, vcc_lo, v21, v17, vcc_lo
	v_add_co_ci_u32_e32 v25, vcc_lo, 0, v25, vcc_lo
	s_delay_alu instid0(VALU_DEP_1) | instskip(NEXT) | instid1(VALU_DEP_1)
	v_add_nc_u64_e32 v[16:17], v[26:27], v[24:25]
	v_mul_u64_e32 v[20:21], s[36:37], v[16:17]
	s_delay_alu instid0(VALU_DEP_1) | instskip(NEXT) | instid1(VALU_DEP_2)
	v_sub_nc_u32_e32 v3, v22, v21
	v_sub_co_u32 v15, vcc_lo, v18, v20
	s_delay_alu instid0(VALU_DEP_1) | instskip(NEXT) | instid1(VALU_DEP_3)
	v_sub_co_ci_u32_e64 v22, null, v22, v21, vcc_lo
	v_subrev_co_ci_u32_e64 v3, null, s37, v3, vcc_lo
	s_delay_alu instid0(VALU_DEP_3) | instskip(SKIP_1) | instid1(VALU_DEP_3)
	v_sub_co_u32 v18, s0, v15, s36
	v_add_nc_u64_e32 v[20:21], 1, v[16:17]
	v_subrev_co_ci_u32_e64 v3, null, 0, v3, s0
	s_delay_alu instid0(VALU_DEP_3) | instskip(SKIP_1) | instid1(VALU_DEP_3)
	v_cmp_le_u32_e32 vcc_lo, s36, v18
	v_cndmask_b32_e64 v18, 0, -1, vcc_lo
	v_cmp_le_u32_e32 vcc_lo, s37, v3
	v_cndmask_b32_e64 v19, 0, -1, vcc_lo
	;; [unrolled: 2-line block ×4, first 2 shown]
	v_cmp_eq_u32_e32 vcc_lo, s37, v3
	v_cndmask_b32_e32 v3, v19, v18, vcc_lo
	v_cmp_eq_u32_e32 vcc_lo, s37, v22
	v_add_nc_u64_e32 v[18:19], 2, v[16:17]
	v_cndmask_b32_e32 v15, v23, v15, vcc_lo
	s_delay_alu instid0(VALU_DEP_4) | instskip(NEXT) | instid1(VALU_DEP_2)
	v_cmp_ne_u32_e32 vcc_lo, 0, v3
	v_cmp_ne_u32_e64 s0, 0, v15
	s_delay_alu instid0(VALU_DEP_4) | instskip(NEXT) | instid1(VALU_DEP_1)
	v_dual_cndmask_b32 v3, v21, v19, vcc_lo :: v_dual_cndmask_b32 v15, v20, v18, vcc_lo
	v_dual_cndmask_b32 v3, v17, v3, s0 :: v_dual_bitop2_b32 v14, s22, v14 bitop3:0x14
	s_delay_alu instid0(VALU_DEP_1) | instskip(NEXT) | instid1(VALU_DEP_2)
	v_dual_cndmask_b32 v16, v16, v15, s0 :: v_dual_mov_b32 v15, v14
	v_xor_b32_e32 v17, v3, v14
	s_delay_alu instid0(VALU_DEP_2) | instskip(NEXT) | instid1(VALU_DEP_1)
	v_xor_b32_e32 v16, v16, v14
	v_sub_nc_u64_e32 v[22:23], v[16:17], v[14:15]
.LBB26_5:                               ;   in Loop: Header=BB26_3 Depth=1
	s_and_not1_saveexec_b32 s0, s42
	s_cbranch_execz .LBB26_7
; %bb.6:                                ;   in Loop: Header=BB26_3 Depth=1
	v_cvt_f32_u32_e32 v3, s4
	v_mov_b32_e32 v23, v2
	s_delay_alu instid0(VALU_DEP_2) | instskip(SKIP_1) | instid1(TRANS32_DEP_1)
	v_rcp_iflag_f32_e32 v3, v3
	v_nop
	v_mul_f32_e32 v3, 0x4f7ffffe, v3
	s_delay_alu instid0(VALU_DEP_1) | instskip(NEXT) | instid1(VALU_DEP_1)
	v_cvt_u32_f32_e32 v3, v3
	v_mul_lo_u32 v14, s40, v3
	s_delay_alu instid0(VALU_DEP_1) | instskip(NEXT) | instid1(VALU_DEP_1)
	v_mul_hi_u32 v14, v3, v14
	v_add_nc_u32_e32 v3, v3, v14
	s_delay_alu instid0(VALU_DEP_1) | instskip(NEXT) | instid1(VALU_DEP_1)
	v_mul_hi_u32 v3, v0, v3
	v_mul_lo_u32 v14, v3, s4
	s_delay_alu instid0(VALU_DEP_1) | instskip(NEXT) | instid1(VALU_DEP_1)
	v_dual_add_nc_u32 v15, 1, v3 :: v_dual_sub_nc_u32 v14, v0, v14
	v_subrev_nc_u32_e32 v16, s4, v14
	v_cmp_le_u32_e32 vcc_lo, s4, v14
	s_delay_alu instid0(VALU_DEP_2) | instskip(NEXT) | instid1(VALU_DEP_1)
	v_dual_cndmask_b32 v14, v14, v16 :: v_dual_cndmask_b32 v3, v3, v15
	v_cmp_le_u32_e32 vcc_lo, s4, v14
	s_delay_alu instid0(VALU_DEP_2) | instskip(NEXT) | instid1(VALU_DEP_1)
	v_add_nc_u32_e32 v15, 1, v3
	v_cndmask_b32_e32 v22, v3, v15, vcc_lo
.LBB26_7:                               ;   in Loop: Header=BB26_3 Depth=1
	s_or_b32 exec_lo, exec_lo, s0
	s_delay_alu instid0(VALU_DEP_1) | instskip(SKIP_2) | instid1(VALU_DEP_1)
	v_mul_u64_e32 v[14:15], 3, v[22:23]
	v_mad_nc_u64_u32 v[20:21], s18, v22, v[0:1]
	s_and_not1_b32 vcc_lo, exec_lo, s1
	v_mad_u32 v3, s19, v22, v21
	s_delay_alu instid0(VALU_DEP_1) | instskip(NEXT) | instid1(VALU_DEP_4)
	v_mad_u32 v21, s18, v23, v3
	v_add_nc_u64_e32 v[24:25], 1, v[14:15]
	v_add_nc_u64_e32 v[26:27], 2, v[14:15]
	;; [unrolled: 1-line block ×3, first 2 shown]
	s_delay_alu instid0(VALU_DEP_4) | instskip(NEXT) | instid1(VALU_DEP_4)
	v_mul_u64_e32 v[22:23], s[10:11], v[20:21]
	v_mad_nc_u64_u32 v[18:19], s4, v24, v[0:1]
	s_delay_alu instid0(VALU_DEP_4) | instskip(NEXT) | instid1(VALU_DEP_4)
	v_mad_nc_u64_u32 v[16:17], s4, v26, v[0:1]
	v_mad_nc_u64_u32 v[14:15], s4, v28, v[0:1]
	s_delay_alu instid0(VALU_DEP_3) | instskip(NEXT) | instid1(VALU_DEP_3)
	v_mad_u32 v19, s5, v24, v19
	v_mad_u32 v17, s5, v26, v17
	s_delay_alu instid0(VALU_DEP_3) | instskip(NEXT) | instid1(VALU_DEP_3)
	v_mad_u32 v15, s5, v28, v15
	v_mad_u32 v19, s4, v25, v19
	;; [unrolled: 3-line block ×3, first 2 shown]
	v_lshl_add_u64 v[30:31], v[22:23], 1, s[8:9]
	v_mov_b32_e32 v22, 0
	v_mul_u64_e32 v[24:25], s[10:11], v[18:19]
	v_mul_u64_e32 v[26:27], s[10:11], v[16:17]
	;; [unrolled: 1-line block ×3, first 2 shown]
	s_delay_alu instid0(VALU_DEP_3) | instskip(NEXT) | instid1(VALU_DEP_3)
	v_lshl_add_u64 v[32:33], v[24:25], 1, s[8:9]
	v_lshl_add_u64 v[34:35], v[26:27], 1, s[8:9]
	s_delay_alu instid0(VALU_DEP_3)
	v_lshl_add_u64 v[36:37], v[28:29], 1, s[8:9]
	global_load_u16 v28, v[4:5], off
	s_clause 0x3
	global_load_u16 v24, v[30:31], off
	global_load_u16 v3, v[32:33], off
	global_load_u16 v27, v[34:35], off
	global_load_u16 v25, v[36:37], off
	global_load_u16 v23, v[6:7], off
	v_mov_b32_e32 v26, 0
	s_cbranch_vccnz .LBB26_9
; %bb.8:                                ;   in Loop: Header=BB26_3 Depth=1
	global_load_u16 v22, v[10:11], off
	s_wait_loadcnt 0x0
	v_cvt_f32_f16_e32 v22, v22
.LBB26_9:                               ;   in Loop: Header=BB26_3 Depth=1
	s_and_not1_b32 vcc_lo, exec_lo, s33
	s_cbranch_vccnz .LBB26_11
; %bb.10:                               ;   in Loop: Header=BB26_3 Depth=1
	global_load_u16 v26, v[12:13], off
	s_wait_loadcnt 0x0
	v_cvt_f32_f16_e32 v26, v26
.LBB26_11:                              ;   in Loop: Header=BB26_3 Depth=1
	s_wait_loadcnt 0x0
	v_cvt_f32_f16_e32 v23, v23
                                        ; implicit-def: $vgpr29
	s_delay_alu instid0(VALU_DEP_1) | instskip(SKIP_2) | instid1(SALU_CYCLE_1)
	v_cmp_ngt_f32_e64 s0, 0x3f200000, |v23|
	s_wait_xcnt 0x0
	s_and_saveexec_b32 s2, s0
	s_xor_b32 s0, exec_lo, s2
	s_cbranch_execz .LBB26_13
; %bb.12:                               ;   in Loop: Header=BB26_3 Depth=1
	v_add_f32_e64 v29, |v23|, |v23|
	s_delay_alu instid0(VALU_DEP_1) | instskip(SKIP_1) | instid1(VALU_DEP_2)
	v_mul_f32_e32 v30, 0x3fb8aa3b, v29
	v_cmp_ngt_f32_e32 vcc_lo, 0xc2ce8ed0, v29
	v_rndne_f32_e32 v31, v30
	v_fma_f32 v32, 0x3fb8aa3b, v29, -v30
	s_delay_alu instid0(VALU_DEP_2) | instskip(NEXT) | instid1(VALU_DEP_2)
	v_sub_f32_e32 v30, v30, v31
	v_fmac_f32_e32 v32, 0x32a5705f, v29
	v_cvt_i32_f32_e32 v31, v31
	s_delay_alu instid0(VALU_DEP_2) | instskip(NEXT) | instid1(VALU_DEP_1)
	v_add_f32_e32 v30, v30, v32
	v_exp_f32_e32 v30, v30
	v_nop
	s_delay_alu instid0(TRANS32_DEP_1) | instskip(NEXT) | instid1(VALU_DEP_1)
	v_ldexp_f32 v30, v30, v31
	v_cndmask_b32_e32 v30, 0, v30, vcc_lo
	v_cmp_nlt_f32_e32 vcc_lo, 0x42b17218, v29
	s_delay_alu instid0(VALU_DEP_2) | instskip(NEXT) | instid1(VALU_DEP_1)
	v_cndmask_b32_e32 v29, 0x7f800000, v30, vcc_lo
	v_add_f32_e32 v29, 1.0, v29
	s_delay_alu instid0(VALU_DEP_1) | instskip(SKIP_1) | instid1(TRANS32_DEP_1)
	v_rcp_f32_e32 v29, v29
	v_nop
	v_fma_f32 v29, v29, -2.0, 1.0
.LBB26_13:                              ;   in Loop: Header=BB26_3 Depth=1
	s_and_not1_saveexec_b32 s0, s0
	s_cbranch_execz .LBB26_2
; %bb.14:                               ;   in Loop: Header=BB26_3 Depth=1
	v_mul_f32_e32 v29, v23, v23
	s_delay_alu instid0(VALU_DEP_1) | instskip(NEXT) | instid1(VALU_DEP_1)
	v_fmaak_f32 v30, s38, v29, 0x3ca908c9
	v_fmaak_f32 v30, v29, v30, 0xbd5c1c4e
	s_delay_alu instid0(VALU_DEP_1) | instskip(NEXT) | instid1(VALU_DEP_1)
	v_fmaak_f32 v30, v29, v30, 0x3e088382
	v_fmaak_f32 v30, v29, v30, 0xbeaaaa99
	s_delay_alu instid0(VALU_DEP_1) | instskip(NEXT) | instid1(VALU_DEP_1)
	v_mul_f32_e64 v30, |v23|, v30
	v_fma_f32 v29, v29, v30, |v23|
	s_branch .LBB26_2
.LBB26_15:
	s_endpgm
	.section	.rodata,"a",@progbits
	.p2align	6, 0x0
	.amdhsa_kernel _ZN2at6native12_GLOBAL__N_16kernel18lstm_cell_backwardIN3c104HalfEflLi1EEEvNS_4cuda6detail10TensorInfoIT_T1_EESB_SB_SB_SB_SB_SB_SA_SA_
		.amdhsa_group_segment_fixed_size 0
		.amdhsa_private_segment_fixed_size 0
		.amdhsa_kernarg_size 3184
		.amdhsa_user_sgpr_count 2
		.amdhsa_user_sgpr_dispatch_ptr 0
		.amdhsa_user_sgpr_queue_ptr 0
		.amdhsa_user_sgpr_kernarg_segment_ptr 1
		.amdhsa_user_sgpr_dispatch_id 0
		.amdhsa_user_sgpr_kernarg_preload_length 0
		.amdhsa_user_sgpr_kernarg_preload_offset 0
		.amdhsa_user_sgpr_private_segment_size 0
		.amdhsa_wavefront_size32 1
		.amdhsa_uses_dynamic_stack 0
		.amdhsa_enable_private_segment 0
		.amdhsa_system_sgpr_workgroup_id_x 1
		.amdhsa_system_sgpr_workgroup_id_y 0
		.amdhsa_system_sgpr_workgroup_id_z 0
		.amdhsa_system_sgpr_workgroup_info 0
		.amdhsa_system_vgpr_workitem_id 0
		.amdhsa_next_free_vgpr 38
		.amdhsa_next_free_sgpr 54
		.amdhsa_named_barrier_count 0
		.amdhsa_reserve_vcc 1
		.amdhsa_float_round_mode_32 0
		.amdhsa_float_round_mode_16_64 0
		.amdhsa_float_denorm_mode_32 3
		.amdhsa_float_denorm_mode_16_64 3
		.amdhsa_fp16_overflow 0
		.amdhsa_memory_ordered 1
		.amdhsa_forward_progress 1
		.amdhsa_inst_pref_size 17
		.amdhsa_round_robin_scheduling 0
		.amdhsa_exception_fp_ieee_invalid_op 0
		.amdhsa_exception_fp_denorm_src 0
		.amdhsa_exception_fp_ieee_div_zero 0
		.amdhsa_exception_fp_ieee_overflow 0
		.amdhsa_exception_fp_ieee_underflow 0
		.amdhsa_exception_fp_ieee_inexact 0
		.amdhsa_exception_int_div_zero 0
	.end_amdhsa_kernel
	.section	.text._ZN2at6native12_GLOBAL__N_16kernel18lstm_cell_backwardIN3c104HalfEflLi1EEEvNS_4cuda6detail10TensorInfoIT_T1_EESB_SB_SB_SB_SB_SB_SA_SA_,"axG",@progbits,_ZN2at6native12_GLOBAL__N_16kernel18lstm_cell_backwardIN3c104HalfEflLi1EEEvNS_4cuda6detail10TensorInfoIT_T1_EESB_SB_SB_SB_SB_SB_SA_SA_,comdat
.Lfunc_end26:
	.size	_ZN2at6native12_GLOBAL__N_16kernel18lstm_cell_backwardIN3c104HalfEflLi1EEEvNS_4cuda6detail10TensorInfoIT_T1_EESB_SB_SB_SB_SB_SB_SA_SA_, .Lfunc_end26-_ZN2at6native12_GLOBAL__N_16kernel18lstm_cell_backwardIN3c104HalfEflLi1EEEvNS_4cuda6detail10TensorInfoIT_T1_EESB_SB_SB_SB_SB_SB_SA_SA_
                                        ; -- End function
	.set _ZN2at6native12_GLOBAL__N_16kernel18lstm_cell_backwardIN3c104HalfEflLi1EEEvNS_4cuda6detail10TensorInfoIT_T1_EESB_SB_SB_SB_SB_SB_SA_SA_.num_vgpr, 38
	.set _ZN2at6native12_GLOBAL__N_16kernel18lstm_cell_backwardIN3c104HalfEflLi1EEEvNS_4cuda6detail10TensorInfoIT_T1_EESB_SB_SB_SB_SB_SB_SA_SA_.num_agpr, 0
	.set _ZN2at6native12_GLOBAL__N_16kernel18lstm_cell_backwardIN3c104HalfEflLi1EEEvNS_4cuda6detail10TensorInfoIT_T1_EESB_SB_SB_SB_SB_SB_SA_SA_.numbered_sgpr, 54
	.set _ZN2at6native12_GLOBAL__N_16kernel18lstm_cell_backwardIN3c104HalfEflLi1EEEvNS_4cuda6detail10TensorInfoIT_T1_EESB_SB_SB_SB_SB_SB_SA_SA_.num_named_barrier, 0
	.set _ZN2at6native12_GLOBAL__N_16kernel18lstm_cell_backwardIN3c104HalfEflLi1EEEvNS_4cuda6detail10TensorInfoIT_T1_EESB_SB_SB_SB_SB_SB_SA_SA_.private_seg_size, 0
	.set _ZN2at6native12_GLOBAL__N_16kernel18lstm_cell_backwardIN3c104HalfEflLi1EEEvNS_4cuda6detail10TensorInfoIT_T1_EESB_SB_SB_SB_SB_SB_SA_SA_.uses_vcc, 1
	.set _ZN2at6native12_GLOBAL__N_16kernel18lstm_cell_backwardIN3c104HalfEflLi1EEEvNS_4cuda6detail10TensorInfoIT_T1_EESB_SB_SB_SB_SB_SB_SA_SA_.uses_flat_scratch, 0
	.set _ZN2at6native12_GLOBAL__N_16kernel18lstm_cell_backwardIN3c104HalfEflLi1EEEvNS_4cuda6detail10TensorInfoIT_T1_EESB_SB_SB_SB_SB_SB_SA_SA_.has_dyn_sized_stack, 0
	.set _ZN2at6native12_GLOBAL__N_16kernel18lstm_cell_backwardIN3c104HalfEflLi1EEEvNS_4cuda6detail10TensorInfoIT_T1_EESB_SB_SB_SB_SB_SB_SA_SA_.has_recursion, 0
	.set _ZN2at6native12_GLOBAL__N_16kernel18lstm_cell_backwardIN3c104HalfEflLi1EEEvNS_4cuda6detail10TensorInfoIT_T1_EESB_SB_SB_SB_SB_SB_SA_SA_.has_indirect_call, 0
	.section	.AMDGPU.csdata,"",@progbits
; Kernel info:
; codeLenInByte = 2080
; TotalNumSgprs: 56
; NumVgprs: 38
; ScratchSize: 0
; MemoryBound: 0
; FloatMode: 240
; IeeeMode: 1
; LDSByteSize: 0 bytes/workgroup (compile time only)
; SGPRBlocks: 0
; VGPRBlocks: 2
; NumSGPRsForWavesPerEU: 56
; NumVGPRsForWavesPerEU: 38
; NamedBarCnt: 0
; Occupancy: 16
; WaveLimiterHint : 1
; COMPUTE_PGM_RSRC2:SCRATCH_EN: 0
; COMPUTE_PGM_RSRC2:USER_SGPR: 2
; COMPUTE_PGM_RSRC2:TRAP_HANDLER: 0
; COMPUTE_PGM_RSRC2:TGID_X_EN: 1
; COMPUTE_PGM_RSRC2:TGID_Y_EN: 0
; COMPUTE_PGM_RSRC2:TGID_Z_EN: 0
; COMPUTE_PGM_RSRC2:TIDIG_COMP_CNT: 0
	.section	.text._ZN2at6native12_GLOBAL__N_16kernel18lstm_cell_backwardIN3c104HalfEflLi2EEEvNS_4cuda6detail10TensorInfoIT_T1_EESB_SB_SB_SB_SB_SB_SA_SA_,"axG",@progbits,_ZN2at6native12_GLOBAL__N_16kernel18lstm_cell_backwardIN3c104HalfEflLi2EEEvNS_4cuda6detail10TensorInfoIT_T1_EESB_SB_SB_SB_SB_SB_SA_SA_,comdat
	.globl	_ZN2at6native12_GLOBAL__N_16kernel18lstm_cell_backwardIN3c104HalfEflLi2EEEvNS_4cuda6detail10TensorInfoIT_T1_EESB_SB_SB_SB_SB_SB_SA_SA_ ; -- Begin function _ZN2at6native12_GLOBAL__N_16kernel18lstm_cell_backwardIN3c104HalfEflLi2EEEvNS_4cuda6detail10TensorInfoIT_T1_EESB_SB_SB_SB_SB_SB_SA_SA_
	.p2align	8
	.type	_ZN2at6native12_GLOBAL__N_16kernel18lstm_cell_backwardIN3c104HalfEflLi2EEEvNS_4cuda6detail10TensorInfoIT_T1_EESB_SB_SB_SB_SB_SB_SA_SA_,@function
_ZN2at6native12_GLOBAL__N_16kernel18lstm_cell_backwardIN3c104HalfEflLi2EEEvNS_4cuda6detail10TensorInfoIT_T1_EESB_SB_SB_SB_SB_SB_SA_SA_: ; @_ZN2at6native12_GLOBAL__N_16kernel18lstm_cell_backwardIN3c104HalfEflLi2EEEvNS_4cuda6detail10TensorInfoIT_T1_EESB_SB_SB_SB_SB_SB_SA_SA_
; %bb.0:
	s_clause 0x1
	s_load_b32 s2, s[0:1], 0xb7c
	s_load_b128 s[4:7], s[0:1], 0xb60
	s_bfe_u32 s3, ttmp6, 0x4000c
	s_and_b32 s8, ttmp6, 15
	s_add_co_i32 s3, s3, 1
	s_getreg_b32 s9, hwreg(HW_REG_IB_STS2, 6, 4)
	s_mul_i32 s3, ttmp9, s3
	v_mov_b32_e32 v2, 0
	s_add_co_i32 s8, s8, s3
	s_delay_alu instid0(VALU_DEP_1)
	v_mov_b32_e32 v1, v2
	s_wait_kmcnt 0x0
	s_and_b32 s2, s2, 0xffff
	s_cmp_eq_u32 s9, 0
	s_cselect_b32 s3, ttmp9, s8
	s_mov_b32 s8, exec_lo
	v_mad_u32 v0, s3, s2, v0
	s_mov_b32 s3, 0
	s_delay_alu instid0(VALU_DEP_1)
	v_cmpx_gt_i64_e64 s[6:7], v[0:1]
	s_cbranch_execz .LBB27_68
; %bb.1:
	v_cvt_f32_u32_e32 v3, s4
	s_add_nc_u64 s[20:21], s[0:1], 0xb70
	s_clause 0x8
	s_load_b64 s[34:35], s[0:1], 0x0
	s_load_b64 s[40:41], s[0:1], 0x10
	;; [unrolled: 1-line block ×3, first 2 shown]
	s_load_b128 s[8:11], s[0:1], 0x750
	s_load_b64 s[44:45], s[0:1], 0x820
	s_load_b128 s[12:15], s[0:1], 0xd0
	s_load_b64 s[46:47], s[0:1], 0x1a0
	s_load_b64 s[48:49], s[0:1], 0x1b0
	s_load_b128 s[16:19], s[0:1], 0x270
	s_load_b32 s66, s[20:21], 0x0
	s_clause 0x5
	s_load_b64 s[50:51], s[0:1], 0x340
	s_load_b64 s[52:53], s[0:1], 0x350
	;; [unrolled: 1-line block ×5, first 2 shown]
	; meta instruction
	s_load_b64 s[60:61], s[0:1], 0x690
	s_wait_xcnt 0x0
	s_clause 0x5
	s_load_b128 s[20:23], s[0:1], 0x410
	s_load_b64 s[62:63], s[0:1], 0x4e0
	s_load_b128 s[24:27], s[0:1], 0x5b0
	s_load_b64 s[64:65], s[0:1], 0x830
	s_load_b128 s[28:31], s[0:1], 0x8f0
	s_load_b128 s[36:39], s[0:1], 0xa90
	s_wait_kmcnt 0x0
	s_cmp_lg_u64 s[42:43], 0
	s_mov_b32 s67, s3
	v_rcp_iflag_f32_e32 v3, v3
	s_cselect_b32 s1, -1, 0
	s_cmp_lg_u64 s[44:45], 0
	s_mul_u64 s[68:69], s[4:5], 3
	s_cselect_b32 s33, -1, 0
	s_mul_i32 s66, s66, s2
	s_sub_nc_u64 s[70:71], 0, s[52:53]
	v_nop
	v_mul_f32_e32 v3, 0x4f7ffffe, v3
	s_sub_nc_u64 s[72:73], 0, s[54:55]
	s_sub_nc_u64 s[74:75], 0, s[58:59]
	s_mov_b64 s[78:79], 0xffffffff
	s_sub_nc_u64 s[76:77], 0, s[60:61]
	v_cvt_u32_f32_e32 v30, v3
	s_mov_b32 s86, 0xbbbac73d
	s_mov_b32 s87, 1.0
	s_sub_nc_u64 s[80:81], 0, s[64:65]
	s_mov_b32 s88, 0
	s_branch .LBB27_3
.LBB27_2:                               ;   in Loop: Header=BB27_3 Depth=1
	s_or_b32 exec_lo, exec_lo, s0
	v_mul_u64_e32 v[28:29], s[48:49], v[12:13]
	v_mul_u64_e32 v[36:37], s[48:49], v[14:15]
	;; [unrolled: 1-line block ×4, first 2 shown]
	v_mad_nc_u64_u32 v[42:43], s74, v20, v[0:1]
	v_mul_u64_e32 v[44:45], s[36:37], v[20:21]
	v_mul_u64_e32 v[12:13], s[16:17], v[12:13]
	;; [unrolled: 1-line block ×3, first 2 shown]
	v_bfi_b32 v23, 0x7fffffff, v24, v23
	v_mul_u64_e32 v[16:17], s[16:17], v[16:17]
	v_mul_u64_e32 v[18:19], s[16:17], v[18:19]
	v_cvt_f32_f16_e32 v24, v34
	v_cvt_f32_f16_e32 v35, v32
	v_mov_b32_e32 v25, v23
	v_cvt_f32_f16_e32 v26, v26
	v_mad_u32 v20, s75, v20, v43
	s_delay_alu instid0(VALU_DEP_1)
	v_mad_u32 v43, s74, v21, v20
	v_sub_nc_u64_e32 v[4:5], v[4:5], v[28:29]
	v_sub_nc_u64_e32 v[6:7], v[6:7], v[36:37]
	;; [unrolled: 1-line block ×4, first 2 shown]
	v_pk_mul_f32 v[28:29], v[22:23], v[24:25]
	v_mul_u64_e32 v[20:21], s[38:39], v[42:43]
	v_cvt_f32_f16_e32 v25, v33
	v_add_nc_u64_e32 v[4:5], v[0:1], v[4:5]
	v_add_nc_u64_e32 v[6:7], v[0:1], v[6:7]
	;; [unrolled: 1-line block ×4, first 2 shown]
	v_sub_f32_e32 v27, 1.0, v29
	v_cvt_f32_f16_e32 v29, v31
	v_dual_mul_f32 v22, v22, v23 :: v_dual_sub_f32 v23, 1.0, v24
	v_mul_u64_e32 v[4:5], s[18:19], v[4:5]
	v_mul_u64_e32 v[6:7], s[18:19], v[6:7]
	;; [unrolled: 1-line block ×4, first 2 shown]
	v_dual_fmac_f32 v3, v28, v27 :: v_dual_sub_f32 v27, 1.0, v29
	v_add_nc_u64_e32 v[0:1], s[66:67], v[0:1]
	v_dual_sub_f32 v28, 1.0, v35 :: v_dual_mul_f32 v22, v23, v22
	s_delay_alu instid0(VALU_DEP_3) | instskip(SKIP_3) | instid1(VALU_DEP_4)
	v_dual_mul_f32 v23, v3, v25 :: v_dual_mul_f32 v25, v3, v26
	v_fma_mix_f32 v24, -v33, v33, s87 op_sel_hi:[1,1,0]
	v_mul_f32_e32 v26, v3, v29
	v_lshl_add_u64 v[12:13], v[12:13], 1, s[46:47]
	v_dual_mul_f32 v27, v27, v23 :: v_dual_mul_f32 v25, v28, v25
	v_cmp_le_i64_e32 vcc_lo, s[6:7], v[0:1]
	v_lshl_add_u64 v[14:15], v[14:15], 1, s[46:47]
	v_lshl_add_u64 v[16:17], v[16:17], 1, s[46:47]
	;; [unrolled: 1-line block ×3, first 2 shown]
	v_fma_mixlo_f16 v29, v22, v34, 0 op_sel_hi:[0,1,0]
	v_lshl_add_u64 v[22:23], v[44:45], 1, s[56:57]
	v_fma_mixlo_f16 v24, v24, v26, 0
	v_fma_mixlo_f16 v26, v27, v31, 0 op_sel_hi:[0,1,0]
	v_fma_mixlo_f16 v25, v25, v32, 0 op_sel_hi:[0,1,0]
	s_or_b32 s88, vcc_lo, s88
	v_fma_mixlo_f16 v3, v3, v32, 0 op_sel_hi:[0,1,0]
	v_lshl_add_u64 v[4:5], v[4:5], 1, v[12:13]
	v_lshl_add_u64 v[6:7], v[6:7], 1, v[14:15]
	;; [unrolled: 1-line block ×5, first 2 shown]
	s_clause 0x3
	global_store_b16 v[4:5], v26, off
	global_store_b16 v[6:7], v25, off
	;; [unrolled: 1-line block ×5, first 2 shown]
	s_wait_xcnt 0x0
	s_and_not1_b32 exec_lo, exec_lo, s88
	s_cbranch_execz .LBB27_68
.LBB27_3:                               ; =>This Inner Loop Header: Depth=1
	v_or_b32_e32 v3, s5, v1
                                        ; implicit-def: $vgpr6_vgpr7
	s_mov_b32 s0, exec_lo
	s_delay_alu instid0(VALU_DEP_1)
	v_cmpx_ne_u64_e32 0, v[2:3]
	s_xor_b32 s89, exec_lo, s0
	s_cbranch_execz .LBB27_5
; %bb.4:                                ;   in Loop: Header=BB27_3 Depth=1
	s_ashr_i32 s82, s5, 31
	v_dual_mov_b32 v9, v2 :: v_dual_ashrrev_i32 v4, 31, v1
	s_mov_b32 s83, s82
	s_delay_alu instid0(SALU_CYCLE_1) | instskip(NEXT) | instid1(VALU_DEP_1)
	s_add_nc_u64 s[84:85], s[4:5], s[82:83]
	v_mov_b32_e32 v5, v4
	s_xor_b64 s[84:85], s[84:85], s[82:83]
	s_delay_alu instid0(SALU_CYCLE_1)
	s_cvt_f32_u32 s0, s84
	s_cvt_f32_u32 s2, s85
	s_sub_nc_u64 s[92:93], 0, s[84:85]
	v_add_nc_u64_e32 v[6:7], v[0:1], v[4:5]
	v_mov_b32_e32 v13, v2
	s_fmamk_f32 s0, s2, 0x4f800000, s0
	s_delay_alu instid0(SALU_CYCLE_3) | instskip(NEXT) | instid1(VALU_DEP_2)
	v_s_rcp_f32 s0, s0
	v_xor_b32_e32 v8, v6, v4
	s_delay_alu instid0(VALU_DEP_3) | instskip(SKIP_1) | instid1(TRANS32_DEP_1)
	v_dual_mov_b32 v17, v2 :: v_dual_bitop2_b32 v12, v7, v4 bitop3:0x14
	v_xor_b32_e32 v4, s82, v4
	s_mul_f32 s0, s0, 0x5f7ffffc
	s_delay_alu instid0(SALU_CYCLE_3) | instskip(NEXT) | instid1(SALU_CYCLE_3)
	s_mul_f32 s2, s0, 0x2f800000
	s_trunc_f32 s2, s2
	s_delay_alu instid0(SALU_CYCLE_3) | instskip(SKIP_1) | instid1(SALU_CYCLE_2)
	s_fmamk_f32 s0, s2, 0xcf800000, s0
	s_cvt_u32_f32 s91, s2
	s_cvt_u32_f32 s90, s0
	s_delay_alu instid0(SALU_CYCLE_3) | instskip(NEXT) | instid1(SALU_CYCLE_1)
	s_mul_u64 s[94:95], s[92:93], s[90:91]
	s_mul_hi_u32 s97, s90, s95
	s_mul_i32 s96, s90, s95
	s_mul_hi_u32 s2, s90, s94
	s_mul_i32 s83, s91, s94
	s_add_nc_u64 s[96:97], s[2:3], s[96:97]
	s_mul_hi_u32 s0, s91, s94
	s_mul_hi_u32 s98, s91, s95
	s_add_co_u32 s2, s96, s83
	s_add_co_ci_u32 s2, s97, s0
	s_mul_i32 s94, s91, s95
	s_add_co_ci_u32 s95, s98, 0
	s_delay_alu instid0(SALU_CYCLE_1) | instskip(NEXT) | instid1(SALU_CYCLE_1)
	s_add_nc_u64 s[94:95], s[2:3], s[94:95]
	s_add_co_u32 s90, s90, s94
	s_cselect_b32 s0, -1, 0
	s_delay_alu instid0(SALU_CYCLE_1) | instskip(SKIP_1) | instid1(SALU_CYCLE_1)
	s_cmp_lg_u32 s0, 0
	s_add_co_ci_u32 s91, s91, s95
	s_mul_u64 s[92:93], s[92:93], s[90:91]
	s_delay_alu instid0(SALU_CYCLE_1)
	s_mul_hi_u32 s95, s90, s93
	s_mul_i32 s94, s90, s93
	s_mul_hi_u32 s2, s90, s92
	s_mul_i32 s83, s91, s92
	s_add_nc_u64 s[94:95], s[2:3], s[94:95]
	s_mul_hi_u32 s0, s91, s92
	s_mul_hi_u32 s96, s91, s93
	s_add_co_u32 s2, s94, s83
	s_add_co_ci_u32 s2, s95, s0
	s_mul_i32 s92, s91, s93
	s_add_co_ci_u32 s93, s96, 0
	s_delay_alu instid0(SALU_CYCLE_1) | instskip(NEXT) | instid1(SALU_CYCLE_1)
	s_add_nc_u64 s[92:93], s[2:3], s[92:93]
	s_add_co_u32 s0, s90, s92
	s_cselect_b32 s2, -1, 0
	v_mul_hi_u32 v16, v8, s0
	s_cmp_lg_u32 s2, 0
	s_add_co_ci_u32 s2, s91, s93
	s_and_b64 s[90:91], s[0:1], s[78:79]
	v_mul_u64_e32 v[10:11], s[2:3], v[8:9]
	v_mul_u64_e32 v[6:7], s[90:91], v[12:13]
	v_mul_u64_e32 v[14:15], s[2:3], v[12:13]
	s_delay_alu instid0(VALU_DEP_3) | instskip(NEXT) | instid1(VALU_DEP_1)
	v_add_nc_u64_e32 v[10:11], v[16:17], v[10:11]
	v_add_co_u32 v3, vcc_lo, v10, v6
	s_delay_alu instid0(VALU_DEP_2) | instskip(NEXT) | instid1(VALU_DEP_4)
	v_add_co_ci_u32_e32 v16, vcc_lo, v11, v7, vcc_lo
	v_add_co_ci_u32_e32 v15, vcc_lo, 0, v15, vcc_lo
	s_delay_alu instid0(VALU_DEP_1) | instskip(NEXT) | instid1(VALU_DEP_1)
	v_add_nc_u64_e32 v[6:7], v[16:17], v[14:15]
	v_mul_u64_e32 v[10:11], s[84:85], v[6:7]
	s_delay_alu instid0(VALU_DEP_1) | instskip(NEXT) | instid1(VALU_DEP_2)
	v_sub_nc_u32_e32 v3, v12, v11
	v_sub_co_u32 v5, vcc_lo, v8, v10
	s_delay_alu instid0(VALU_DEP_1) | instskip(NEXT) | instid1(VALU_DEP_3)
	v_sub_co_ci_u32_e64 v12, null, v12, v11, vcc_lo
	v_subrev_co_ci_u32_e64 v3, null, s85, v3, vcc_lo
	s_delay_alu instid0(VALU_DEP_3) | instskip(SKIP_1) | instid1(VALU_DEP_3)
	v_sub_co_u32 v8, s0, v5, s84
	v_add_nc_u64_e32 v[10:11], 1, v[6:7]
	v_subrev_co_ci_u32_e64 v3, null, 0, v3, s0
	s_delay_alu instid0(VALU_DEP_3) | instskip(SKIP_1) | instid1(VALU_DEP_3)
	v_cmp_le_u32_e32 vcc_lo, s84, v8
	v_cndmask_b32_e64 v8, 0, -1, vcc_lo
	v_cmp_le_u32_e32 vcc_lo, s85, v3
	v_cndmask_b32_e64 v9, 0, -1, vcc_lo
	;; [unrolled: 2-line block ×4, first 2 shown]
	v_cmp_eq_u32_e32 vcc_lo, s85, v3
	v_cndmask_b32_e32 v3, v9, v8, vcc_lo
	v_cmp_eq_u32_e32 vcc_lo, s85, v12
	v_add_nc_u64_e32 v[8:9], 2, v[6:7]
	v_cndmask_b32_e32 v5, v13, v5, vcc_lo
	s_delay_alu instid0(VALU_DEP_4) | instskip(NEXT) | instid1(VALU_DEP_2)
	v_cmp_ne_u32_e32 vcc_lo, 0, v3
	v_cmp_ne_u32_e64 s0, 0, v5
	s_delay_alu instid0(VALU_DEP_4) | instskip(NEXT) | instid1(VALU_DEP_1)
	v_dual_cndmask_b32 v3, v11, v9, vcc_lo :: v_dual_cndmask_b32 v5, v10, v8, vcc_lo
	v_dual_cndmask_b32 v6, v6, v5, s0 :: v_dual_mov_b32 v5, v4
	s_delay_alu instid0(VALU_DEP_1) | instskip(NEXT) | instid1(VALU_DEP_1)
	v_dual_cndmask_b32 v3, v7, v3, s0 :: v_dual_bitop2_b32 v6, v6, v4 bitop3:0x14
	v_xor_b32_e32 v7, v3, v4
	s_delay_alu instid0(VALU_DEP_1)
	v_sub_nc_u64_e32 v[6:7], v[6:7], v[4:5]
.LBB27_5:                               ;   in Loop: Header=BB27_3 Depth=1
	s_and_not1_saveexec_b32 s0, s89
	s_cbranch_execz .LBB27_7
; %bb.6:                                ;   in Loop: Header=BB27_3 Depth=1
	s_sub_co_i32 s2, 0, s4
	v_mov_b32_e32 v7, v2
	v_mul_lo_u32 v3, s2, v30
	s_delay_alu instid0(VALU_DEP_1) | instskip(NEXT) | instid1(VALU_DEP_1)
	v_mul_hi_u32 v3, v30, v3
	v_add_nc_u32_e32 v3, v30, v3
	s_delay_alu instid0(VALU_DEP_1) | instskip(NEXT) | instid1(VALU_DEP_1)
	v_mul_hi_u32 v3, v0, v3
	v_mul_lo_u32 v4, v3, s4
	s_delay_alu instid0(VALU_DEP_1) | instskip(NEXT) | instid1(VALU_DEP_1)
	v_sub_nc_u32_e32 v4, v0, v4
	v_subrev_nc_u32_e32 v6, s4, v4
	v_cmp_le_u32_e32 vcc_lo, s4, v4
	s_delay_alu instid0(VALU_DEP_2) | instskip(NEXT) | instid1(VALU_DEP_1)
	v_dual_cndmask_b32 v4, v4, v6 :: v_dual_add_nc_u32 v5, 1, v3
	v_cndmask_b32_e32 v3, v3, v5, vcc_lo
	s_delay_alu instid0(VALU_DEP_2) | instskip(NEXT) | instid1(VALU_DEP_2)
	v_cmp_le_u32_e32 vcc_lo, s4, v4
	v_add_nc_u32_e32 v5, 1, v3
	s_delay_alu instid0(VALU_DEP_1)
	v_cndmask_b32_e32 v6, v3, v5, vcc_lo
.LBB27_7:                               ;   in Loop: Header=BB27_3 Depth=1
	s_or_b32 exec_lo, exec_lo, s0
	s_delay_alu instid0(VALU_DEP_1) | instskip(SKIP_1) | instid1(VALU_DEP_1)
	v_mul_u64_e32 v[4:5], s[68:69], v[6:7]
                                        ; implicit-def: $vgpr8_vgpr9
	s_mov_b32 s0, exec_lo
	v_add_nc_u64_e32 v[22:23], v[0:1], v[4:5]
	s_delay_alu instid0(VALU_DEP_1) | instskip(NEXT) | instid1(VALU_DEP_1)
	v_dual_ashrrev_i32 v14, 31, v23 :: v_dual_bitop2_b32 v3, s41, v23 bitop3:0x54
	v_cmpx_ne_u64_e32 0, v[2:3]
	s_xor_b32 s89, exec_lo, s0
	s_cbranch_execz .LBB27_9
; %bb.8:                                ;   in Loop: Header=BB27_3 Depth=1
	s_ashr_i32 s82, s41, 31
	v_dual_mov_b32 v15, v14 :: v_dual_mov_b32 v11, v2
	s_mov_b32 s83, s82
	v_mov_b32_e32 v17, v2
	s_add_nc_u64 s[84:85], s[40:41], s[82:83]
	s_delay_alu instid0(VALU_DEP_2)
	v_add_nc_u64_e32 v[8:9], v[22:23], v[14:15]
	s_xor_b64 s[84:85], s[84:85], s[82:83]
	v_mov_b32_e32 v21, v2
	s_cvt_f32_u32 s0, s84
	s_cvt_f32_u32 s2, s85
	s_sub_nc_u64 s[92:93], 0, s[84:85]
	s_delay_alu instid0(VALU_DEP_2) | instskip(NEXT) | instid1(SALU_CYCLE_1)
	v_xor_b32_e32 v10, v8, v14
	s_fmamk_f32 s0, s2, 0x4f800000, s0
	v_xor_b32_e32 v16, v9, v14
	s_delay_alu instid0(SALU_CYCLE_2) | instskip(NEXT) | instid1(TRANS32_DEP_1)
	v_s_rcp_f32 s0, s0
	s_mul_f32 s0, s0, 0x5f7ffffc
	s_delay_alu instid0(SALU_CYCLE_3) | instskip(NEXT) | instid1(SALU_CYCLE_3)
	s_mul_f32 s2, s0, 0x2f800000
	s_trunc_f32 s2, s2
	s_delay_alu instid0(SALU_CYCLE_3) | instskip(SKIP_1) | instid1(SALU_CYCLE_2)
	s_fmamk_f32 s0, s2, 0xcf800000, s0
	s_cvt_u32_f32 s91, s2
	s_cvt_u32_f32 s90, s0
	s_delay_alu instid0(SALU_CYCLE_3) | instskip(NEXT) | instid1(SALU_CYCLE_1)
	s_mul_u64 s[94:95], s[92:93], s[90:91]
	s_mul_hi_u32 s97, s90, s95
	s_mul_i32 s96, s90, s95
	s_mul_hi_u32 s2, s90, s94
	s_mul_i32 s83, s91, s94
	s_add_nc_u64 s[96:97], s[2:3], s[96:97]
	s_mul_hi_u32 s0, s91, s94
	s_mul_hi_u32 s98, s91, s95
	s_add_co_u32 s2, s96, s83
	s_add_co_ci_u32 s2, s97, s0
	s_mul_i32 s94, s91, s95
	s_add_co_ci_u32 s95, s98, 0
	s_delay_alu instid0(SALU_CYCLE_1) | instskip(NEXT) | instid1(SALU_CYCLE_1)
	s_add_nc_u64 s[94:95], s[2:3], s[94:95]
	s_add_co_u32 s90, s90, s94
	s_cselect_b32 s0, -1, 0
	s_delay_alu instid0(SALU_CYCLE_1) | instskip(SKIP_1) | instid1(SALU_CYCLE_1)
	s_cmp_lg_u32 s0, 0
	s_add_co_ci_u32 s91, s91, s95
	s_mul_u64 s[92:93], s[92:93], s[90:91]
	s_delay_alu instid0(SALU_CYCLE_1)
	s_mul_hi_u32 s95, s90, s93
	s_mul_i32 s94, s90, s93
	s_mul_hi_u32 s2, s90, s92
	s_mul_i32 s83, s91, s92
	s_add_nc_u64 s[94:95], s[2:3], s[94:95]
	s_mul_hi_u32 s0, s91, s92
	s_mul_hi_u32 s96, s91, s93
	s_add_co_u32 s2, s94, s83
	s_add_co_ci_u32 s2, s95, s0
	s_mul_i32 s92, s91, s93
	s_add_co_ci_u32 s93, s96, 0
	s_delay_alu instid0(SALU_CYCLE_1) | instskip(NEXT) | instid1(SALU_CYCLE_1)
	s_add_nc_u64 s[92:93], s[2:3], s[92:93]
	s_add_co_u32 s0, s90, s92
	s_cselect_b32 s2, -1, 0
	v_nop
	v_mul_hi_u32 v20, v10, s0
	s_cmp_lg_u32 s2, 0
	s_add_co_ci_u32 s2, s91, s93
	s_and_b64 s[90:91], s[0:1], s[78:79]
	v_mul_u64_e32 v[12:13], s[2:3], v[10:11]
	v_mul_u64_e32 v[8:9], s[90:91], v[16:17]
	;; [unrolled: 1-line block ×3, first 2 shown]
	s_delay_alu instid0(VALU_DEP_3) | instskip(NEXT) | instid1(VALU_DEP_1)
	v_add_nc_u64_e32 v[12:13], v[20:21], v[12:13]
	v_add_co_u32 v3, vcc_lo, v12, v8
	s_delay_alu instid0(VALU_DEP_2) | instskip(NEXT) | instid1(VALU_DEP_4)
	v_add_co_ci_u32_e32 v20, vcc_lo, v13, v9, vcc_lo
	v_add_co_ci_u32_e32 v19, vcc_lo, 0, v19, vcc_lo
	s_delay_alu instid0(VALU_DEP_1) | instskip(NEXT) | instid1(VALU_DEP_1)
	v_add_nc_u64_e32 v[8:9], v[20:21], v[18:19]
	v_mul_u64_e32 v[12:13], s[84:85], v[8:9]
	s_delay_alu instid0(VALU_DEP_1) | instskip(NEXT) | instid1(VALU_DEP_2)
	v_sub_nc_u32_e32 v3, v16, v13
	v_sub_co_u32 v10, vcc_lo, v10, v12
	s_delay_alu instid0(VALU_DEP_1) | instskip(NEXT) | instid1(VALU_DEP_3)
	v_sub_co_ci_u32_e64 v15, null, v16, v13, vcc_lo
	v_subrev_co_ci_u32_e64 v3, null, s85, v3, vcc_lo
	s_delay_alu instid0(VALU_DEP_3) | instskip(NEXT) | instid1(VALU_DEP_1)
	v_sub_co_u32 v11, s0, v10, s84
	v_subrev_co_ci_u32_e64 v3, null, 0, v3, s0
	s_delay_alu instid0(VALU_DEP_2) | instskip(SKIP_1) | instid1(VALU_DEP_3)
	v_cmp_le_u32_e32 vcc_lo, s84, v11
	v_cndmask_b32_e64 v11, 0, -1, vcc_lo
	v_cmp_le_u32_e32 vcc_lo, s85, v3
	v_cndmask_b32_e64 v12, 0, -1, vcc_lo
	;; [unrolled: 2-line block ×4, first 2 shown]
	v_cmp_eq_u32_e32 vcc_lo, s85, v3
	v_cndmask_b32_e32 v3, v12, v11, vcc_lo
	v_cmp_eq_u32_e32 vcc_lo, s85, v15
	v_add_nc_u64_e32 v[10:11], 2, v[8:9]
	v_add_nc_u64_e32 v[12:13], 1, v[8:9]
	v_cndmask_b32_e32 v15, v17, v16, vcc_lo
	v_cmp_ne_u32_e32 vcc_lo, 0, v3
	s_delay_alu instid0(VALU_DEP_2) | instskip(NEXT) | instid1(VALU_DEP_4)
	v_cmp_ne_u32_e64 s0, 0, v15
	v_dual_cndmask_b32 v3, v13, v11, vcc_lo :: v_dual_cndmask_b32 v11, v12, v10, vcc_lo
	s_delay_alu instid0(VALU_DEP_1) | instskip(NEXT) | instid1(VALU_DEP_1)
	v_dual_cndmask_b32 v3, v9, v3, s0 :: v_dual_bitop2_b32 v10, s82, v14 bitop3:0x14
	v_dual_cndmask_b32 v8, v8, v11, s0 :: v_dual_mov_b32 v11, v10
	s_delay_alu instid0(VALU_DEP_2) | instskip(NEXT) | instid1(VALU_DEP_2)
	v_xor_b32_e32 v9, v3, v10
	v_xor_b32_e32 v8, v8, v10
	s_delay_alu instid0(VALU_DEP_1)
	v_sub_nc_u64_e32 v[8:9], v[8:9], v[10:11]
.LBB27_9:                               ;   in Loop: Header=BB27_3 Depth=1
	s_or_saveexec_b32 s0, s89
	v_cvt_f32_u32_e32 v15, s40
	s_xor_b32 exec_lo, exec_lo, s0
	s_cbranch_execz .LBB27_11
; %bb.10:                               ;   in Loop: Header=BB27_3 Depth=1
	s_delay_alu instid0(VALU_DEP_1) | instskip(SKIP_2) | instid1(TRANS32_DEP_1)
	v_rcp_iflag_f32_e32 v3, v15
	s_sub_co_i32 s2, 0, s40
	v_nop
	v_mul_f32_e32 v3, 0x4f7ffffe, v3
	s_delay_alu instid0(VALU_DEP_1) | instskip(NEXT) | instid1(VALU_DEP_1)
	v_cvt_u32_f32_e32 v3, v3
	v_mul_lo_u32 v8, s2, v3
	s_delay_alu instid0(VALU_DEP_1) | instskip(NEXT) | instid1(VALU_DEP_1)
	v_mul_hi_u32 v8, v3, v8
	v_add_nc_u32_e32 v3, v3, v8
	s_delay_alu instid0(VALU_DEP_1) | instskip(NEXT) | instid1(VALU_DEP_1)
	v_mul_hi_u32 v3, v22, v3
	v_mul_lo_u32 v8, v3, s40
	s_delay_alu instid0(VALU_DEP_1) | instskip(NEXT) | instid1(VALU_DEP_1)
	v_dual_add_nc_u32 v9, 1, v3 :: v_dual_sub_nc_u32 v8, v22, v8
	v_subrev_nc_u32_e32 v10, s40, v8
	v_cmp_le_u32_e32 vcc_lo, s40, v8
	s_delay_alu instid0(VALU_DEP_2) | instskip(NEXT) | instid1(VALU_DEP_1)
	v_dual_cndmask_b32 v8, v8, v10 :: v_dual_cndmask_b32 v3, v3, v9
	v_cmp_le_u32_e32 vcc_lo, s40, v8
	s_delay_alu instid0(VALU_DEP_2) | instskip(NEXT) | instid1(VALU_DEP_1)
	v_add_nc_u32_e32 v9, 1, v3
	v_dual_cndmask_b32 v8, v3, v9 :: v_dual_mov_b32 v9, v2
.LBB27_11:                              ;   in Loop: Header=BB27_3 Depth=1
	s_or_b32 exec_lo, exec_lo, s0
	s_delay_alu instid0(VALU_DEP_1) | instskip(SKIP_2) | instid1(VALU_DEP_2)
	v_mul_u64_e32 v[10:11], s[40:41], v[8:9]
	v_mul_u64_e32 v[8:9], s[12:13], v[8:9]
	s_mov_b32 s0, exec_lo
	v_sub_nc_u64_e32 v[10:11], v[4:5], v[10:11]
	s_delay_alu instid0(VALU_DEP_2) | instskip(NEXT) | instid1(VALU_DEP_2)
	v_lshl_add_u64 v[8:9], v[8:9], 1, s[34:35]
	v_add_nc_u64_e32 v[10:11], v[0:1], v[10:11]
	s_delay_alu instid0(VALU_DEP_1) | instskip(NEXT) | instid1(VALU_DEP_1)
	v_mul_u64_e32 v[10:11], s[14:15], v[10:11]
	v_lshl_add_u64 v[8:9], v[10:11], 1, v[8:9]
	v_mul_u64_e32 v[10:11], 3, v[6:7]
	global_load_u16 v31, v[8:9], off
                                        ; implicit-def: $vgpr8_vgpr9
	v_mad_nc_u64_u32 v[6:7], s4, v10, s[4:5]
	s_delay_alu instid0(VALU_DEP_1) | instskip(NEXT) | instid1(VALU_DEP_1)
	v_mad_u32 v3, s5, v10, v7
	v_mad_u32 v7, s4, v11, v3
	s_delay_alu instid0(VALU_DEP_1) | instskip(NEXT) | instid1(VALU_DEP_1)
	v_add_nc_u64_e32 v[24:25], v[0:1], v[6:7]
	v_dual_ashrrev_i32 v16, 31, v25 :: v_dual_bitop2_b32 v3, s41, v25 bitop3:0x54
	s_wait_xcnt 0x0
	s_delay_alu instid0(VALU_DEP_1)
	v_cmpx_ne_u64_e32 0, v[2:3]
	s_xor_b32 s89, exec_lo, s0
	s_cbranch_execz .LBB27_13
; %bb.12:                               ;   in Loop: Header=BB27_3 Depth=1
	s_ashr_i32 s82, s41, 31
	v_dual_mov_b32 v17, v16 :: v_dual_mov_b32 v13, v2
	s_mov_b32 s83, s82
	v_mov_b32_e32 v21, v2
	s_add_nc_u64 s[84:85], s[40:41], s[82:83]
	s_delay_alu instid0(VALU_DEP_2)
	v_add_nc_u64_e32 v[8:9], v[24:25], v[16:17]
	s_xor_b64 s[84:85], s[84:85], s[82:83]
	v_mov_b32_e32 v29, v2
	s_cvt_f32_u32 s0, s84
	s_cvt_f32_u32 s2, s85
	s_sub_nc_u64 s[92:93], 0, s[84:85]
	s_delay_alu instid0(VALU_DEP_2) | instskip(NEXT) | instid1(SALU_CYCLE_1)
	v_xor_b32_e32 v12, v8, v16
	s_fmamk_f32 s0, s2, 0x4f800000, s0
	v_xor_b32_e32 v20, v9, v16
	s_delay_alu instid0(SALU_CYCLE_2) | instskip(NEXT) | instid1(TRANS32_DEP_1)
	v_s_rcp_f32 s0, s0
	s_mul_f32 s0, s0, 0x5f7ffffc
	s_delay_alu instid0(SALU_CYCLE_3) | instskip(NEXT) | instid1(SALU_CYCLE_3)
	s_mul_f32 s2, s0, 0x2f800000
	s_trunc_f32 s2, s2
	s_delay_alu instid0(SALU_CYCLE_3) | instskip(SKIP_1) | instid1(SALU_CYCLE_2)
	s_fmamk_f32 s0, s2, 0xcf800000, s0
	s_cvt_u32_f32 s91, s2
	s_cvt_u32_f32 s90, s0
	s_delay_alu instid0(SALU_CYCLE_3) | instskip(NEXT) | instid1(SALU_CYCLE_1)
	s_mul_u64 s[94:95], s[92:93], s[90:91]
	s_mul_hi_u32 s97, s90, s95
	s_mul_i32 s96, s90, s95
	s_mul_hi_u32 s2, s90, s94
	s_mul_i32 s83, s91, s94
	s_add_nc_u64 s[96:97], s[2:3], s[96:97]
	s_mul_hi_u32 s0, s91, s94
	s_mul_hi_u32 s98, s91, s95
	s_add_co_u32 s2, s96, s83
	s_add_co_ci_u32 s2, s97, s0
	s_mul_i32 s94, s91, s95
	s_add_co_ci_u32 s95, s98, 0
	s_delay_alu instid0(SALU_CYCLE_1) | instskip(NEXT) | instid1(SALU_CYCLE_1)
	s_add_nc_u64 s[94:95], s[2:3], s[94:95]
	s_add_co_u32 s90, s90, s94
	s_cselect_b32 s0, -1, 0
	s_delay_alu instid0(SALU_CYCLE_1) | instskip(SKIP_1) | instid1(SALU_CYCLE_1)
	s_cmp_lg_u32 s0, 0
	s_add_co_ci_u32 s91, s91, s95
	s_mul_u64 s[92:93], s[92:93], s[90:91]
	s_delay_alu instid0(SALU_CYCLE_1)
	s_mul_hi_u32 s95, s90, s93
	s_mul_i32 s94, s90, s93
	s_mul_hi_u32 s2, s90, s92
	s_mul_i32 s83, s91, s92
	s_add_nc_u64 s[94:95], s[2:3], s[94:95]
	s_mul_hi_u32 s0, s91, s92
	s_mul_hi_u32 s96, s91, s93
	s_add_co_u32 s2, s94, s83
	s_add_co_ci_u32 s2, s95, s0
	s_mul_i32 s92, s91, s93
	s_add_co_ci_u32 s93, s96, 0
	s_delay_alu instid0(SALU_CYCLE_1) | instskip(NEXT) | instid1(SALU_CYCLE_1)
	s_add_nc_u64 s[92:93], s[2:3], s[92:93]
	s_add_co_u32 s0, s90, s92
	s_cselect_b32 s2, -1, 0
	v_nop
	v_mul_hi_u32 v28, v12, s0
	s_cmp_lg_u32 s2, 0
	s_add_co_ci_u32 s2, s91, s93
	s_and_b64 s[90:91], s[0:1], s[78:79]
	v_mul_u64_e32 v[18:19], s[2:3], v[12:13]
	v_mul_u64_e32 v[8:9], s[90:91], v[20:21]
	;; [unrolled: 1-line block ×3, first 2 shown]
	s_delay_alu instid0(VALU_DEP_3) | instskip(NEXT) | instid1(VALU_DEP_1)
	v_add_nc_u64_e32 v[18:19], v[28:29], v[18:19]
	v_add_co_u32 v3, vcc_lo, v18, v8
	s_delay_alu instid0(VALU_DEP_2) | instskip(NEXT) | instid1(VALU_DEP_4)
	v_add_co_ci_u32_e32 v28, vcc_lo, v19, v9, vcc_lo
	v_add_co_ci_u32_e32 v27, vcc_lo, 0, v27, vcc_lo
	s_delay_alu instid0(VALU_DEP_1) | instskip(NEXT) | instid1(VALU_DEP_1)
	v_add_nc_u64_e32 v[8:9], v[28:29], v[26:27]
	v_mul_u64_e32 v[18:19], s[84:85], v[8:9]
	s_delay_alu instid0(VALU_DEP_1) | instskip(NEXT) | instid1(VALU_DEP_2)
	v_sub_nc_u32_e32 v3, v20, v19
	v_sub_co_u32 v12, vcc_lo, v12, v18
	s_delay_alu instid0(VALU_DEP_1) | instskip(NEXT) | instid1(VALU_DEP_3)
	v_sub_co_ci_u32_e64 v17, null, v20, v19, vcc_lo
	v_subrev_co_ci_u32_e64 v3, null, s85, v3, vcc_lo
	s_delay_alu instid0(VALU_DEP_3) | instskip(NEXT) | instid1(VALU_DEP_1)
	v_sub_co_u32 v13, s0, v12, s84
	v_subrev_co_ci_u32_e64 v3, null, 0, v3, s0
	s_delay_alu instid0(VALU_DEP_2) | instskip(SKIP_1) | instid1(VALU_DEP_3)
	v_cmp_le_u32_e32 vcc_lo, s84, v13
	v_cndmask_b32_e64 v13, 0, -1, vcc_lo
	v_cmp_le_u32_e32 vcc_lo, s85, v3
	v_cndmask_b32_e64 v18, 0, -1, vcc_lo
	;; [unrolled: 2-line block ×4, first 2 shown]
	v_cmp_eq_u32_e32 vcc_lo, s85, v3
	v_cndmask_b32_e32 v3, v18, v13, vcc_lo
	v_cmp_eq_u32_e32 vcc_lo, s85, v17
	v_add_nc_u64_e32 v[12:13], 2, v[8:9]
	v_add_nc_u64_e32 v[18:19], 1, v[8:9]
	v_cndmask_b32_e32 v17, v21, v20, vcc_lo
	v_cmp_ne_u32_e32 vcc_lo, 0, v3
	s_delay_alu instid0(VALU_DEP_2) | instskip(NEXT) | instid1(VALU_DEP_4)
	v_cmp_ne_u32_e64 s0, 0, v17
	v_dual_cndmask_b32 v3, v19, v13, vcc_lo :: v_dual_cndmask_b32 v13, v18, v12, vcc_lo
	s_delay_alu instid0(VALU_DEP_1) | instskip(NEXT) | instid1(VALU_DEP_2)
	v_dual_cndmask_b32 v3, v9, v3, s0 :: v_dual_bitop2_b32 v12, s82, v16 bitop3:0x14
	v_cndmask_b32_e64 v8, v8, v13, s0
	s_delay_alu instid0(VALU_DEP_2) | instskip(NEXT) | instid1(VALU_DEP_2)
	v_dual_mov_b32 v13, v12 :: v_dual_bitop2_b32 v9, v3, v12 bitop3:0x14
	v_xor_b32_e32 v8, v8, v12
	s_delay_alu instid0(VALU_DEP_1)
	v_sub_nc_u64_e32 v[8:9], v[8:9], v[12:13]
.LBB27_13:                              ;   in Loop: Header=BB27_3 Depth=1
	s_and_not1_saveexec_b32 s0, s89
	s_cbranch_execz .LBB27_15
; %bb.14:                               ;   in Loop: Header=BB27_3 Depth=1
	v_rcp_iflag_f32_e32 v3, v15
	s_sub_co_i32 s2, 0, s40
	v_nop
	s_delay_alu instid0(TRANS32_DEP_1) | instskip(NEXT) | instid1(VALU_DEP_1)
	v_mul_f32_e32 v3, 0x4f7ffffe, v3
	v_cvt_u32_f32_e32 v3, v3
	s_delay_alu instid0(VALU_DEP_1) | instskip(NEXT) | instid1(VALU_DEP_1)
	v_mul_lo_u32 v8, s2, v3
	v_mul_hi_u32 v8, v3, v8
	s_delay_alu instid0(VALU_DEP_1) | instskip(NEXT) | instid1(VALU_DEP_1)
	v_add_nc_u32_e32 v3, v3, v8
	v_mul_hi_u32 v3, v24, v3
	s_delay_alu instid0(VALU_DEP_1) | instskip(NEXT) | instid1(VALU_DEP_1)
	v_mul_lo_u32 v8, v3, s40
	v_sub_nc_u32_e32 v8, v24, v8
	s_delay_alu instid0(VALU_DEP_1) | instskip(SKIP_1) | instid1(VALU_DEP_2)
	v_subrev_nc_u32_e32 v12, s40, v8
	v_cmp_le_u32_e32 vcc_lo, s40, v8
	v_dual_cndmask_b32 v8, v8, v12 :: v_dual_add_nc_u32 v9, 1, v3
	s_delay_alu instid0(VALU_DEP_1) | instskip(NEXT) | instid1(VALU_DEP_2)
	v_cndmask_b32_e32 v3, v3, v9, vcc_lo
	v_cmp_le_u32_e32 vcc_lo, s40, v8
	s_delay_alu instid0(VALU_DEP_2) | instskip(NEXT) | instid1(VALU_DEP_1)
	v_add_nc_u32_e32 v9, 1, v3
	v_dual_cndmask_b32 v8, v3, v9 :: v_dual_mov_b32 v9, v2
.LBB27_15:                              ;   in Loop: Header=BB27_3 Depth=1
	s_or_b32 exec_lo, exec_lo, s0
	s_delay_alu instid0(VALU_DEP_1) | instskip(SKIP_2) | instid1(VALU_DEP_2)
	v_mul_u64_e32 v[12:13], s[40:41], v[8:9]
	v_mul_u64_e32 v[8:9], s[12:13], v[8:9]
	s_mov_b32 s0, exec_lo
	v_sub_nc_u64_e32 v[12:13], v[6:7], v[12:13]
	s_delay_alu instid0(VALU_DEP_2) | instskip(NEXT) | instid1(VALU_DEP_2)
	v_lshl_add_u64 v[8:9], v[8:9], 1, s[34:35]
	v_add_nc_u64_e32 v[12:13], v[0:1], v[12:13]
	s_delay_alu instid0(VALU_DEP_1) | instskip(NEXT) | instid1(VALU_DEP_1)
	v_mul_u64_e32 v[12:13], s[14:15], v[12:13]
	v_lshl_add_u64 v[8:9], v[12:13], 1, v[8:9]
                                        ; implicit-def: $vgpr12_vgpr13
	global_load_u16 v32, v[8:9], off
	s_wait_xcnt 0x0
	v_add_nc_u64_e32 v[8:9], 2, v[10:11]
	s_delay_alu instid0(VALU_DEP_1) | instskip(NEXT) | instid1(VALU_DEP_1)
	v_mul_u64_e32 v[8:9], s[4:5], v[8:9]
	v_add_nc_u64_e32 v[26:27], v[0:1], v[8:9]
	s_delay_alu instid0(VALU_DEP_1) | instskip(NEXT) | instid1(VALU_DEP_1)
	v_dual_ashrrev_i32 v18, 31, v27 :: v_dual_bitop2_b32 v3, s41, v27 bitop3:0x54
	v_cmpx_ne_u64_e32 0, v[2:3]
	s_xor_b32 s89, exec_lo, s0
	s_cbranch_execz .LBB27_17
; %bb.16:                               ;   in Loop: Header=BB27_3 Depth=1
	s_ashr_i32 s82, s41, 31
	v_dual_mov_b32 v19, v18 :: v_dual_mov_b32 v21, v2
	s_mov_b32 s83, s82
	v_mov_b32_e32 v35, v2
	s_add_nc_u64 s[84:85], s[40:41], s[82:83]
	s_delay_alu instid0(VALU_DEP_2)
	v_add_nc_u64_e32 v[12:13], v[26:27], v[18:19]
	s_xor_b64 s[84:85], s[84:85], s[82:83]
	v_mov_b32_e32 v39, v2
	s_cvt_f32_u32 s0, s84
	s_cvt_f32_u32 s2, s85
	s_sub_nc_u64 s[92:93], 0, s[84:85]
	s_delay_alu instid0(VALU_DEP_2) | instskip(NEXT) | instid1(SALU_CYCLE_1)
	v_xor_b32_e32 v20, v12, v18
	s_fmamk_f32 s0, s2, 0x4f800000, s0
	v_xor_b32_e32 v34, v13, v18
	s_delay_alu instid0(SALU_CYCLE_2) | instskip(NEXT) | instid1(TRANS32_DEP_1)
	v_s_rcp_f32 s0, s0
	s_mul_f32 s0, s0, 0x5f7ffffc
	s_delay_alu instid0(SALU_CYCLE_3) | instskip(NEXT) | instid1(SALU_CYCLE_3)
	s_mul_f32 s2, s0, 0x2f800000
	s_trunc_f32 s2, s2
	s_delay_alu instid0(SALU_CYCLE_3) | instskip(SKIP_1) | instid1(SALU_CYCLE_2)
	s_fmamk_f32 s0, s2, 0xcf800000, s0
	s_cvt_u32_f32 s91, s2
	s_cvt_u32_f32 s90, s0
	s_delay_alu instid0(SALU_CYCLE_3) | instskip(NEXT) | instid1(SALU_CYCLE_1)
	s_mul_u64 s[94:95], s[92:93], s[90:91]
	s_mul_hi_u32 s97, s90, s95
	s_mul_i32 s96, s90, s95
	s_mul_hi_u32 s2, s90, s94
	s_mul_i32 s83, s91, s94
	s_add_nc_u64 s[96:97], s[2:3], s[96:97]
	s_mul_hi_u32 s0, s91, s94
	s_mul_hi_u32 s98, s91, s95
	s_add_co_u32 s2, s96, s83
	s_add_co_ci_u32 s2, s97, s0
	s_mul_i32 s94, s91, s95
	s_add_co_ci_u32 s95, s98, 0
	s_delay_alu instid0(SALU_CYCLE_1) | instskip(NEXT) | instid1(SALU_CYCLE_1)
	s_add_nc_u64 s[94:95], s[2:3], s[94:95]
	s_add_co_u32 s90, s90, s94
	s_cselect_b32 s0, -1, 0
	s_delay_alu instid0(SALU_CYCLE_1) | instskip(SKIP_1) | instid1(SALU_CYCLE_1)
	s_cmp_lg_u32 s0, 0
	s_add_co_ci_u32 s91, s91, s95
	s_mul_u64 s[92:93], s[92:93], s[90:91]
	s_delay_alu instid0(SALU_CYCLE_1)
	s_mul_hi_u32 s95, s90, s93
	s_mul_i32 s94, s90, s93
	s_mul_hi_u32 s2, s90, s92
	s_mul_i32 s83, s91, s92
	s_add_nc_u64 s[94:95], s[2:3], s[94:95]
	s_mul_hi_u32 s0, s91, s92
	s_mul_hi_u32 s96, s91, s93
	s_add_co_u32 s2, s94, s83
	s_add_co_ci_u32 s2, s95, s0
	s_mul_i32 s92, s91, s93
	s_add_co_ci_u32 s93, s96, 0
	s_delay_alu instid0(SALU_CYCLE_1) | instskip(NEXT) | instid1(SALU_CYCLE_1)
	s_add_nc_u64 s[92:93], s[2:3], s[92:93]
	s_add_co_u32 s0, s90, s92
	s_cselect_b32 s2, -1, 0
	v_nop
	v_mul_hi_u32 v38, v20, s0
	s_cmp_lg_u32 s2, 0
	s_add_co_ci_u32 s2, s91, s93
	s_and_b64 s[90:91], s[0:1], s[78:79]
	v_mul_u64_e32 v[28:29], s[2:3], v[20:21]
	v_mul_u64_e32 v[12:13], s[90:91], v[34:35]
	;; [unrolled: 1-line block ×3, first 2 shown]
	s_delay_alu instid0(VALU_DEP_3) | instskip(NEXT) | instid1(VALU_DEP_1)
	v_add_nc_u64_e32 v[28:29], v[38:39], v[28:29]
	v_add_co_u32 v3, vcc_lo, v28, v12
	s_delay_alu instid0(VALU_DEP_2) | instskip(NEXT) | instid1(VALU_DEP_4)
	v_add_co_ci_u32_e32 v38, vcc_lo, v29, v13, vcc_lo
	v_add_co_ci_u32_e32 v37, vcc_lo, 0, v37, vcc_lo
	s_delay_alu instid0(VALU_DEP_1) | instskip(NEXT) | instid1(VALU_DEP_1)
	v_add_nc_u64_e32 v[12:13], v[38:39], v[36:37]
	v_mul_u64_e32 v[28:29], s[84:85], v[12:13]
	s_delay_alu instid0(VALU_DEP_1) | instskip(NEXT) | instid1(VALU_DEP_2)
	v_sub_nc_u32_e32 v3, v34, v29
	v_sub_co_u32 v17, vcc_lo, v20, v28
	s_delay_alu instid0(VALU_DEP_1) | instskip(NEXT) | instid1(VALU_DEP_3)
	v_sub_co_ci_u32_e64 v33, null, v34, v29, vcc_lo
	v_subrev_co_ci_u32_e64 v3, null, s85, v3, vcc_lo
	s_delay_alu instid0(VALU_DEP_3) | instskip(SKIP_1) | instid1(VALU_DEP_3)
	v_sub_co_u32 v19, s0, v17, s84
	v_add_nc_u64_e32 v[28:29], 1, v[12:13]
	v_subrev_co_ci_u32_e64 v3, null, 0, v3, s0
	s_delay_alu instid0(VALU_DEP_3) | instskip(SKIP_1) | instid1(VALU_DEP_3)
	v_cmp_le_u32_e32 vcc_lo, s84, v19
	v_cndmask_b32_e64 v19, 0, -1, vcc_lo
	v_cmp_le_u32_e32 vcc_lo, s85, v3
	v_cndmask_b32_e64 v20, 0, -1, vcc_lo
	;; [unrolled: 2-line block ×4, first 2 shown]
	v_cmp_eq_u32_e32 vcc_lo, s85, v3
	v_cndmask_b32_e32 v3, v20, v19, vcc_lo
	v_cmp_eq_u32_e32 vcc_lo, s85, v33
	v_add_nc_u64_e32 v[20:21], 2, v[12:13]
	v_cndmask_b32_e32 v17, v34, v17, vcc_lo
	s_delay_alu instid0(VALU_DEP_4) | instskip(NEXT) | instid1(VALU_DEP_2)
	v_cmp_ne_u32_e32 vcc_lo, 0, v3
	v_cmp_ne_u32_e64 s0, 0, v17
	s_delay_alu instid0(VALU_DEP_4) | instskip(NEXT) | instid1(VALU_DEP_1)
	v_dual_cndmask_b32 v3, v29, v21, vcc_lo :: v_dual_cndmask_b32 v17, v28, v20, vcc_lo
	v_dual_cndmask_b32 v3, v13, v3, s0 :: v_dual_bitop2_b32 v20, s82, v18 bitop3:0x14
	s_delay_alu instid0(VALU_DEP_2) | instskip(NEXT) | instid1(VALU_DEP_2)
	v_cndmask_b32_e64 v12, v12, v17, s0
	v_dual_mov_b32 v21, v20 :: v_dual_bitop2_b32 v13, v3, v20 bitop3:0x14
	s_delay_alu instid0(VALU_DEP_2) | instskip(NEXT) | instid1(VALU_DEP_1)
	v_xor_b32_e32 v12, v12, v20
	v_sub_nc_u64_e32 v[12:13], v[12:13], v[20:21]
.LBB27_17:                              ;   in Loop: Header=BB27_3 Depth=1
	s_and_not1_saveexec_b32 s0, s89
	s_cbranch_execz .LBB27_19
; %bb.18:                               ;   in Loop: Header=BB27_3 Depth=1
	v_rcp_iflag_f32_e32 v3, v15
	s_sub_co_i32 s2, 0, s40
	v_nop
	s_delay_alu instid0(TRANS32_DEP_1) | instskip(NEXT) | instid1(VALU_DEP_1)
	v_mul_f32_e32 v3, 0x4f7ffffe, v3
	v_cvt_u32_f32_e32 v3, v3
	s_delay_alu instid0(VALU_DEP_1) | instskip(NEXT) | instid1(VALU_DEP_1)
	v_mul_lo_u32 v12, s2, v3
	v_mul_hi_u32 v12, v3, v12
	s_delay_alu instid0(VALU_DEP_1) | instskip(NEXT) | instid1(VALU_DEP_1)
	v_add_nc_u32_e32 v3, v3, v12
	v_mul_hi_u32 v3, v26, v3
	s_delay_alu instid0(VALU_DEP_1) | instskip(NEXT) | instid1(VALU_DEP_1)
	v_mul_lo_u32 v12, v3, s40
	v_dual_add_nc_u32 v13, 1, v3 :: v_dual_sub_nc_u32 v12, v26, v12
	s_delay_alu instid0(VALU_DEP_1) | instskip(SKIP_1) | instid1(VALU_DEP_2)
	v_subrev_nc_u32_e32 v17, s40, v12
	v_cmp_le_u32_e32 vcc_lo, s40, v12
	v_cndmask_b32_e32 v12, v12, v17, vcc_lo
	s_delay_alu instid0(VALU_DEP_4) | instskip(NEXT) | instid1(VALU_DEP_2)
	v_cndmask_b32_e32 v3, v3, v13, vcc_lo
	v_cmp_le_u32_e32 vcc_lo, s40, v12
	s_delay_alu instid0(VALU_DEP_2) | instskip(NEXT) | instid1(VALU_DEP_1)
	v_add_nc_u32_e32 v13, 1, v3
	v_dual_cndmask_b32 v12, v3, v13 :: v_dual_mov_b32 v13, v2
.LBB27_19:                              ;   in Loop: Header=BB27_3 Depth=1
	s_or_b32 exec_lo, exec_lo, s0
	s_delay_alu instid0(VALU_DEP_1) | instskip(SKIP_3) | instid1(VALU_DEP_1)
	v_mul_u64_e32 v[20:21], s[40:41], v[12:13]
	v_mul_u64_e32 v[12:13], s[12:13], v[12:13]
	v_add_nc_u64_e32 v[10:11], 3, v[10:11]
	s_mov_b32 s0, exec_lo
	v_mul_u64_e32 v[10:11], s[4:5], v[10:11]
	s_delay_alu instid0(VALU_DEP_4) | instskip(NEXT) | instid1(VALU_DEP_4)
	v_sub_nc_u64_e32 v[20:21], v[8:9], v[20:21]
	v_lshl_add_u64 v[12:13], v[12:13], 1, s[34:35]
	s_delay_alu instid0(VALU_DEP_2) | instskip(NEXT) | instid1(VALU_DEP_4)
	v_add_nc_u64_e32 v[20:21], v[0:1], v[20:21]
	v_add_nc_u64_e32 v[28:29], v[0:1], v[10:11]
	s_delay_alu instid0(VALU_DEP_2) | instskip(NEXT) | instid1(VALU_DEP_2)
	v_mul_u64_e32 v[20:21], s[14:15], v[20:21]
	v_or_b32_e32 v3, s41, v29
	s_delay_alu instid0(VALU_DEP_2)
	v_lshl_add_u64 v[12:13], v[20:21], 1, v[12:13]
	v_ashrrev_i32_e32 v20, 31, v29
	global_load_u16 v33, v[12:13], off
                                        ; implicit-def: $vgpr12_vgpr13
	s_wait_xcnt 0x0
	v_cmpx_ne_u64_e32 0, v[2:3]
	s_xor_b32 s89, exec_lo, s0
	s_cbranch_execz .LBB27_21
; %bb.20:                               ;   in Loop: Header=BB27_3 Depth=1
	s_ashr_i32 s82, s41, 31
	v_dual_mov_b32 v21, v20 :: v_dual_mov_b32 v35, v2
	s_mov_b32 s83, s82
	v_mov_b32_e32 v39, v2
	s_add_nc_u64 s[84:85], s[40:41], s[82:83]
	s_delay_alu instid0(VALU_DEP_2)
	v_add_nc_u64_e32 v[12:13], v[28:29], v[20:21]
	s_xor_b64 s[84:85], s[84:85], s[82:83]
	v_mov_b32_e32 v43, v2
	s_cvt_f32_u32 s0, s84
	s_cvt_f32_u32 s2, s85
	s_sub_nc_u64 s[92:93], 0, s[84:85]
	s_delay_alu instid0(VALU_DEP_2) | instskip(NEXT) | instid1(SALU_CYCLE_1)
	v_xor_b32_e32 v34, v12, v20
	s_fmamk_f32 s0, s2, 0x4f800000, s0
	v_xor_b32_e32 v38, v13, v20
	s_delay_alu instid0(SALU_CYCLE_2) | instskip(NEXT) | instid1(TRANS32_DEP_1)
	v_s_rcp_f32 s0, s0
	s_mul_f32 s0, s0, 0x5f7ffffc
	s_delay_alu instid0(SALU_CYCLE_3) | instskip(NEXT) | instid1(SALU_CYCLE_3)
	s_mul_f32 s2, s0, 0x2f800000
	s_trunc_f32 s2, s2
	s_delay_alu instid0(SALU_CYCLE_3) | instskip(SKIP_1) | instid1(SALU_CYCLE_2)
	s_fmamk_f32 s0, s2, 0xcf800000, s0
	s_cvt_u32_f32 s91, s2
	s_cvt_u32_f32 s90, s0
	s_delay_alu instid0(SALU_CYCLE_3) | instskip(NEXT) | instid1(SALU_CYCLE_1)
	s_mul_u64 s[94:95], s[92:93], s[90:91]
	s_mul_hi_u32 s97, s90, s95
	s_mul_i32 s96, s90, s95
	s_mul_hi_u32 s2, s90, s94
	s_mul_i32 s83, s91, s94
	s_add_nc_u64 s[96:97], s[2:3], s[96:97]
	s_mul_hi_u32 s0, s91, s94
	s_mul_hi_u32 s98, s91, s95
	s_add_co_u32 s2, s96, s83
	s_add_co_ci_u32 s2, s97, s0
	s_mul_i32 s94, s91, s95
	s_add_co_ci_u32 s95, s98, 0
	s_delay_alu instid0(SALU_CYCLE_1) | instskip(NEXT) | instid1(SALU_CYCLE_1)
	s_add_nc_u64 s[94:95], s[2:3], s[94:95]
	s_add_co_u32 s90, s90, s94
	s_cselect_b32 s0, -1, 0
	s_delay_alu instid0(SALU_CYCLE_1) | instskip(SKIP_1) | instid1(SALU_CYCLE_1)
	s_cmp_lg_u32 s0, 0
	s_add_co_ci_u32 s91, s91, s95
	s_mul_u64 s[92:93], s[92:93], s[90:91]
	s_delay_alu instid0(SALU_CYCLE_1)
	s_mul_hi_u32 s95, s90, s93
	s_mul_i32 s94, s90, s93
	s_mul_hi_u32 s2, s90, s92
	s_mul_i32 s83, s91, s92
	s_add_nc_u64 s[94:95], s[2:3], s[94:95]
	s_mul_hi_u32 s0, s91, s92
	s_mul_hi_u32 s96, s91, s93
	s_add_co_u32 s2, s94, s83
	s_add_co_ci_u32 s2, s95, s0
	s_mul_i32 s92, s91, s93
	s_add_co_ci_u32 s93, s96, 0
	s_delay_alu instid0(SALU_CYCLE_1) | instskip(NEXT) | instid1(SALU_CYCLE_1)
	s_add_nc_u64 s[92:93], s[2:3], s[92:93]
	s_add_co_u32 s0, s90, s92
	s_cselect_b32 s2, -1, 0
	v_nop
	v_mul_hi_u32 v42, v34, s0
	s_cmp_lg_u32 s2, 0
	s_add_co_ci_u32 s2, s91, s93
	s_and_b64 s[90:91], s[0:1], s[78:79]
	v_mul_u64_e32 v[36:37], s[2:3], v[34:35]
	v_mul_u64_e32 v[12:13], s[90:91], v[38:39]
	;; [unrolled: 1-line block ×3, first 2 shown]
	s_delay_alu instid0(VALU_DEP_3) | instskip(NEXT) | instid1(VALU_DEP_1)
	v_add_nc_u64_e32 v[36:37], v[42:43], v[36:37]
	v_add_co_u32 v3, vcc_lo, v36, v12
	s_delay_alu instid0(VALU_DEP_2) | instskip(NEXT) | instid1(VALU_DEP_4)
	v_add_co_ci_u32_e32 v42, vcc_lo, v37, v13, vcc_lo
	v_add_co_ci_u32_e32 v41, vcc_lo, 0, v41, vcc_lo
	s_delay_alu instid0(VALU_DEP_1) | instskip(NEXT) | instid1(VALU_DEP_1)
	v_add_nc_u64_e32 v[12:13], v[42:43], v[40:41]
	v_mul_u64_e32 v[36:37], s[84:85], v[12:13]
	s_delay_alu instid0(VALU_DEP_1) | instskip(NEXT) | instid1(VALU_DEP_2)
	v_sub_nc_u32_e32 v3, v38, v37
	v_sub_co_u32 v15, vcc_lo, v34, v36
	s_delay_alu instid0(VALU_DEP_1) | instskip(NEXT) | instid1(VALU_DEP_3)
	v_sub_co_ci_u32_e64 v19, null, v38, v37, vcc_lo
	v_subrev_co_ci_u32_e64 v3, null, s85, v3, vcc_lo
	s_delay_alu instid0(VALU_DEP_3) | instskip(SKIP_1) | instid1(VALU_DEP_3)
	v_sub_co_u32 v17, s0, v15, s84
	v_add_nc_u64_e32 v[34:35], 2, v[12:13]
	v_subrev_co_ci_u32_e64 v3, null, 0, v3, s0
	s_delay_alu instid0(VALU_DEP_3) | instskip(SKIP_2) | instid1(VALU_DEP_4)
	v_cmp_le_u32_e32 vcc_lo, s84, v17
	v_add_nc_u64_e32 v[36:37], 1, v[12:13]
	v_cndmask_b32_e64 v17, 0, -1, vcc_lo
	v_cmp_le_u32_e32 vcc_lo, s85, v3
	v_cndmask_b32_e64 v21, 0, -1, vcc_lo
	v_cmp_le_u32_e32 vcc_lo, s84, v15
	;; [unrolled: 2-line block ×3, first 2 shown]
	v_cndmask_b32_e64 v38, 0, -1, vcc_lo
	v_cmp_eq_u32_e32 vcc_lo, s85, v3
	v_cndmask_b32_e32 v3, v21, v17, vcc_lo
	v_cmp_eq_u32_e32 vcc_lo, s85, v19
	s_delay_alu instid0(VALU_DEP_4) | instskip(NEXT) | instid1(VALU_DEP_3)
	v_cndmask_b32_e32 v15, v38, v15, vcc_lo
	v_cmp_ne_u32_e32 vcc_lo, 0, v3
	s_delay_alu instid0(VALU_DEP_2) | instskip(SKIP_1) | instid1(VALU_DEP_1)
	v_cmp_ne_u32_e64 s0, 0, v15
	v_dual_cndmask_b32 v3, v37, v35, vcc_lo :: v_dual_cndmask_b32 v15, v36, v34, vcc_lo
	v_dual_cndmask_b32 v3, v13, v3, s0 :: v_dual_bitop2_b32 v34, s82, v20 bitop3:0x14
	s_delay_alu instid0(VALU_DEP_1) | instskip(NEXT) | instid1(VALU_DEP_2)
	v_dual_mov_b32 v35, v34 :: v_dual_cndmask_b32 v12, v12, v15, s0
                                        ; implicit-def: $vgpr15
	v_xor_b32_e32 v13, v3, v34
	s_delay_alu instid0(VALU_DEP_2) | instskip(NEXT) | instid1(VALU_DEP_1)
	v_xor_b32_e32 v12, v12, v34
	v_sub_nc_u64_e32 v[12:13], v[12:13], v[34:35]
.LBB27_21:                              ;   in Loop: Header=BB27_3 Depth=1
	s_and_not1_saveexec_b32 s0, s89
	s_cbranch_execz .LBB27_23
; %bb.22:                               ;   in Loop: Header=BB27_3 Depth=1
	v_rcp_iflag_f32_e32 v3, v15
	s_sub_co_i32 s2, 0, s40
	v_nop
	s_delay_alu instid0(TRANS32_DEP_1) | instskip(NEXT) | instid1(VALU_DEP_1)
	v_mul_f32_e32 v3, 0x4f7ffffe, v3
	v_cvt_u32_f32_e32 v3, v3
	s_delay_alu instid0(VALU_DEP_1) | instskip(NEXT) | instid1(VALU_DEP_1)
	v_mul_lo_u32 v12, s2, v3
	v_mul_hi_u32 v12, v3, v12
	s_delay_alu instid0(VALU_DEP_1) | instskip(NEXT) | instid1(VALU_DEP_1)
	v_add_nc_u32_e32 v3, v3, v12
	v_mul_hi_u32 v3, v28, v3
	s_delay_alu instid0(VALU_DEP_1) | instskip(NEXT) | instid1(VALU_DEP_1)
	v_mul_lo_u32 v12, v3, s40
	v_dual_add_nc_u32 v13, 1, v3 :: v_dual_sub_nc_u32 v12, v28, v12
	s_delay_alu instid0(VALU_DEP_1) | instskip(SKIP_1) | instid1(VALU_DEP_2)
	v_subrev_nc_u32_e32 v15, s40, v12
	v_cmp_le_u32_e32 vcc_lo, s40, v12
	v_dual_cndmask_b32 v12, v12, v15 :: v_dual_cndmask_b32 v3, v3, v13
	s_delay_alu instid0(VALU_DEP_1) | instskip(NEXT) | instid1(VALU_DEP_2)
	v_cmp_le_u32_e32 vcc_lo, s40, v12
	v_add_nc_u32_e32 v13, 1, v3
	s_delay_alu instid0(VALU_DEP_1)
	v_dual_cndmask_b32 v12, v3, v13 :: v_dual_mov_b32 v13, v2
.LBB27_23:                              ;   in Loop: Header=BB27_3 Depth=1
	s_or_b32 exec_lo, exec_lo, s0
	s_delay_alu instid0(VALU_DEP_1) | instskip(SKIP_3) | instid1(VALU_DEP_3)
	v_mul_u64_e32 v[34:35], s[40:41], v[12:13]
	v_mul_u64_e32 v[12:13], s[12:13], v[12:13]
	v_or_b32_e32 v3, s49, v23
	s_mov_b32 s0, exec_lo
	v_sub_nc_u64_e32 v[34:35], v[10:11], v[34:35]
	s_delay_alu instid0(VALU_DEP_3) | instskip(NEXT) | instid1(VALU_DEP_2)
	v_lshl_add_u64 v[12:13], v[12:13], 1, s[34:35]
	v_add_nc_u64_e32 v[34:35], v[0:1], v[34:35]
	s_delay_alu instid0(VALU_DEP_1) | instskip(NEXT) | instid1(VALU_DEP_1)
	v_mul_u64_e32 v[34:35], s[14:15], v[34:35]
	v_lshl_add_u64 v[12:13], v[34:35], 1, v[12:13]
	global_load_u16 v34, v[12:13], off
                                        ; implicit-def: $vgpr12_vgpr13
	s_wait_xcnt 0x0
	v_cmpx_ne_u64_e32 0, v[2:3]
	s_xor_b32 s89, exec_lo, s0
	s_cbranch_execz .LBB27_25
; %bb.24:                               ;   in Loop: Header=BB27_3 Depth=1
	s_ashr_i32 s82, s49, 31
	v_mov_b32_e32 v15, v14
	s_mov_b32 s83, s82
	v_mov_b32_e32 v39, v2
	s_add_nc_u64 s[84:85], s[48:49], s[82:83]
	v_mov_b32_e32 v43, v2
	s_xor_b64 s[84:85], s[84:85], s[82:83]
	v_add_nc_u64_e32 v[12:13], v[22:23], v[14:15]
	s_cvt_f32_u32 s0, s84
	s_cvt_f32_u32 s2, s85
	s_sub_nc_u64 s[92:93], 0, s[84:85]
	v_mov_b32_e32 v23, v2
	s_delay_alu instid0(SALU_CYCLE_1) | instskip(NEXT) | instid1(VALU_DEP_2)
	s_fmamk_f32 s0, s2, 0x4f800000, s0
	v_xor_b32_e32 v22, v12, v14
	v_xor_b32_e32 v38, v13, v14
	;; [unrolled: 1-line block ×3, first 2 shown]
	v_s_rcp_f32 s0, s0
	s_delay_alu instid0(TRANS32_DEP_1) | instskip(NEXT) | instid1(SALU_CYCLE_3)
	s_mul_f32 s0, s0, 0x5f7ffffc
	s_mul_f32 s2, s0, 0x2f800000
	s_delay_alu instid0(SALU_CYCLE_3) | instskip(NEXT) | instid1(SALU_CYCLE_3)
	s_trunc_f32 s2, s2
	s_fmamk_f32 s0, s2, 0xcf800000, s0
	s_cvt_u32_f32 s91, s2
	s_delay_alu instid0(SALU_CYCLE_2) | instskip(NEXT) | instid1(SALU_CYCLE_3)
	s_cvt_u32_f32 s90, s0
	s_mul_u64 s[94:95], s[92:93], s[90:91]
	s_delay_alu instid0(SALU_CYCLE_1)
	s_mul_hi_u32 s97, s90, s95
	s_mul_i32 s96, s90, s95
	s_mul_hi_u32 s2, s90, s94
	s_mul_i32 s83, s91, s94
	s_add_nc_u64 s[96:97], s[2:3], s[96:97]
	s_mul_hi_u32 s0, s91, s94
	s_mul_hi_u32 s98, s91, s95
	s_add_co_u32 s2, s96, s83
	s_add_co_ci_u32 s2, s97, s0
	s_mul_i32 s94, s91, s95
	s_add_co_ci_u32 s95, s98, 0
	s_delay_alu instid0(SALU_CYCLE_1) | instskip(NEXT) | instid1(SALU_CYCLE_1)
	s_add_nc_u64 s[94:95], s[2:3], s[94:95]
	s_add_co_u32 s90, s90, s94
	s_cselect_b32 s0, -1, 0
	s_delay_alu instid0(SALU_CYCLE_1) | instskip(SKIP_1) | instid1(SALU_CYCLE_1)
	s_cmp_lg_u32 s0, 0
	s_add_co_ci_u32 s91, s91, s95
	s_mul_u64 s[92:93], s[92:93], s[90:91]
	s_delay_alu instid0(SALU_CYCLE_1)
	s_mul_hi_u32 s95, s90, s93
	s_mul_i32 s94, s90, s93
	s_mul_hi_u32 s2, s90, s92
	s_mul_i32 s83, s91, s92
	s_add_nc_u64 s[94:95], s[2:3], s[94:95]
	s_mul_hi_u32 s0, s91, s92
	s_mul_hi_u32 s96, s91, s93
	s_add_co_u32 s2, s94, s83
	s_add_co_ci_u32 s2, s95, s0
	s_mul_i32 s92, s91, s93
	s_add_co_ci_u32 s93, s96, 0
	s_delay_alu instid0(SALU_CYCLE_1) | instskip(NEXT) | instid1(SALU_CYCLE_1)
	s_add_nc_u64 s[92:93], s[2:3], s[92:93]
	s_add_co_u32 s0, s90, s92
	s_cselect_b32 s2, -1, 0
	v_nop
	v_mul_hi_u32 v42, v22, s0
	s_cmp_lg_u32 s2, 0
	s_add_co_ci_u32 s2, s91, s93
	s_and_b64 s[90:91], s[0:1], s[78:79]
	v_mul_u64_e32 v[36:37], s[2:3], v[22:23]
	v_mul_u64_e32 v[12:13], s[90:91], v[38:39]
	v_mul_u64_e32 v[40:41], s[2:3], v[38:39]
	s_delay_alu instid0(VALU_DEP_3) | instskip(NEXT) | instid1(VALU_DEP_1)
	v_add_nc_u64_e32 v[36:37], v[42:43], v[36:37]
	v_add_co_u32 v3, vcc_lo, v36, v12
	s_delay_alu instid0(VALU_DEP_2) | instskip(NEXT) | instid1(VALU_DEP_4)
	v_add_co_ci_u32_e32 v42, vcc_lo, v37, v13, vcc_lo
	v_add_co_ci_u32_e32 v41, vcc_lo, 0, v41, vcc_lo
	s_delay_alu instid0(VALU_DEP_1) | instskip(NEXT) | instid1(VALU_DEP_1)
	v_add_nc_u64_e32 v[12:13], v[42:43], v[40:41]
	v_mul_u64_e32 v[36:37], s[84:85], v[12:13]
	s_delay_alu instid0(VALU_DEP_1) | instskip(NEXT) | instid1(VALU_DEP_2)
	v_sub_nc_u32_e32 v3, v38, v37
	v_sub_co_u32 v15, vcc_lo, v22, v36
	s_delay_alu instid0(VALU_DEP_1) | instskip(NEXT) | instid1(VALU_DEP_3)
	v_sub_co_ci_u32_e64 v19, null, v38, v37, vcc_lo
	v_subrev_co_ci_u32_e64 v3, null, s85, v3, vcc_lo
	s_delay_alu instid0(VALU_DEP_3) | instskip(SKIP_1) | instid1(VALU_DEP_3)
	v_sub_co_u32 v17, s0, v15, s84
	v_add_nc_u64_e32 v[22:23], 2, v[12:13]
	v_subrev_co_ci_u32_e64 v3, null, 0, v3, s0
	s_delay_alu instid0(VALU_DEP_3) | instskip(SKIP_2) | instid1(VALU_DEP_4)
	v_cmp_le_u32_e32 vcc_lo, s84, v17
	v_add_nc_u64_e32 v[36:37], 1, v[12:13]
	v_cndmask_b32_e64 v17, 0, -1, vcc_lo
	v_cmp_le_u32_e32 vcc_lo, s85, v3
	v_cndmask_b32_e64 v21, 0, -1, vcc_lo
	v_cmp_le_u32_e32 vcc_lo, s84, v15
	;; [unrolled: 2-line block ×3, first 2 shown]
	v_cndmask_b32_e64 v35, 0, -1, vcc_lo
	v_cmp_eq_u32_e32 vcc_lo, s85, v3
	v_cndmask_b32_e32 v3, v21, v17, vcc_lo
	v_cmp_eq_u32_e32 vcc_lo, s85, v19
	s_delay_alu instid0(VALU_DEP_4) | instskip(NEXT) | instid1(VALU_DEP_3)
	v_cndmask_b32_e32 v15, v35, v15, vcc_lo
	v_cmp_ne_u32_e32 vcc_lo, 0, v3
	s_delay_alu instid0(VALU_DEP_2) | instskip(SKIP_1) | instid1(VALU_DEP_1)
	v_cmp_ne_u32_e64 s0, 0, v15
	v_dual_cndmask_b32 v3, v37, v23, vcc_lo :: v_dual_cndmask_b32 v15, v36, v22, vcc_lo
                                        ; implicit-def: $vgpr22_vgpr23
	v_cndmask_b32_e64 v3, v13, v3, s0
	s_delay_alu instid0(VALU_DEP_2) | instskip(NEXT) | instid1(VALU_DEP_2)
	v_dual_cndmask_b32 v12, v12, v15, s0 :: v_dual_mov_b32 v15, v14
	v_xor_b32_e32 v13, v3, v14
	s_delay_alu instid0(VALU_DEP_2) | instskip(NEXT) | instid1(VALU_DEP_1)
	v_xor_b32_e32 v12, v12, v14
	v_sub_nc_u64_e32 v[12:13], v[12:13], v[14:15]
.LBB27_25:                              ;   in Loop: Header=BB27_3 Depth=1
	s_or_saveexec_b32 s0, s89
	v_cvt_f32_u32_e32 v21, s48
	s_xor_b32 exec_lo, exec_lo, s0
	s_cbranch_execz .LBB27_27
; %bb.26:                               ;   in Loop: Header=BB27_3 Depth=1
	s_delay_alu instid0(VALU_DEP_1) | instskip(SKIP_2) | instid1(TRANS32_DEP_1)
	v_rcp_iflag_f32_e32 v3, v21
	s_sub_co_i32 s2, 0, s48
	v_nop
	v_mul_f32_e32 v3, 0x4f7ffffe, v3
	s_delay_alu instid0(VALU_DEP_1) | instskip(NEXT) | instid1(VALU_DEP_1)
	v_cvt_u32_f32_e32 v3, v3
	v_mul_lo_u32 v12, s2, v3
	s_delay_alu instid0(VALU_DEP_1) | instskip(NEXT) | instid1(VALU_DEP_1)
	v_mul_hi_u32 v12, v3, v12
	v_add_nc_u32_e32 v3, v3, v12
	s_delay_alu instid0(VALU_DEP_1) | instskip(NEXT) | instid1(VALU_DEP_1)
	v_mul_hi_u32 v3, v22, v3
	v_mul_lo_u32 v12, v3, s48
	s_delay_alu instid0(VALU_DEP_1) | instskip(NEXT) | instid1(VALU_DEP_1)
	v_dual_add_nc_u32 v13, 1, v3 :: v_dual_sub_nc_u32 v12, v22, v12
	v_subrev_nc_u32_e32 v14, s48, v12
	v_cmp_le_u32_e32 vcc_lo, s48, v12
	s_delay_alu instid0(VALU_DEP_2) | instskip(NEXT) | instid1(VALU_DEP_1)
	v_dual_cndmask_b32 v12, v12, v14 :: v_dual_cndmask_b32 v3, v3, v13
	v_cmp_le_u32_e32 vcc_lo, s48, v12
	s_delay_alu instid0(VALU_DEP_2) | instskip(NEXT) | instid1(VALU_DEP_1)
	v_add_nc_u32_e32 v13, 1, v3
	v_dual_cndmask_b32 v12, v3, v13 :: v_dual_mov_b32 v13, v2
.LBB27_27:                              ;   in Loop: Header=BB27_3 Depth=1
	s_or_b32 exec_lo, exec_lo, s0
	v_or_b32_e32 v3, s49, v25
                                        ; implicit-def: $vgpr14_vgpr15
	s_mov_b32 s0, exec_lo
	s_delay_alu instid0(VALU_DEP_1)
	v_cmpx_ne_u64_e32 0, v[2:3]
	s_xor_b32 s89, exec_lo, s0
	s_cbranch_execz .LBB27_29
; %bb.28:                               ;   in Loop: Header=BB27_3 Depth=1
	s_ashr_i32 s82, s49, 31
	v_dual_mov_b32 v17, v16 :: v_dual_mov_b32 v23, v2
	s_mov_b32 s83, s82
	v_mov_b32_e32 v41, v2
	s_add_nc_u64 s[84:85], s[48:49], s[82:83]
	s_delay_alu instid0(VALU_DEP_2)
	v_add_nc_u64_e32 v[14:15], v[24:25], v[16:17]
	s_xor_b64 s[84:85], s[84:85], s[82:83]
	v_mov_b32_e32 v37, v2
	s_cvt_f32_u32 s0, s84
	s_cvt_f32_u32 s2, s85
	s_sub_nc_u64 s[92:93], 0, s[84:85]
	s_delay_alu instid0(VALU_DEP_2) | instskip(NEXT) | instid1(SALU_CYCLE_1)
	v_xor_b32_e32 v36, v15, v16
	s_fmamk_f32 s0, s2, 0x4f800000, s0
	v_xor_b32_e32 v22, v14, v16
	v_xor_b32_e32 v16, s82, v16
	s_delay_alu instid0(SALU_CYCLE_1) | instskip(NEXT) | instid1(TRANS32_DEP_1)
	v_s_rcp_f32 s0, s0
	s_mul_f32 s0, s0, 0x5f7ffffc
	s_delay_alu instid0(SALU_CYCLE_3) | instskip(NEXT) | instid1(SALU_CYCLE_3)
	s_mul_f32 s2, s0, 0x2f800000
	s_trunc_f32 s2, s2
	s_delay_alu instid0(SALU_CYCLE_3) | instskip(SKIP_1) | instid1(SALU_CYCLE_2)
	s_fmamk_f32 s0, s2, 0xcf800000, s0
	s_cvt_u32_f32 s91, s2
	s_cvt_u32_f32 s90, s0
	s_delay_alu instid0(SALU_CYCLE_3) | instskip(NEXT) | instid1(SALU_CYCLE_1)
	s_mul_u64 s[94:95], s[92:93], s[90:91]
	s_mul_hi_u32 s97, s90, s95
	s_mul_i32 s96, s90, s95
	s_mul_hi_u32 s2, s90, s94
	s_mul_i32 s83, s91, s94
	s_add_nc_u64 s[96:97], s[2:3], s[96:97]
	s_mul_hi_u32 s0, s91, s94
	s_mul_hi_u32 s98, s91, s95
	s_add_co_u32 s2, s96, s83
	s_add_co_ci_u32 s2, s97, s0
	s_mul_i32 s94, s91, s95
	s_add_co_ci_u32 s95, s98, 0
	s_delay_alu instid0(SALU_CYCLE_1) | instskip(NEXT) | instid1(SALU_CYCLE_1)
	s_add_nc_u64 s[94:95], s[2:3], s[94:95]
	s_add_co_u32 s90, s90, s94
	s_cselect_b32 s0, -1, 0
	s_delay_alu instid0(SALU_CYCLE_1) | instskip(SKIP_1) | instid1(SALU_CYCLE_1)
	s_cmp_lg_u32 s0, 0
	s_add_co_ci_u32 s91, s91, s95
	s_mul_u64 s[92:93], s[92:93], s[90:91]
	s_delay_alu instid0(SALU_CYCLE_1)
	s_mul_hi_u32 s95, s90, s93
	s_mul_i32 s94, s90, s93
	s_mul_hi_u32 s2, s90, s92
	s_mul_i32 s83, s91, s92
	s_add_nc_u64 s[94:95], s[2:3], s[94:95]
	s_mul_hi_u32 s0, s91, s92
	s_mul_hi_u32 s96, s91, s93
	s_add_co_u32 s2, s94, s83
	s_add_co_ci_u32 s2, s95, s0
	s_mul_i32 s92, s91, s93
	s_add_co_ci_u32 s93, s96, 0
	s_delay_alu instid0(SALU_CYCLE_1) | instskip(NEXT) | instid1(SALU_CYCLE_1)
	s_add_nc_u64 s[92:93], s[2:3], s[92:93]
	s_add_co_u32 s0, s90, s92
	s_cselect_b32 s2, -1, 0
	v_nop
	v_mul_hi_u32 v40, v22, s0
	s_cmp_lg_u32 s2, 0
	s_add_co_ci_u32 s2, s91, s93
	s_and_b64 s[90:91], s[0:1], s[78:79]
	v_mul_u64_e32 v[24:25], s[2:3], v[22:23]
	v_mul_u64_e32 v[14:15], s[90:91], v[36:37]
	;; [unrolled: 1-line block ×3, first 2 shown]
	s_delay_alu instid0(VALU_DEP_3) | instskip(NEXT) | instid1(VALU_DEP_1)
	v_add_nc_u64_e32 v[24:25], v[40:41], v[24:25]
	v_add_co_u32 v3, vcc_lo, v24, v14
	s_delay_alu instid0(VALU_DEP_2) | instskip(NEXT) | instid1(VALU_DEP_4)
	v_add_co_ci_u32_e32 v40, vcc_lo, v25, v15, vcc_lo
	v_add_co_ci_u32_e32 v39, vcc_lo, 0, v39, vcc_lo
	s_delay_alu instid0(VALU_DEP_1) | instskip(NEXT) | instid1(VALU_DEP_1)
	v_add_nc_u64_e32 v[14:15], v[40:41], v[38:39]
	v_mul_u64_e32 v[24:25], s[84:85], v[14:15]
	s_delay_alu instid0(VALU_DEP_1) | instskip(NEXT) | instid1(VALU_DEP_2)
	v_sub_nc_u32_e32 v3, v36, v25
	v_sub_co_u32 v17, vcc_lo, v22, v24
	s_delay_alu instid0(VALU_DEP_1) | instskip(NEXT) | instid1(VALU_DEP_3)
	v_sub_co_ci_u32_e64 v35, null, v36, v25, vcc_lo
	v_subrev_co_ci_u32_e64 v3, null, s85, v3, vcc_lo
	s_delay_alu instid0(VALU_DEP_3) | instskip(SKIP_1) | instid1(VALU_DEP_3)
	v_sub_co_u32 v19, s0, v17, s84
	v_add_nc_u64_e32 v[24:25], 1, v[14:15]
	v_subrev_co_ci_u32_e64 v3, null, 0, v3, s0
	s_delay_alu instid0(VALU_DEP_3) | instskip(SKIP_1) | instid1(VALU_DEP_3)
	v_cmp_le_u32_e32 vcc_lo, s84, v19
	v_cndmask_b32_e64 v19, 0, -1, vcc_lo
	v_cmp_le_u32_e32 vcc_lo, s85, v3
	v_cndmask_b32_e64 v22, 0, -1, vcc_lo
	;; [unrolled: 2-line block ×4, first 2 shown]
	v_cmp_eq_u32_e32 vcc_lo, s85, v3
	v_cndmask_b32_e32 v3, v22, v19, vcc_lo
	v_cmp_eq_u32_e32 vcc_lo, s85, v35
	v_add_nc_u64_e32 v[22:23], 2, v[14:15]
	v_cndmask_b32_e32 v17, v36, v17, vcc_lo
	s_delay_alu instid0(VALU_DEP_4) | instskip(NEXT) | instid1(VALU_DEP_2)
	v_cmp_ne_u32_e32 vcc_lo, 0, v3
	v_cmp_ne_u32_e64 s0, 0, v17
	s_delay_alu instid0(VALU_DEP_4) | instskip(NEXT) | instid1(VALU_DEP_1)
	v_dual_cndmask_b32 v3, v25, v23, vcc_lo :: v_dual_cndmask_b32 v17, v24, v22, vcc_lo
                                        ; implicit-def: $vgpr24_vgpr25
	v_dual_cndmask_b32 v3, v15, v3, s0 :: v_dual_cndmask_b32 v14, v14, v17, s0
	s_delay_alu instid0(VALU_DEP_1) | instskip(NEXT) | instid1(VALU_DEP_2)
	v_dual_mov_b32 v17, v16 :: v_dual_bitop2_b32 v15, v3, v16 bitop3:0x14
	v_xor_b32_e32 v14, v14, v16
	s_delay_alu instid0(VALU_DEP_1)
	v_sub_nc_u64_e32 v[14:15], v[14:15], v[16:17]
.LBB27_29:                              ;   in Loop: Header=BB27_3 Depth=1
	s_and_not1_saveexec_b32 s0, s89
	s_cbranch_execz .LBB27_31
; %bb.30:                               ;   in Loop: Header=BB27_3 Depth=1
	v_rcp_iflag_f32_e32 v3, v21
	s_sub_co_i32 s2, 0, s48
	v_nop
	s_delay_alu instid0(TRANS32_DEP_1) | instskip(NEXT) | instid1(VALU_DEP_1)
	v_mul_f32_e32 v3, 0x4f7ffffe, v3
	v_cvt_u32_f32_e32 v3, v3
	s_delay_alu instid0(VALU_DEP_1) | instskip(NEXT) | instid1(VALU_DEP_1)
	v_mul_lo_u32 v14, s2, v3
	v_mul_hi_u32 v14, v3, v14
	s_delay_alu instid0(VALU_DEP_1) | instskip(NEXT) | instid1(VALU_DEP_1)
	v_add_nc_u32_e32 v3, v3, v14
	v_mul_hi_u32 v3, v24, v3
	s_delay_alu instid0(VALU_DEP_1) | instskip(NEXT) | instid1(VALU_DEP_1)
	v_mul_lo_u32 v14, v3, s48
	v_dual_add_nc_u32 v15, 1, v3 :: v_dual_sub_nc_u32 v14, v24, v14
	s_delay_alu instid0(VALU_DEP_1) | instskip(SKIP_1) | instid1(VALU_DEP_2)
	v_subrev_nc_u32_e32 v16, s48, v14
	v_cmp_le_u32_e32 vcc_lo, s48, v14
	v_dual_cndmask_b32 v14, v14, v16 :: v_dual_cndmask_b32 v3, v3, v15
	s_delay_alu instid0(VALU_DEP_1) | instskip(NEXT) | instid1(VALU_DEP_2)
	v_cmp_le_u32_e32 vcc_lo, s48, v14
	v_add_nc_u32_e32 v15, 1, v3
	s_delay_alu instid0(VALU_DEP_1)
	v_dual_cndmask_b32 v14, v3, v15 :: v_dual_mov_b32 v15, v2
.LBB27_31:                              ;   in Loop: Header=BB27_3 Depth=1
	s_or_b32 exec_lo, exec_lo, s0
	v_or_b32_e32 v3, s49, v27
                                        ; implicit-def: $vgpr16_vgpr17
	s_mov_b32 s0, exec_lo
	s_delay_alu instid0(VALU_DEP_1)
	v_cmpx_ne_u64_e32 0, v[2:3]
	s_xor_b32 s89, exec_lo, s0
	s_cbranch_execz .LBB27_33
; %bb.32:                               ;   in Loop: Header=BB27_3 Depth=1
	s_ashr_i32 s82, s49, 31
	v_dual_mov_b32 v19, v18 :: v_dual_mov_b32 v23, v2
	s_mov_b32 s83, s82
	v_mov_b32_e32 v39, v2
	s_add_nc_u64 s[84:85], s[48:49], s[82:83]
	s_delay_alu instid0(VALU_DEP_2)
	v_add_nc_u64_e32 v[16:17], v[26:27], v[18:19]
	s_xor_b64 s[84:85], s[84:85], s[82:83]
	v_mov_b32_e32 v27, v2
	s_cvt_f32_u32 s0, s84
	s_cvt_f32_u32 s2, s85
	s_sub_nc_u64 s[92:93], 0, s[84:85]
	s_delay_alu instid0(VALU_DEP_2) | instskip(NEXT) | instid1(SALU_CYCLE_1)
	v_xor_b32_e32 v22, v16, v18
	s_fmamk_f32 s0, s2, 0x4f800000, s0
	v_xor_b32_e32 v26, v17, v18
	v_xor_b32_e32 v18, s82, v18
	s_delay_alu instid0(SALU_CYCLE_1) | instskip(NEXT) | instid1(TRANS32_DEP_1)
	v_s_rcp_f32 s0, s0
	s_mul_f32 s0, s0, 0x5f7ffffc
	s_delay_alu instid0(SALU_CYCLE_3) | instskip(NEXT) | instid1(SALU_CYCLE_3)
	s_mul_f32 s2, s0, 0x2f800000
	s_trunc_f32 s2, s2
	s_delay_alu instid0(SALU_CYCLE_3) | instskip(SKIP_1) | instid1(SALU_CYCLE_2)
	s_fmamk_f32 s0, s2, 0xcf800000, s0
	s_cvt_u32_f32 s91, s2
	s_cvt_u32_f32 s90, s0
	s_delay_alu instid0(SALU_CYCLE_3) | instskip(NEXT) | instid1(SALU_CYCLE_1)
	s_mul_u64 s[94:95], s[92:93], s[90:91]
	s_mul_hi_u32 s97, s90, s95
	s_mul_i32 s96, s90, s95
	s_mul_hi_u32 s2, s90, s94
	s_mul_i32 s83, s91, s94
	s_add_nc_u64 s[96:97], s[2:3], s[96:97]
	s_mul_hi_u32 s0, s91, s94
	s_mul_hi_u32 s98, s91, s95
	s_add_co_u32 s2, s96, s83
	s_add_co_ci_u32 s2, s97, s0
	s_mul_i32 s94, s91, s95
	s_add_co_ci_u32 s95, s98, 0
	s_delay_alu instid0(SALU_CYCLE_1) | instskip(NEXT) | instid1(SALU_CYCLE_1)
	s_add_nc_u64 s[94:95], s[2:3], s[94:95]
	s_add_co_u32 s90, s90, s94
	s_cselect_b32 s0, -1, 0
	s_delay_alu instid0(SALU_CYCLE_1) | instskip(SKIP_1) | instid1(SALU_CYCLE_1)
	s_cmp_lg_u32 s0, 0
	s_add_co_ci_u32 s91, s91, s95
	s_mul_u64 s[92:93], s[92:93], s[90:91]
	s_delay_alu instid0(SALU_CYCLE_1)
	s_mul_hi_u32 s95, s90, s93
	s_mul_i32 s94, s90, s93
	s_mul_hi_u32 s2, s90, s92
	s_mul_i32 s83, s91, s92
	s_add_nc_u64 s[94:95], s[2:3], s[94:95]
	s_mul_hi_u32 s0, s91, s92
	s_mul_hi_u32 s96, s91, s93
	s_add_co_u32 s2, s94, s83
	s_add_co_ci_u32 s2, s95, s0
	s_mul_i32 s92, s91, s93
	s_add_co_ci_u32 s93, s96, 0
	s_delay_alu instid0(SALU_CYCLE_1) | instskip(NEXT) | instid1(SALU_CYCLE_1)
	s_add_nc_u64 s[92:93], s[2:3], s[92:93]
	s_add_co_u32 s0, s90, s92
	s_cselect_b32 s2, -1, 0
	v_nop
	v_mul_hi_u32 v38, v22, s0
	s_cmp_lg_u32 s2, 0
	s_add_co_ci_u32 s2, s91, s93
	s_and_b64 s[90:91], s[0:1], s[78:79]
	v_mul_u64_e32 v[24:25], s[2:3], v[22:23]
	v_mul_u64_e32 v[16:17], s[90:91], v[26:27]
	;; [unrolled: 1-line block ×3, first 2 shown]
	s_delay_alu instid0(VALU_DEP_3) | instskip(NEXT) | instid1(VALU_DEP_1)
	v_add_nc_u64_e32 v[24:25], v[38:39], v[24:25]
	v_add_co_u32 v3, vcc_lo, v24, v16
	s_delay_alu instid0(VALU_DEP_2) | instskip(NEXT) | instid1(VALU_DEP_4)
	v_add_co_ci_u32_e32 v38, vcc_lo, v25, v17, vcc_lo
	v_add_co_ci_u32_e32 v37, vcc_lo, 0, v37, vcc_lo
	s_delay_alu instid0(VALU_DEP_1) | instskip(NEXT) | instid1(VALU_DEP_1)
	v_add_nc_u64_e32 v[16:17], v[38:39], v[36:37]
	v_mul_u64_e32 v[24:25], s[84:85], v[16:17]
	s_delay_alu instid0(VALU_DEP_1) | instskip(NEXT) | instid1(VALU_DEP_2)
	v_sub_nc_u32_e32 v3, v26, v25
	v_sub_co_u32 v19, vcc_lo, v22, v24
	s_delay_alu instid0(VALU_DEP_1) | instskip(NEXT) | instid1(VALU_DEP_3)
	v_sub_co_ci_u32_e64 v26, null, v26, v25, vcc_lo
	v_subrev_co_ci_u32_e64 v3, null, s85, v3, vcc_lo
	s_delay_alu instid0(VALU_DEP_3) | instskip(SKIP_1) | instid1(VALU_DEP_3)
	v_sub_co_u32 v22, s0, v19, s84
	v_add_nc_u64_e32 v[24:25], 1, v[16:17]
	v_subrev_co_ci_u32_e64 v3, null, 0, v3, s0
	s_delay_alu instid0(VALU_DEP_3) | instskip(SKIP_1) | instid1(VALU_DEP_3)
	v_cmp_le_u32_e32 vcc_lo, s84, v22
	v_cndmask_b32_e64 v22, 0, -1, vcc_lo
	v_cmp_le_u32_e32 vcc_lo, s85, v3
	v_cndmask_b32_e64 v23, 0, -1, vcc_lo
	;; [unrolled: 2-line block ×4, first 2 shown]
	v_cmp_eq_u32_e32 vcc_lo, s85, v3
	v_cndmask_b32_e32 v3, v23, v22, vcc_lo
	v_cmp_eq_u32_e32 vcc_lo, s85, v26
	v_add_nc_u64_e32 v[22:23], 2, v[16:17]
	v_cndmask_b32_e32 v19, v27, v19, vcc_lo
	s_delay_alu instid0(VALU_DEP_4) | instskip(NEXT) | instid1(VALU_DEP_2)
	v_cmp_ne_u32_e32 vcc_lo, 0, v3
                                        ; implicit-def: $vgpr26_vgpr27
	v_cmp_ne_u32_e64 s0, 0, v19
	s_delay_alu instid0(VALU_DEP_4) | instskip(NEXT) | instid1(VALU_DEP_1)
	v_dual_cndmask_b32 v3, v25, v23, vcc_lo :: v_dual_cndmask_b32 v19, v24, v22, vcc_lo
	v_cndmask_b32_e64 v3, v17, v3, s0
	s_delay_alu instid0(VALU_DEP_2) | instskip(NEXT) | instid1(VALU_DEP_2)
	v_dual_cndmask_b32 v16, v16, v19, s0 :: v_dual_mov_b32 v19, v18
	v_xor_b32_e32 v17, v3, v18
	s_delay_alu instid0(VALU_DEP_2) | instskip(NEXT) | instid1(VALU_DEP_1)
	v_xor_b32_e32 v16, v16, v18
	v_sub_nc_u64_e32 v[16:17], v[16:17], v[18:19]
.LBB27_33:                              ;   in Loop: Header=BB27_3 Depth=1
	s_and_not1_saveexec_b32 s0, s89
	s_cbranch_execz .LBB27_35
; %bb.34:                               ;   in Loop: Header=BB27_3 Depth=1
	v_rcp_iflag_f32_e32 v3, v21
	s_sub_co_i32 s2, 0, s48
	v_nop
	s_delay_alu instid0(TRANS32_DEP_1) | instskip(NEXT) | instid1(VALU_DEP_1)
	v_mul_f32_e32 v3, 0x4f7ffffe, v3
	v_cvt_u32_f32_e32 v3, v3
	s_delay_alu instid0(VALU_DEP_1) | instskip(NEXT) | instid1(VALU_DEP_1)
	v_mul_lo_u32 v16, s2, v3
	v_mul_hi_u32 v16, v3, v16
	s_delay_alu instid0(VALU_DEP_1) | instskip(NEXT) | instid1(VALU_DEP_1)
	v_add_nc_u32_e32 v3, v3, v16
	v_mul_hi_u32 v3, v26, v3
	s_delay_alu instid0(VALU_DEP_1) | instskip(NEXT) | instid1(VALU_DEP_1)
	v_mul_lo_u32 v16, v3, s48
	v_dual_add_nc_u32 v17, 1, v3 :: v_dual_sub_nc_u32 v16, v26, v16
	s_delay_alu instid0(VALU_DEP_1) | instskip(SKIP_1) | instid1(VALU_DEP_2)
	v_subrev_nc_u32_e32 v18, s48, v16
	v_cmp_le_u32_e32 vcc_lo, s48, v16
	v_dual_cndmask_b32 v16, v16, v18 :: v_dual_cndmask_b32 v3, v3, v17
	s_delay_alu instid0(VALU_DEP_1) | instskip(NEXT) | instid1(VALU_DEP_2)
	v_cmp_le_u32_e32 vcc_lo, s48, v16
	v_add_nc_u32_e32 v17, 1, v3
	s_delay_alu instid0(VALU_DEP_1)
	v_dual_cndmask_b32 v16, v3, v17 :: v_dual_mov_b32 v17, v2
.LBB27_35:                              ;   in Loop: Header=BB27_3 Depth=1
	s_or_b32 exec_lo, exec_lo, s0
	v_or_b32_e32 v3, s49, v29
                                        ; implicit-def: $vgpr18_vgpr19
	s_mov_b32 s0, exec_lo
	s_delay_alu instid0(VALU_DEP_1)
	v_cmpx_ne_u64_e32 0, v[2:3]
	s_xor_b32 s89, exec_lo, s0
	s_cbranch_execz .LBB27_37
; %bb.36:                               ;   in Loop: Header=BB27_3 Depth=1
	s_ashr_i32 s82, s49, 31
	v_dual_mov_b32 v21, v20 :: v_dual_mov_b32 v23, v2
	s_mov_b32 s83, s82
	v_mov_b32_e32 v37, v2
	s_add_nc_u64 s[84:85], s[48:49], s[82:83]
	s_delay_alu instid0(VALU_DEP_2)
	v_add_nc_u64_e32 v[18:19], v[28:29], v[20:21]
	s_xor_b64 s[84:85], s[84:85], s[82:83]
	v_mov_b32_e32 v27, v2
	s_cvt_f32_u32 s0, s84
	s_cvt_f32_u32 s2, s85
	s_sub_nc_u64 s[92:93], 0, s[84:85]
	s_delay_alu instid0(VALU_DEP_2) | instskip(NEXT) | instid1(SALU_CYCLE_1)
	v_xor_b32_e32 v22, v18, v20
	s_fmamk_f32 s0, s2, 0x4f800000, s0
	v_xor_b32_e32 v26, v19, v20
	v_xor_b32_e32 v20, s82, v20
	s_delay_alu instid0(SALU_CYCLE_1) | instskip(NEXT) | instid1(TRANS32_DEP_1)
	v_s_rcp_f32 s0, s0
	s_mul_f32 s0, s0, 0x5f7ffffc
	s_delay_alu instid0(SALU_CYCLE_3) | instskip(NEXT) | instid1(SALU_CYCLE_3)
	s_mul_f32 s2, s0, 0x2f800000
	s_trunc_f32 s2, s2
	s_delay_alu instid0(SALU_CYCLE_3) | instskip(SKIP_1) | instid1(SALU_CYCLE_2)
	s_fmamk_f32 s0, s2, 0xcf800000, s0
	s_cvt_u32_f32 s91, s2
	s_cvt_u32_f32 s90, s0
	s_delay_alu instid0(SALU_CYCLE_3) | instskip(NEXT) | instid1(SALU_CYCLE_1)
	s_mul_u64 s[94:95], s[92:93], s[90:91]
	s_mul_hi_u32 s97, s90, s95
	s_mul_i32 s96, s90, s95
	s_mul_hi_u32 s2, s90, s94
	s_mul_i32 s83, s91, s94
	s_add_nc_u64 s[96:97], s[2:3], s[96:97]
	s_mul_hi_u32 s0, s91, s94
	s_mul_hi_u32 s98, s91, s95
	s_add_co_u32 s2, s96, s83
	s_add_co_ci_u32 s2, s97, s0
	s_mul_i32 s94, s91, s95
	s_add_co_ci_u32 s95, s98, 0
	s_delay_alu instid0(SALU_CYCLE_1) | instskip(NEXT) | instid1(SALU_CYCLE_1)
	s_add_nc_u64 s[94:95], s[2:3], s[94:95]
	s_add_co_u32 s90, s90, s94
	s_cselect_b32 s0, -1, 0
	s_delay_alu instid0(SALU_CYCLE_1) | instskip(SKIP_1) | instid1(SALU_CYCLE_1)
	s_cmp_lg_u32 s0, 0
	s_add_co_ci_u32 s91, s91, s95
	s_mul_u64 s[92:93], s[92:93], s[90:91]
	s_delay_alu instid0(SALU_CYCLE_1)
	s_mul_hi_u32 s95, s90, s93
	s_mul_i32 s94, s90, s93
	s_mul_hi_u32 s2, s90, s92
	s_mul_i32 s83, s91, s92
	s_add_nc_u64 s[94:95], s[2:3], s[94:95]
	s_mul_hi_u32 s0, s91, s92
	s_mul_hi_u32 s96, s91, s93
	s_add_co_u32 s2, s94, s83
	s_add_co_ci_u32 s2, s95, s0
	s_mul_i32 s92, s91, s93
	s_add_co_ci_u32 s93, s96, 0
	s_delay_alu instid0(SALU_CYCLE_1) | instskip(NEXT) | instid1(SALU_CYCLE_1)
	s_add_nc_u64 s[92:93], s[2:3], s[92:93]
	s_add_co_u32 s0, s90, s92
	s_cselect_b32 s2, -1, 0
	v_nop
	v_mul_hi_u32 v36, v22, s0
	s_cmp_lg_u32 s2, 0
	s_add_co_ci_u32 s2, s91, s93
	s_and_b64 s[90:91], s[0:1], s[78:79]
	v_mul_u64_e32 v[24:25], s[2:3], v[22:23]
	v_mul_u64_e32 v[18:19], s[90:91], v[26:27]
	;; [unrolled: 1-line block ×3, first 2 shown]
	s_delay_alu instid0(VALU_DEP_3) | instskip(NEXT) | instid1(VALU_DEP_1)
	v_add_nc_u64_e32 v[24:25], v[36:37], v[24:25]
	v_add_co_u32 v3, vcc_lo, v24, v18
	s_delay_alu instid0(VALU_DEP_2) | instskip(NEXT) | instid1(VALU_DEP_4)
	v_add_co_ci_u32_e32 v36, vcc_lo, v25, v19, vcc_lo
	v_add_co_ci_u32_e32 v29, vcc_lo, 0, v29, vcc_lo
	s_delay_alu instid0(VALU_DEP_1) | instskip(NEXT) | instid1(VALU_DEP_1)
	v_add_nc_u64_e32 v[18:19], v[36:37], v[28:29]
                                        ; implicit-def: $vgpr28_vgpr29
	v_mul_u64_e32 v[24:25], s[84:85], v[18:19]
	s_delay_alu instid0(VALU_DEP_1) | instskip(NEXT) | instid1(VALU_DEP_2)
	v_sub_nc_u32_e32 v3, v26, v25
	v_sub_co_u32 v21, vcc_lo, v22, v24
	s_delay_alu instid0(VALU_DEP_1) | instskip(NEXT) | instid1(VALU_DEP_3)
	v_sub_co_ci_u32_e64 v26, null, v26, v25, vcc_lo
	v_subrev_co_ci_u32_e64 v3, null, s85, v3, vcc_lo
	s_delay_alu instid0(VALU_DEP_3) | instskip(SKIP_1) | instid1(VALU_DEP_3)
	v_sub_co_u32 v22, s0, v21, s84
	v_add_nc_u64_e32 v[24:25], 1, v[18:19]
	v_subrev_co_ci_u32_e64 v3, null, 0, v3, s0
	s_delay_alu instid0(VALU_DEP_3) | instskip(SKIP_1) | instid1(VALU_DEP_3)
	v_cmp_le_u32_e32 vcc_lo, s84, v22
	v_cndmask_b32_e64 v22, 0, -1, vcc_lo
	v_cmp_le_u32_e32 vcc_lo, s85, v3
	v_cndmask_b32_e64 v23, 0, -1, vcc_lo
	;; [unrolled: 2-line block ×4, first 2 shown]
	v_cmp_eq_u32_e32 vcc_lo, s85, v3
	v_cndmask_b32_e32 v3, v23, v22, vcc_lo
	v_cmp_eq_u32_e32 vcc_lo, s85, v26
	v_add_nc_u64_e32 v[22:23], 2, v[18:19]
	v_cndmask_b32_e32 v21, v27, v21, vcc_lo
	s_delay_alu instid0(VALU_DEP_4) | instskip(NEXT) | instid1(VALU_DEP_2)
	v_cmp_ne_u32_e32 vcc_lo, 0, v3
	v_cmp_ne_u32_e64 s0, 0, v21
	s_delay_alu instid0(VALU_DEP_4) | instskip(NEXT) | instid1(VALU_DEP_1)
	v_dual_cndmask_b32 v3, v25, v23, vcc_lo :: v_dual_cndmask_b32 v21, v24, v22, vcc_lo
	v_dual_cndmask_b32 v3, v19, v3, s0 :: v_dual_cndmask_b32 v18, v18, v21, s0
	s_delay_alu instid0(VALU_DEP_1) | instskip(NEXT) | instid1(VALU_DEP_2)
	v_dual_mov_b32 v21, v20 :: v_dual_bitop2_b32 v19, v3, v20 bitop3:0x14
	v_xor_b32_e32 v18, v18, v20
	s_delay_alu instid0(VALU_DEP_1)
	v_sub_nc_u64_e32 v[18:19], v[18:19], v[20:21]
                                        ; implicit-def: $vgpr21
.LBB27_37:                              ;   in Loop: Header=BB27_3 Depth=1
	s_and_not1_saveexec_b32 s0, s89
	s_cbranch_execz .LBB27_39
; %bb.38:                               ;   in Loop: Header=BB27_3 Depth=1
	v_rcp_iflag_f32_e32 v3, v21
	s_sub_co_i32 s2, 0, s48
	v_nop
	s_delay_alu instid0(TRANS32_DEP_1) | instskip(NEXT) | instid1(VALU_DEP_1)
	v_mul_f32_e32 v3, 0x4f7ffffe, v3
	v_cvt_u32_f32_e32 v3, v3
	s_delay_alu instid0(VALU_DEP_1) | instskip(NEXT) | instid1(VALU_DEP_1)
	v_mul_lo_u32 v18, s2, v3
	v_mul_hi_u32 v18, v3, v18
	s_delay_alu instid0(VALU_DEP_1) | instskip(NEXT) | instid1(VALU_DEP_1)
	v_add_nc_u32_e32 v3, v3, v18
	v_mul_hi_u32 v3, v28, v3
	s_delay_alu instid0(VALU_DEP_1) | instskip(NEXT) | instid1(VALU_DEP_1)
	v_mul_lo_u32 v18, v3, s48
	v_dual_add_nc_u32 v19, 1, v3 :: v_dual_sub_nc_u32 v18, v28, v18
	s_delay_alu instid0(VALU_DEP_1) | instskip(SKIP_1) | instid1(VALU_DEP_2)
	v_subrev_nc_u32_e32 v20, s48, v18
	v_cmp_le_u32_e32 vcc_lo, s48, v18
	v_dual_cndmask_b32 v18, v18, v20 :: v_dual_cndmask_b32 v3, v3, v19
	s_delay_alu instid0(VALU_DEP_1) | instskip(NEXT) | instid1(VALU_DEP_2)
	v_cmp_le_u32_e32 vcc_lo, s48, v18
	v_add_nc_u32_e32 v19, 1, v3
	s_delay_alu instid0(VALU_DEP_1)
	v_dual_cndmask_b32 v18, v3, v19 :: v_dual_mov_b32 v19, v2
.LBB27_39:                              ;   in Loop: Header=BB27_3 Depth=1
	s_or_b32 exec_lo, exec_lo, s0
	v_or_b32_e32 v3, s53, v1
                                        ; implicit-def: $vgpr20_vgpr21
	s_mov_b32 s0, exec_lo
	s_delay_alu instid0(VALU_DEP_1)
	v_cmpx_ne_u64_e32 0, v[2:3]
	s_xor_b32 s89, exec_lo, s0
	s_cbranch_execz .LBB27_41
; %bb.40:                               ;   in Loop: Header=BB27_3 Depth=1
	s_ashr_i32 s82, s53, 31
	v_dual_mov_b32 v25, v2 :: v_dual_ashrrev_i32 v20, 31, v1
	s_mov_b32 s83, s82
	s_delay_alu instid0(SALU_CYCLE_1) | instskip(NEXT) | instid1(VALU_DEP_1)
	s_add_nc_u64 s[84:85], s[52:53], s[82:83]
	v_mov_b32_e32 v21, v20
	s_xor_b64 s[84:85], s[84:85], s[82:83]
	s_delay_alu instid0(SALU_CYCLE_1)
	s_cvt_f32_u32 s0, s84
	s_cvt_f32_u32 s2, s85
	s_sub_nc_u64 s[92:93], 0, s[84:85]
	v_add_nc_u64_e32 v[22:23], v[0:1], v[20:21]
	v_mov_b32_e32 v29, v2
	s_fmamk_f32 s0, s2, 0x4f800000, s0
	s_delay_alu instid0(SALU_CYCLE_3) | instskip(NEXT) | instid1(VALU_DEP_2)
	v_s_rcp_f32 s0, s0
	v_xor_b32_e32 v24, v22, v20
	s_delay_alu instid0(VALU_DEP_3) | instskip(SKIP_1) | instid1(TRANS32_DEP_1)
	v_dual_mov_b32 v39, v2 :: v_dual_bitop2_b32 v28, v23, v20 bitop3:0x14
	v_xor_b32_e32 v20, s82, v20
	s_mul_f32 s0, s0, 0x5f7ffffc
	s_delay_alu instid0(SALU_CYCLE_3) | instskip(NEXT) | instid1(SALU_CYCLE_3)
	s_mul_f32 s2, s0, 0x2f800000
	s_trunc_f32 s2, s2
	s_delay_alu instid0(SALU_CYCLE_3) | instskip(SKIP_1) | instid1(SALU_CYCLE_2)
	s_fmamk_f32 s0, s2, 0xcf800000, s0
	s_cvt_u32_f32 s91, s2
	s_cvt_u32_f32 s90, s0
	s_delay_alu instid0(SALU_CYCLE_3) | instskip(NEXT) | instid1(SALU_CYCLE_1)
	s_mul_u64 s[94:95], s[92:93], s[90:91]
	s_mul_hi_u32 s97, s90, s95
	s_mul_i32 s96, s90, s95
	s_mul_hi_u32 s2, s90, s94
	s_mul_i32 s83, s91, s94
	s_add_nc_u64 s[96:97], s[2:3], s[96:97]
	s_mul_hi_u32 s0, s91, s94
	s_mul_hi_u32 s98, s91, s95
	s_add_co_u32 s2, s96, s83
	s_add_co_ci_u32 s2, s97, s0
	s_mul_i32 s94, s91, s95
	s_add_co_ci_u32 s95, s98, 0
	s_delay_alu instid0(SALU_CYCLE_1) | instskip(NEXT) | instid1(SALU_CYCLE_1)
	s_add_nc_u64 s[94:95], s[2:3], s[94:95]
	s_add_co_u32 s90, s90, s94
	s_cselect_b32 s0, -1, 0
	s_delay_alu instid0(SALU_CYCLE_1) | instskip(SKIP_1) | instid1(SALU_CYCLE_1)
	s_cmp_lg_u32 s0, 0
	s_add_co_ci_u32 s91, s91, s95
	s_mul_u64 s[92:93], s[92:93], s[90:91]
	s_delay_alu instid0(SALU_CYCLE_1)
	s_mul_hi_u32 s95, s90, s93
	s_mul_i32 s94, s90, s93
	s_mul_hi_u32 s2, s90, s92
	s_mul_i32 s83, s91, s92
	s_add_nc_u64 s[94:95], s[2:3], s[94:95]
	s_mul_hi_u32 s0, s91, s92
	s_mul_hi_u32 s96, s91, s93
	s_add_co_u32 s2, s94, s83
	s_add_co_ci_u32 s2, s95, s0
	s_mul_i32 s92, s91, s93
	s_add_co_ci_u32 s93, s96, 0
	s_delay_alu instid0(SALU_CYCLE_1) | instskip(NEXT) | instid1(SALU_CYCLE_1)
	s_add_nc_u64 s[92:93], s[2:3], s[92:93]
	s_add_co_u32 s0, s90, s92
	s_cselect_b32 s2, -1, 0
	v_mul_hi_u32 v38, v24, s0
	s_cmp_lg_u32 s2, 0
	s_add_co_ci_u32 s2, s91, s93
	s_and_b64 s[90:91], s[0:1], s[78:79]
	v_mul_u64_e32 v[26:27], s[2:3], v[24:25]
	v_mul_u64_e32 v[22:23], s[90:91], v[28:29]
	;; [unrolled: 1-line block ×3, first 2 shown]
	s_delay_alu instid0(VALU_DEP_3) | instskip(NEXT) | instid1(VALU_DEP_1)
	v_add_nc_u64_e32 v[26:27], v[38:39], v[26:27]
	v_add_co_u32 v3, vcc_lo, v26, v22
	s_delay_alu instid0(VALU_DEP_2) | instskip(NEXT) | instid1(VALU_DEP_4)
	v_add_co_ci_u32_e32 v38, vcc_lo, v27, v23, vcc_lo
	v_add_co_ci_u32_e32 v37, vcc_lo, 0, v37, vcc_lo
	s_delay_alu instid0(VALU_DEP_1) | instskip(NEXT) | instid1(VALU_DEP_1)
	v_add_nc_u64_e32 v[22:23], v[38:39], v[36:37]
	v_mul_u64_e32 v[26:27], s[84:85], v[22:23]
	s_delay_alu instid0(VALU_DEP_1) | instskip(NEXT) | instid1(VALU_DEP_2)
	v_sub_nc_u32_e32 v3, v28, v27
	v_sub_co_u32 v21, vcc_lo, v24, v26
	s_delay_alu instid0(VALU_DEP_1) | instskip(NEXT) | instid1(VALU_DEP_3)
	v_sub_co_ci_u32_e64 v28, null, v28, v27, vcc_lo
	v_subrev_co_ci_u32_e64 v3, null, s85, v3, vcc_lo
	s_delay_alu instid0(VALU_DEP_3) | instskip(SKIP_1) | instid1(VALU_DEP_3)
	v_sub_co_u32 v24, s0, v21, s84
	v_add_nc_u64_e32 v[26:27], 1, v[22:23]
	v_subrev_co_ci_u32_e64 v3, null, 0, v3, s0
	s_delay_alu instid0(VALU_DEP_3) | instskip(SKIP_1) | instid1(VALU_DEP_3)
	v_cmp_le_u32_e32 vcc_lo, s84, v24
	v_cndmask_b32_e64 v24, 0, -1, vcc_lo
	v_cmp_le_u32_e32 vcc_lo, s85, v3
	v_cndmask_b32_e64 v25, 0, -1, vcc_lo
	;; [unrolled: 2-line block ×4, first 2 shown]
	v_cmp_eq_u32_e32 vcc_lo, s85, v3
	v_cndmask_b32_e32 v3, v25, v24, vcc_lo
	v_cmp_eq_u32_e32 vcc_lo, s85, v28
	v_add_nc_u64_e32 v[24:25], 2, v[22:23]
	v_cndmask_b32_e32 v21, v29, v21, vcc_lo
	s_delay_alu instid0(VALU_DEP_4) | instskip(NEXT) | instid1(VALU_DEP_2)
	v_cmp_ne_u32_e32 vcc_lo, 0, v3
	v_cmp_ne_u32_e64 s0, 0, v21
	s_delay_alu instid0(VALU_DEP_4) | instskip(NEXT) | instid1(VALU_DEP_1)
	v_dual_cndmask_b32 v3, v27, v25, vcc_lo :: v_dual_cndmask_b32 v21, v26, v24, vcc_lo
	v_dual_cndmask_b32 v22, v22, v21, s0 :: v_dual_mov_b32 v21, v20
	s_delay_alu instid0(VALU_DEP_1) | instskip(NEXT) | instid1(VALU_DEP_1)
	v_dual_cndmask_b32 v3, v23, v3, s0 :: v_dual_bitop2_b32 v22, v22, v20 bitop3:0x14
	v_xor_b32_e32 v23, v3, v20
	s_delay_alu instid0(VALU_DEP_1)
	v_sub_nc_u64_e32 v[20:21], v[22:23], v[20:21]
.LBB27_41:                              ;   in Loop: Header=BB27_3 Depth=1
	s_and_not1_saveexec_b32 s0, s89
	s_cbranch_execz .LBB27_43
; %bb.42:                               ;   in Loop: Header=BB27_3 Depth=1
	v_cvt_f32_u32_e32 v3, s52
	s_sub_co_i32 s2, 0, s52
	s_delay_alu instid0(VALU_DEP_1) | instskip(SKIP_1) | instid1(TRANS32_DEP_1)
	v_rcp_iflag_f32_e32 v3, v3
	v_nop
	v_mul_f32_e32 v3, 0x4f7ffffe, v3
	s_delay_alu instid0(VALU_DEP_1) | instskip(NEXT) | instid1(VALU_DEP_1)
	v_cvt_u32_f32_e32 v3, v3
	v_mul_lo_u32 v20, s2, v3
	s_delay_alu instid0(VALU_DEP_1) | instskip(NEXT) | instid1(VALU_DEP_1)
	v_mul_hi_u32 v20, v3, v20
	v_add_nc_u32_e32 v3, v3, v20
	s_delay_alu instid0(VALU_DEP_1) | instskip(NEXT) | instid1(VALU_DEP_1)
	v_mul_hi_u32 v3, v0, v3
	v_mul_lo_u32 v20, v3, s52
	s_delay_alu instid0(VALU_DEP_1) | instskip(NEXT) | instid1(VALU_DEP_1)
	v_dual_add_nc_u32 v21, 1, v3 :: v_dual_sub_nc_u32 v20, v0, v20
	v_subrev_nc_u32_e32 v22, s52, v20
	v_cmp_le_u32_e32 vcc_lo, s52, v20
	s_delay_alu instid0(VALU_DEP_2) | instskip(NEXT) | instid1(VALU_DEP_1)
	v_dual_cndmask_b32 v20, v20, v22 :: v_dual_cndmask_b32 v3, v3, v21
	v_cmp_le_u32_e32 vcc_lo, s52, v20
	s_delay_alu instid0(VALU_DEP_2) | instskip(NEXT) | instid1(VALU_DEP_1)
	v_add_nc_u32_e32 v21, 1, v3
	v_dual_cndmask_b32 v20, v3, v21 :: v_dual_mov_b32 v21, v2
.LBB27_43:                              ;   in Loop: Header=BB27_3 Depth=1
	s_or_b32 exec_lo, exec_lo, s0
	s_delay_alu instid0(VALU_DEP_1) | instskip(SKIP_1) | instid1(VALU_DEP_1)
	v_mad_nc_u64_u32 v[22:23], s70, v20, v[0:1]
	s_mov_b32 s0, exec_lo
	v_mad_u32 v3, s71, v20, v23
	s_delay_alu instid0(VALU_DEP_1) | instskip(SKIP_2) | instid1(VALU_DEP_3)
	v_mad_u32 v23, s70, v21, v3
	v_mul_u64_e32 v[20:21], s[20:21], v[20:21]
	v_or_b32_e32 v3, s55, v1
	v_mul_u64_e32 v[22:23], s[22:23], v[22:23]
	s_delay_alu instid0(VALU_DEP_3) | instskip(NEXT) | instid1(VALU_DEP_1)
	v_lshl_add_u64 v[20:21], v[20:21], 1, s[50:51]
	v_lshl_add_u64 v[20:21], v[22:23], 1, v[20:21]
	global_load_u16 v26, v[20:21], off
                                        ; implicit-def: $vgpr20_vgpr21
	s_wait_xcnt 0x0
	v_cmpx_ne_u64_e32 0, v[2:3]
	s_xor_b32 s89, exec_lo, s0
	s_cbranch_execz .LBB27_45
; %bb.44:                               ;   in Loop: Header=BB27_3 Depth=1
	s_ashr_i32 s82, s55, 31
	v_dual_mov_b32 v25, v2 :: v_dual_ashrrev_i32 v20, 31, v1
	s_mov_b32 s83, s82
	s_delay_alu instid0(SALU_CYCLE_1) | instskip(NEXT) | instid1(VALU_DEP_1)
	s_add_nc_u64 s[84:85], s[54:55], s[82:83]
	v_mov_b32_e32 v21, v20
	s_xor_b64 s[84:85], s[84:85], s[82:83]
	s_delay_alu instid0(SALU_CYCLE_1)
	s_cvt_f32_u32 s0, s84
	s_cvt_f32_u32 s2, s85
	s_sub_nc_u64 s[92:93], 0, s[84:85]
	v_add_nc_u64_e32 v[22:23], v[0:1], v[20:21]
	v_mov_b32_e32 v37, v2
	s_fmamk_f32 s0, s2, 0x4f800000, s0
	s_delay_alu instid0(SALU_CYCLE_3) | instskip(NEXT) | instid1(VALU_DEP_2)
	v_s_rcp_f32 s0, s0
	v_xor_b32_e32 v24, v22, v20
	s_delay_alu instid0(VALU_DEP_3) | instskip(NEXT) | instid1(TRANS32_DEP_1)
	v_dual_mov_b32 v41, v2 :: v_dual_bitop2_b32 v36, v23, v20 bitop3:0x14
	s_mul_f32 s0, s0, 0x5f7ffffc
	s_delay_alu instid0(SALU_CYCLE_3) | instskip(NEXT) | instid1(SALU_CYCLE_3)
	s_mul_f32 s2, s0, 0x2f800000
	s_trunc_f32 s2, s2
	s_delay_alu instid0(SALU_CYCLE_3) | instskip(SKIP_1) | instid1(SALU_CYCLE_2)
	s_fmamk_f32 s0, s2, 0xcf800000, s0
	s_cvt_u32_f32 s91, s2
	s_cvt_u32_f32 s90, s0
	s_delay_alu instid0(SALU_CYCLE_3) | instskip(NEXT) | instid1(SALU_CYCLE_1)
	s_mul_u64 s[94:95], s[92:93], s[90:91]
	s_mul_hi_u32 s97, s90, s95
	s_mul_i32 s96, s90, s95
	s_mul_hi_u32 s2, s90, s94
	s_mul_i32 s83, s91, s94
	s_add_nc_u64 s[96:97], s[2:3], s[96:97]
	s_mul_hi_u32 s0, s91, s94
	s_mul_hi_u32 s98, s91, s95
	s_add_co_u32 s2, s96, s83
	s_add_co_ci_u32 s2, s97, s0
	s_mul_i32 s94, s91, s95
	s_add_co_ci_u32 s95, s98, 0
	s_delay_alu instid0(SALU_CYCLE_1) | instskip(NEXT) | instid1(SALU_CYCLE_1)
	s_add_nc_u64 s[94:95], s[2:3], s[94:95]
	s_add_co_u32 s90, s90, s94
	s_cselect_b32 s0, -1, 0
	s_delay_alu instid0(SALU_CYCLE_1) | instskip(SKIP_1) | instid1(SALU_CYCLE_1)
	s_cmp_lg_u32 s0, 0
	s_add_co_ci_u32 s91, s91, s95
	s_mul_u64 s[92:93], s[92:93], s[90:91]
	s_delay_alu instid0(SALU_CYCLE_1)
	s_mul_hi_u32 s95, s90, s93
	s_mul_i32 s94, s90, s93
	s_mul_hi_u32 s2, s90, s92
	s_mul_i32 s83, s91, s92
	s_add_nc_u64 s[94:95], s[2:3], s[94:95]
	s_mul_hi_u32 s0, s91, s92
	s_mul_hi_u32 s96, s91, s93
	s_add_co_u32 s2, s94, s83
	s_add_co_ci_u32 s2, s95, s0
	s_mul_i32 s92, s91, s93
	s_add_co_ci_u32 s93, s96, 0
	s_delay_alu instid0(SALU_CYCLE_1) | instskip(NEXT) | instid1(SALU_CYCLE_1)
	s_add_nc_u64 s[92:93], s[2:3], s[92:93]
	s_add_co_u32 s0, s90, s92
	s_cselect_b32 s2, -1, 0
	v_mul_hi_u32 v40, v24, s0
	s_cmp_lg_u32 s2, 0
	s_add_co_ci_u32 s2, s91, s93
	s_and_b64 s[90:91], s[0:1], s[78:79]
	v_mul_u64_e32 v[28:29], s[2:3], v[24:25]
	v_mul_u64_e32 v[22:23], s[90:91], v[36:37]
	;; [unrolled: 1-line block ×3, first 2 shown]
	s_delay_alu instid0(VALU_DEP_3) | instskip(NEXT) | instid1(VALU_DEP_1)
	v_add_nc_u64_e32 v[28:29], v[40:41], v[28:29]
	v_add_co_u32 v3, vcc_lo, v28, v22
	s_delay_alu instid0(VALU_DEP_2) | instskip(NEXT) | instid1(VALU_DEP_4)
	v_add_co_ci_u32_e32 v40, vcc_lo, v29, v23, vcc_lo
	v_add_co_ci_u32_e32 v39, vcc_lo, 0, v39, vcc_lo
	s_delay_alu instid0(VALU_DEP_1) | instskip(NEXT) | instid1(VALU_DEP_1)
	v_add_nc_u64_e32 v[22:23], v[40:41], v[38:39]
	v_mul_u64_e32 v[28:29], s[84:85], v[22:23]
	s_delay_alu instid0(VALU_DEP_1) | instskip(NEXT) | instid1(VALU_DEP_2)
	v_sub_nc_u32_e32 v3, v36, v29
	v_sub_co_u32 v21, vcc_lo, v24, v28
	s_delay_alu instid0(VALU_DEP_1) | instskip(NEXT) | instid1(VALU_DEP_3)
	v_sub_co_ci_u32_e64 v27, null, v36, v29, vcc_lo
	v_subrev_co_ci_u32_e64 v3, null, s85, v3, vcc_lo
	s_delay_alu instid0(VALU_DEP_3) | instskip(SKIP_1) | instid1(VALU_DEP_3)
	v_sub_co_u32 v24, s0, v21, s84
	v_add_nc_u64_e32 v[28:29], 1, v[22:23]
	v_subrev_co_ci_u32_e64 v3, null, 0, v3, s0
	s_delay_alu instid0(VALU_DEP_3) | instskip(SKIP_1) | instid1(VALU_DEP_3)
	v_cmp_le_u32_e32 vcc_lo, s84, v24
	v_cndmask_b32_e64 v24, 0, -1, vcc_lo
	v_cmp_le_u32_e32 vcc_lo, s85, v3
	v_cndmask_b32_e64 v25, 0, -1, vcc_lo
	;; [unrolled: 2-line block ×4, first 2 shown]
	v_cmp_eq_u32_e32 vcc_lo, s85, v3
	v_cndmask_b32_e32 v3, v25, v24, vcc_lo
	v_cmp_eq_u32_e32 vcc_lo, s85, v27
	v_add_nc_u64_e32 v[24:25], 2, v[22:23]
	v_cndmask_b32_e32 v21, v35, v21, vcc_lo
	s_delay_alu instid0(VALU_DEP_4) | instskip(NEXT) | instid1(VALU_DEP_2)
	v_cmp_ne_u32_e32 vcc_lo, 0, v3
	v_cmp_ne_u32_e64 s0, 0, v21
	s_delay_alu instid0(VALU_DEP_4) | instskip(NEXT) | instid1(VALU_DEP_1)
	v_dual_cndmask_b32 v3, v29, v25, vcc_lo :: v_dual_cndmask_b32 v21, v28, v24, vcc_lo
	v_dual_cndmask_b32 v3, v23, v3, s0 :: v_dual_bitop2_b32 v20, s82, v20 bitop3:0x14
	s_delay_alu instid0(VALU_DEP_1) | instskip(NEXT) | instid1(VALU_DEP_2)
	v_dual_cndmask_b32 v22, v22, v21, s0 :: v_dual_mov_b32 v21, v20
	v_xor_b32_e32 v23, v3, v20
	s_delay_alu instid0(VALU_DEP_2) | instskip(NEXT) | instid1(VALU_DEP_1)
	v_xor_b32_e32 v22, v22, v20
	v_sub_nc_u64_e32 v[20:21], v[22:23], v[20:21]
.LBB27_45:                              ;   in Loop: Header=BB27_3 Depth=1
	s_and_not1_saveexec_b32 s0, s89
	s_cbranch_execz .LBB27_47
; %bb.46:                               ;   in Loop: Header=BB27_3 Depth=1
	v_cvt_f32_u32_e32 v3, s54
	s_sub_co_i32 s2, 0, s54
	s_delay_alu instid0(VALU_DEP_1) | instskip(SKIP_1) | instid1(TRANS32_DEP_1)
	v_rcp_iflag_f32_e32 v3, v3
	v_nop
	v_mul_f32_e32 v3, 0x4f7ffffe, v3
	s_delay_alu instid0(VALU_DEP_1) | instskip(NEXT) | instid1(VALU_DEP_1)
	v_cvt_u32_f32_e32 v3, v3
	v_mul_lo_u32 v20, s2, v3
	s_delay_alu instid0(VALU_DEP_1) | instskip(NEXT) | instid1(VALU_DEP_1)
	v_mul_hi_u32 v20, v3, v20
	v_add_nc_u32_e32 v3, v3, v20
	s_delay_alu instid0(VALU_DEP_1) | instskip(NEXT) | instid1(VALU_DEP_1)
	v_mul_hi_u32 v3, v0, v3
	v_mul_lo_u32 v20, v3, s54
	s_delay_alu instid0(VALU_DEP_1) | instskip(NEXT) | instid1(VALU_DEP_1)
	v_dual_add_nc_u32 v21, 1, v3 :: v_dual_sub_nc_u32 v20, v0, v20
	v_subrev_nc_u32_e32 v22, s54, v20
	v_cmp_le_u32_e32 vcc_lo, s54, v20
	s_delay_alu instid0(VALU_DEP_2) | instskip(NEXT) | instid1(VALU_DEP_1)
	v_dual_cndmask_b32 v20, v20, v22 :: v_dual_cndmask_b32 v3, v3, v21
	v_cmp_le_u32_e32 vcc_lo, s54, v20
	s_delay_alu instid0(VALU_DEP_2) | instskip(NEXT) | instid1(VALU_DEP_1)
	v_add_nc_u32_e32 v21, 1, v3
	v_dual_cndmask_b32 v20, v3, v21 :: v_dual_mov_b32 v21, v2
.LBB27_47:                              ;   in Loop: Header=BB27_3 Depth=1
	s_or_b32 exec_lo, exec_lo, s0
	s_delay_alu instid0(VALU_DEP_1) | instskip(SKIP_1) | instid1(VALU_DEP_1)
	v_mad_nc_u64_u32 v[22:23], s72, v20, v[0:1]
	s_mov_b32 s0, exec_lo
	v_mad_u32 v3, s73, v20, v23
	s_delay_alu instid0(VALU_DEP_1) | instskip(SKIP_2) | instid1(VALU_DEP_3)
	v_mad_u32 v23, s72, v21, v3
	v_mul_u64_e32 v[20:21], s[24:25], v[20:21]
	v_or_b32_e32 v3, s59, v1
	v_mul_u64_e32 v[22:23], s[26:27], v[22:23]
	s_delay_alu instid0(VALU_DEP_3) | instskip(NEXT) | instid1(VALU_DEP_1)
	v_lshl_add_u64 v[20:21], v[20:21], 1, s[62:63]
	v_lshl_add_u64 v[20:21], v[22:23], 1, v[20:21]
	global_load_u16 v27, v[20:21], off
                                        ; implicit-def: $vgpr20_vgpr21
	s_wait_xcnt 0x0
	v_cmpx_ne_u64_e32 0, v[2:3]
	s_xor_b32 s89, exec_lo, s0
	s_cbranch_execnz .LBB27_60
; %bb.48:                               ;   in Loop: Header=BB27_3 Depth=1
	s_and_not1_saveexec_b32 s0, s89
	s_cbranch_execnz .LBB27_61
.LBB27_49:                              ;   in Loop: Header=BB27_3 Depth=1
	s_or_b32 exec_lo, exec_lo, s0
	s_delay_alu instid0(SALU_CYCLE_1)
	s_and_not1_b32 vcc_lo, exec_lo, s1
	s_cbranch_vccnz .LBB27_62
.LBB27_50:                              ;   in Loop: Header=BB27_3 Depth=1
	v_or_b32_e32 v3, s61, v1
                                        ; implicit-def: $vgpr22_vgpr23
	s_mov_b32 s0, exec_lo
	s_delay_alu instid0(VALU_DEP_1)
	v_cmpx_ne_u64_e32 0, v[2:3]
	s_xor_b32 s89, exec_lo, s0
	s_cbranch_execz .LBB27_52
; %bb.51:                               ;   in Loop: Header=BB27_3 Depth=1
	s_ashr_i32 s82, s61, 31
	v_dual_mov_b32 v29, v2 :: v_dual_ashrrev_i32 v22, 31, v1
	s_mov_b32 s83, s82
	v_mov_b32_e32 v43, v2
	s_add_nc_u64 s[84:85], s[60:61], s[82:83]
	s_delay_alu instid0(VALU_DEP_2) | instskip(SKIP_1) | instid1(SALU_CYCLE_1)
	v_mov_b32_e32 v23, v22
	s_xor_b64 s[84:85], s[84:85], s[82:83]
	s_cvt_f32_u32 s0, s84
	s_cvt_f32_u32 s2, s85
	s_sub_nc_u64 s[92:93], 0, s[84:85]
	v_add_nc_u64_e32 v[24:25], v[0:1], v[22:23]
	v_mov_b32_e32 v39, v2
	s_fmamk_f32 s0, s2, 0x4f800000, s0
	s_delay_alu instid0(SALU_CYCLE_3) | instskip(NEXT) | instid1(VALU_DEP_2)
	v_s_rcp_f32 s0, s0
	v_xor_b32_e32 v28, v24, v22
	s_delay_alu instid0(VALU_DEP_3) | instskip(NEXT) | instid1(TRANS32_DEP_1)
	v_xor_b32_e32 v38, v25, v22
	s_mul_f32 s0, s0, 0x5f7ffffc
	s_delay_alu instid0(SALU_CYCLE_3) | instskip(NEXT) | instid1(SALU_CYCLE_3)
	s_mul_f32 s2, s0, 0x2f800000
	s_trunc_f32 s2, s2
	s_delay_alu instid0(SALU_CYCLE_3) | instskip(SKIP_1) | instid1(SALU_CYCLE_2)
	s_fmamk_f32 s0, s2, 0xcf800000, s0
	s_cvt_u32_f32 s91, s2
	s_cvt_u32_f32 s90, s0
	s_delay_alu instid0(SALU_CYCLE_3) | instskip(NEXT) | instid1(SALU_CYCLE_1)
	s_mul_u64 s[94:95], s[92:93], s[90:91]
	s_mul_hi_u32 s97, s90, s95
	s_mul_i32 s96, s90, s95
	s_mul_hi_u32 s2, s90, s94
	s_mul_i32 s83, s91, s94
	s_add_nc_u64 s[96:97], s[2:3], s[96:97]
	s_mul_hi_u32 s0, s91, s94
	s_mul_hi_u32 s98, s91, s95
	s_add_co_u32 s2, s96, s83
	s_add_co_ci_u32 s2, s97, s0
	s_mul_i32 s94, s91, s95
	s_add_co_ci_u32 s95, s98, 0
	s_delay_alu instid0(SALU_CYCLE_1) | instskip(NEXT) | instid1(SALU_CYCLE_1)
	s_add_nc_u64 s[94:95], s[2:3], s[94:95]
	s_add_co_u32 s90, s90, s94
	s_cselect_b32 s0, -1, 0
	s_delay_alu instid0(SALU_CYCLE_1) | instskip(SKIP_1) | instid1(SALU_CYCLE_1)
	s_cmp_lg_u32 s0, 0
	s_add_co_ci_u32 s91, s91, s95
	s_mul_u64 s[92:93], s[92:93], s[90:91]
	s_delay_alu instid0(SALU_CYCLE_1)
	s_mul_hi_u32 s95, s90, s93
	s_mul_i32 s94, s90, s93
	s_mul_hi_u32 s2, s90, s92
	s_mul_i32 s83, s91, s92
	s_add_nc_u64 s[94:95], s[2:3], s[94:95]
	s_mul_hi_u32 s0, s91, s92
	s_mul_hi_u32 s96, s91, s93
	s_add_co_u32 s2, s94, s83
	s_add_co_ci_u32 s2, s95, s0
	s_mul_i32 s92, s91, s93
	s_add_co_ci_u32 s93, s96, 0
	s_delay_alu instid0(SALU_CYCLE_1) | instskip(NEXT) | instid1(SALU_CYCLE_1)
	s_add_nc_u64 s[92:93], s[2:3], s[92:93]
	s_add_co_u32 s0, s90, s92
	s_cselect_b32 s2, -1, 0
	v_mul_hi_u32 v42, v28, s0
	s_cmp_lg_u32 s2, 0
	s_add_co_ci_u32 s2, s91, s93
	s_and_b64 s[90:91], s[0:1], s[78:79]
	v_mul_u64_e32 v[36:37], s[2:3], v[28:29]
	v_mul_u64_e32 v[24:25], s[90:91], v[38:39]
	v_mul_u64_e32 v[40:41], s[2:3], v[38:39]
	s_delay_alu instid0(VALU_DEP_3) | instskip(NEXT) | instid1(VALU_DEP_1)
	v_add_nc_u64_e32 v[36:37], v[42:43], v[36:37]
	v_add_co_u32 v3, vcc_lo, v36, v24
	s_delay_alu instid0(VALU_DEP_2) | instskip(NEXT) | instid1(VALU_DEP_4)
	v_add_co_ci_u32_e32 v42, vcc_lo, v37, v25, vcc_lo
	v_add_co_ci_u32_e32 v41, vcc_lo, 0, v41, vcc_lo
	s_delay_alu instid0(VALU_DEP_1) | instskip(NEXT) | instid1(VALU_DEP_1)
	v_add_nc_u64_e32 v[24:25], v[42:43], v[40:41]
	v_mul_u64_e32 v[36:37], s[84:85], v[24:25]
	s_delay_alu instid0(VALU_DEP_1) | instskip(NEXT) | instid1(VALU_DEP_2)
	v_sub_nc_u32_e32 v3, v38, v37
	v_sub_co_u32 v23, vcc_lo, v28, v36
	s_delay_alu instid0(VALU_DEP_1) | instskip(NEXT) | instid1(VALU_DEP_3)
	v_sub_co_ci_u32_e64 v35, null, v38, v37, vcc_lo
	v_subrev_co_ci_u32_e64 v3, null, s85, v3, vcc_lo
	s_delay_alu instid0(VALU_DEP_3) | instskip(SKIP_1) | instid1(VALU_DEP_3)
	v_sub_co_u32 v28, s0, v23, s84
	v_add_nc_u64_e32 v[36:37], 1, v[24:25]
	v_subrev_co_ci_u32_e64 v3, null, 0, v3, s0
	s_delay_alu instid0(VALU_DEP_3) | instskip(SKIP_1) | instid1(VALU_DEP_3)
	v_cmp_le_u32_e32 vcc_lo, s84, v28
	v_cndmask_b32_e64 v28, 0, -1, vcc_lo
	v_cmp_le_u32_e32 vcc_lo, s85, v3
	v_cndmask_b32_e64 v29, 0, -1, vcc_lo
	;; [unrolled: 2-line block ×4, first 2 shown]
	v_cmp_eq_u32_e32 vcc_lo, s85, v3
	v_cndmask_b32_e32 v3, v29, v28, vcc_lo
	v_cmp_eq_u32_e32 vcc_lo, s85, v35
	v_add_nc_u64_e32 v[28:29], 2, v[24:25]
	v_cndmask_b32_e32 v23, v38, v23, vcc_lo
	s_delay_alu instid0(VALU_DEP_4) | instskip(NEXT) | instid1(VALU_DEP_2)
	v_cmp_ne_u32_e32 vcc_lo, 0, v3
	v_cmp_ne_u32_e64 s0, 0, v23
	s_delay_alu instid0(VALU_DEP_4) | instskip(NEXT) | instid1(VALU_DEP_1)
	v_dual_cndmask_b32 v3, v37, v29, vcc_lo :: v_dual_cndmask_b32 v23, v36, v28, vcc_lo
	v_dual_cndmask_b32 v3, v25, v3, s0 :: v_dual_bitop2_b32 v22, s82, v22 bitop3:0x14
	s_delay_alu instid0(VALU_DEP_1) | instskip(NEXT) | instid1(VALU_DEP_2)
	v_dual_cndmask_b32 v24, v24, v23, s0 :: v_dual_mov_b32 v23, v22
	v_xor_b32_e32 v25, v3, v22
	s_delay_alu instid0(VALU_DEP_2) | instskip(NEXT) | instid1(VALU_DEP_1)
	v_xor_b32_e32 v24, v24, v22
	v_sub_nc_u64_e32 v[22:23], v[24:25], v[22:23]
.LBB27_52:                              ;   in Loop: Header=BB27_3 Depth=1
	s_and_not1_saveexec_b32 s0, s89
	s_cbranch_execz .LBB27_54
; %bb.53:                               ;   in Loop: Header=BB27_3 Depth=1
	v_cvt_f32_u32_e32 v3, s60
	s_sub_co_i32 s2, 0, s60
	s_delay_alu instid0(VALU_DEP_1) | instskip(SKIP_1) | instid1(TRANS32_DEP_1)
	v_rcp_iflag_f32_e32 v3, v3
	v_nop
	v_mul_f32_e32 v3, 0x4f7ffffe, v3
	s_delay_alu instid0(VALU_DEP_1) | instskip(NEXT) | instid1(VALU_DEP_1)
	v_cvt_u32_f32_e32 v3, v3
	v_mul_lo_u32 v22, s2, v3
	s_delay_alu instid0(VALU_DEP_1) | instskip(NEXT) | instid1(VALU_DEP_1)
	v_mul_hi_u32 v22, v3, v22
	v_add_nc_u32_e32 v3, v3, v22
	s_delay_alu instid0(VALU_DEP_1) | instskip(NEXT) | instid1(VALU_DEP_1)
	v_mul_hi_u32 v3, v0, v3
	v_mul_lo_u32 v22, v3, s60
	s_delay_alu instid0(VALU_DEP_1) | instskip(NEXT) | instid1(VALU_DEP_1)
	v_dual_add_nc_u32 v23, 1, v3 :: v_dual_sub_nc_u32 v22, v0, v22
	v_subrev_nc_u32_e32 v24, s60, v22
	v_cmp_le_u32_e32 vcc_lo, s60, v22
	s_delay_alu instid0(VALU_DEP_2) | instskip(NEXT) | instid1(VALU_DEP_1)
	v_dual_cndmask_b32 v22, v22, v24 :: v_dual_cndmask_b32 v3, v3, v23
	v_cmp_le_u32_e32 vcc_lo, s60, v22
	s_delay_alu instid0(VALU_DEP_2) | instskip(NEXT) | instid1(VALU_DEP_1)
	v_add_nc_u32_e32 v23, 1, v3
	v_dual_cndmask_b32 v22, v3, v23 :: v_dual_mov_b32 v23, v2
.LBB27_54:                              ;   in Loop: Header=BB27_3 Depth=1
	s_or_b32 exec_lo, exec_lo, s0
	s_delay_alu instid0(VALU_DEP_1) | instskip(NEXT) | instid1(VALU_DEP_1)
	v_mad_nc_u64_u32 v[24:25], s76, v22, v[0:1]
	v_mad_u32 v3, s77, v22, v25
	s_delay_alu instid0(VALU_DEP_1) | instskip(SKIP_1) | instid1(VALU_DEP_2)
	v_mad_u32 v25, s76, v23, v3
	v_mul_u64_e32 v[22:23], s[8:9], v[22:23]
	v_mul_u64_e32 v[24:25], s[10:11], v[24:25]
	s_delay_alu instid0(VALU_DEP_2) | instskip(NEXT) | instid1(VALU_DEP_1)
	v_lshl_add_u64 v[22:23], v[22:23], 1, s[42:43]
	v_lshl_add_u64 v[22:23], v[24:25], 1, v[22:23]
	global_load_u16 v3, v[22:23], off
	s_wait_loadcnt 0x0
	s_wait_xcnt 0x0
	v_cvt_f32_f16_e32 v22, v3
	s_and_not1_b32 vcc_lo, exec_lo, s33
	s_cbranch_vccnz .LBB27_63
.LBB27_55:                              ;   in Loop: Header=BB27_3 Depth=1
	v_or_b32_e32 v3, s65, v1
                                        ; implicit-def: $vgpr24_vgpr25
	s_mov_b32 s0, exec_lo
	s_delay_alu instid0(VALU_DEP_1)
	v_cmpx_ne_u64_e32 0, v[2:3]
	s_xor_b32 s89, exec_lo, s0
	s_cbranch_execz .LBB27_57
; %bb.56:                               ;   in Loop: Header=BB27_3 Depth=1
	s_ashr_i32 s82, s65, 31
	v_dual_mov_b32 v37, v2 :: v_dual_ashrrev_i32 v24, 31, v1
	s_mov_b32 s83, s82
	v_mov_b32_e32 v41, v2
	s_add_nc_u64 s[84:85], s[64:65], s[82:83]
	s_delay_alu instid0(VALU_DEP_2)
	v_mov_b32_e32 v25, v24
	s_xor_b64 s[84:85], s[84:85], s[82:83]
	v_mov_b32_e32 v45, v2
	s_cvt_f32_u32 s0, s84
	s_cvt_f32_u32 s2, s85
	s_sub_nc_u64 s[92:93], 0, s[84:85]
	v_add_nc_u64_e32 v[28:29], v[0:1], v[24:25]
	s_delay_alu instid0(SALU_CYCLE_1) | instskip(NEXT) | instid1(SALU_CYCLE_3)
	s_fmamk_f32 s0, s2, 0x4f800000, s0
	v_s_rcp_f32 s0, s0
	s_delay_alu instid0(VALU_DEP_1) | instskip(NEXT) | instid1(VALU_DEP_2)
	v_xor_b32_e32 v36, v28, v24
	v_xor_b32_e32 v40, v29, v24
	s_delay_alu instid0(TRANS32_DEP_1) | instskip(NEXT) | instid1(SALU_CYCLE_3)
	s_mul_f32 s0, s0, 0x5f7ffffc
	s_mul_f32 s2, s0, 0x2f800000
	s_delay_alu instid0(SALU_CYCLE_3) | instskip(NEXT) | instid1(SALU_CYCLE_3)
	s_trunc_f32 s2, s2
	s_fmamk_f32 s0, s2, 0xcf800000, s0
	s_cvt_u32_f32 s91, s2
	s_delay_alu instid0(SALU_CYCLE_2) | instskip(NEXT) | instid1(SALU_CYCLE_3)
	s_cvt_u32_f32 s90, s0
	s_mul_u64 s[94:95], s[92:93], s[90:91]
	s_delay_alu instid0(SALU_CYCLE_1)
	s_mul_hi_u32 s97, s90, s95
	s_mul_i32 s96, s90, s95
	s_mul_hi_u32 s2, s90, s94
	s_mul_i32 s83, s91, s94
	s_add_nc_u64 s[96:97], s[2:3], s[96:97]
	s_mul_hi_u32 s0, s91, s94
	s_mul_hi_u32 s98, s91, s95
	s_add_co_u32 s2, s96, s83
	s_add_co_ci_u32 s2, s97, s0
	s_mul_i32 s94, s91, s95
	s_add_co_ci_u32 s95, s98, 0
	s_delay_alu instid0(SALU_CYCLE_1) | instskip(NEXT) | instid1(SALU_CYCLE_1)
	s_add_nc_u64 s[94:95], s[2:3], s[94:95]
	s_add_co_u32 s90, s90, s94
	s_cselect_b32 s0, -1, 0
	s_delay_alu instid0(SALU_CYCLE_1) | instskip(SKIP_1) | instid1(SALU_CYCLE_1)
	s_cmp_lg_u32 s0, 0
	s_add_co_ci_u32 s91, s91, s95
	s_mul_u64 s[92:93], s[92:93], s[90:91]
	s_delay_alu instid0(SALU_CYCLE_1)
	s_mul_hi_u32 s95, s90, s93
	s_mul_i32 s94, s90, s93
	s_mul_hi_u32 s2, s90, s92
	s_mul_i32 s83, s91, s92
	s_add_nc_u64 s[94:95], s[2:3], s[94:95]
	s_mul_hi_u32 s0, s91, s92
	s_mul_hi_u32 s96, s91, s93
	s_add_co_u32 s2, s94, s83
	s_add_co_ci_u32 s2, s95, s0
	s_mul_i32 s92, s91, s93
	s_add_co_ci_u32 s93, s96, 0
	s_delay_alu instid0(SALU_CYCLE_1) | instskip(NEXT) | instid1(SALU_CYCLE_1)
	s_add_nc_u64 s[92:93], s[2:3], s[92:93]
	s_add_co_u32 s0, s90, s92
	s_cselect_b32 s2, -1, 0
	v_mul_hi_u32 v44, v36, s0
	s_cmp_lg_u32 s2, 0
	s_add_co_ci_u32 s2, s91, s93
	s_and_b64 s[90:91], s[0:1], s[78:79]
	v_mul_u64_e32 v[38:39], s[2:3], v[36:37]
	v_mul_u64_e32 v[28:29], s[90:91], v[40:41]
	;; [unrolled: 1-line block ×3, first 2 shown]
	s_delay_alu instid0(VALU_DEP_3) | instskip(NEXT) | instid1(VALU_DEP_1)
	v_add_nc_u64_e32 v[38:39], v[44:45], v[38:39]
	v_add_co_u32 v3, vcc_lo, v38, v28
	s_delay_alu instid0(VALU_DEP_2) | instskip(NEXT) | instid1(VALU_DEP_4)
	v_add_co_ci_u32_e32 v44, vcc_lo, v39, v29, vcc_lo
	v_add_co_ci_u32_e32 v43, vcc_lo, 0, v43, vcc_lo
	s_delay_alu instid0(VALU_DEP_1) | instskip(NEXT) | instid1(VALU_DEP_1)
	v_add_nc_u64_e32 v[28:29], v[44:45], v[42:43]
	v_mul_u64_e32 v[38:39], s[84:85], v[28:29]
	s_delay_alu instid0(VALU_DEP_1) | instskip(NEXT) | instid1(VALU_DEP_2)
	v_sub_nc_u32_e32 v3, v40, v39
	v_sub_co_u32 v23, vcc_lo, v36, v38
	s_delay_alu instid0(VALU_DEP_1) | instskip(NEXT) | instid1(VALU_DEP_3)
	v_sub_co_ci_u32_e64 v35, null, v40, v39, vcc_lo
	v_subrev_co_ci_u32_e64 v3, null, s85, v3, vcc_lo
	s_delay_alu instid0(VALU_DEP_3) | instskip(SKIP_1) | instid1(VALU_DEP_3)
	v_sub_co_u32 v25, s0, v23, s84
	v_add_nc_u64_e32 v[38:39], 1, v[28:29]
	v_subrev_co_ci_u32_e64 v3, null, 0, v3, s0
	s_delay_alu instid0(VALU_DEP_3) | instskip(SKIP_1) | instid1(VALU_DEP_3)
	v_cmp_le_u32_e32 vcc_lo, s84, v25
	v_cndmask_b32_e64 v25, 0, -1, vcc_lo
	v_cmp_le_u32_e32 vcc_lo, s85, v3
	v_cndmask_b32_e64 v36, 0, -1, vcc_lo
	;; [unrolled: 2-line block ×4, first 2 shown]
	v_cmp_eq_u32_e32 vcc_lo, s85, v3
	v_cndmask_b32_e32 v3, v36, v25, vcc_lo
	v_cmp_eq_u32_e32 vcc_lo, s85, v35
	v_add_nc_u64_e32 v[36:37], 2, v[28:29]
	v_cndmask_b32_e32 v23, v40, v23, vcc_lo
	s_delay_alu instid0(VALU_DEP_4) | instskip(NEXT) | instid1(VALU_DEP_3)
	v_cmp_ne_u32_e32 vcc_lo, 0, v3
	v_cndmask_b32_e32 v3, v39, v37, vcc_lo
	s_delay_alu instid0(VALU_DEP_3) | instskip(SKIP_1) | instid1(VALU_DEP_2)
	v_cmp_ne_u32_e64 s0, 0, v23
	v_cndmask_b32_e32 v23, v38, v36, vcc_lo
	v_dual_cndmask_b32 v3, v29, v3, s0 :: v_dual_bitop2_b32 v24, s82, v24 bitop3:0x14
	s_delay_alu instid0(VALU_DEP_1) | instskip(NEXT) | instid1(VALU_DEP_1)
	v_dual_cndmask_b32 v23, v28, v23, s0 :: v_dual_bitop2_b32 v29, v3, v24 bitop3:0x14
	v_dual_mov_b32 v25, v24 :: v_dual_bitop2_b32 v28, v23, v24 bitop3:0x14
	s_delay_alu instid0(VALU_DEP_1)
	v_sub_nc_u64_e32 v[24:25], v[28:29], v[24:25]
.LBB27_57:                              ;   in Loop: Header=BB27_3 Depth=1
	s_and_not1_saveexec_b32 s0, s89
	s_cbranch_execz .LBB27_59
; %bb.58:                               ;   in Loop: Header=BB27_3 Depth=1
	v_cvt_f32_u32_e32 v3, s64
	s_sub_co_i32 s2, 0, s64
	s_delay_alu instid0(VALU_DEP_1) | instskip(SKIP_1) | instid1(TRANS32_DEP_1)
	v_rcp_iflag_f32_e32 v3, v3
	v_nop
	v_mul_f32_e32 v3, 0x4f7ffffe, v3
	s_delay_alu instid0(VALU_DEP_1) | instskip(NEXT) | instid1(VALU_DEP_1)
	v_cvt_u32_f32_e32 v3, v3
	v_mul_lo_u32 v23, s2, v3
	s_delay_alu instid0(VALU_DEP_1) | instskip(NEXT) | instid1(VALU_DEP_1)
	v_mul_hi_u32 v23, v3, v23
	v_add_nc_u32_e32 v3, v3, v23
	s_delay_alu instid0(VALU_DEP_1) | instskip(NEXT) | instid1(VALU_DEP_1)
	v_mul_hi_u32 v3, v0, v3
	v_mul_lo_u32 v23, v3, s64
	s_delay_alu instid0(VALU_DEP_1) | instskip(NEXT) | instid1(VALU_DEP_1)
	v_sub_nc_u32_e32 v23, v0, v23
	v_subrev_nc_u32_e32 v25, s64, v23
	v_cmp_le_u32_e32 vcc_lo, s64, v23
	s_delay_alu instid0(VALU_DEP_2) | instskip(NEXT) | instid1(VALU_DEP_1)
	v_dual_cndmask_b32 v23, v23, v25 :: v_dual_add_nc_u32 v24, 1, v3
	v_dual_cndmask_b32 v3, v3, v24, vcc_lo :: v_dual_mov_b32 v25, v2
	s_delay_alu instid0(VALU_DEP_2) | instskip(NEXT) | instid1(VALU_DEP_2)
	v_cmp_le_u32_e32 vcc_lo, s64, v23
	v_add_nc_u32_e32 v24, 1, v3
	s_delay_alu instid0(VALU_DEP_1)
	v_cndmask_b32_e32 v24, v3, v24, vcc_lo
.LBB27_59:                              ;   in Loop: Header=BB27_3 Depth=1
	s_or_b32 exec_lo, exec_lo, s0
	s_delay_alu instid0(VALU_DEP_1) | instskip(NEXT) | instid1(VALU_DEP_1)
	v_mad_nc_u64_u32 v[28:29], s80, v24, v[0:1]
	v_mad_u32 v3, s81, v24, v29
	s_delay_alu instid0(VALU_DEP_1) | instskip(SKIP_1) | instid1(VALU_DEP_2)
	v_mad_u32 v29, s80, v25, v3
	v_mul_u64_e32 v[24:25], s[28:29], v[24:25]
	v_mul_u64_e32 v[28:29], s[30:31], v[28:29]
	s_delay_alu instid0(VALU_DEP_2) | instskip(NEXT) | instid1(VALU_DEP_1)
	v_lshl_add_u64 v[24:25], v[24:25], 1, s[44:45]
	v_lshl_add_u64 v[24:25], v[28:29], 1, v[24:25]
	global_load_u16 v3, v[24:25], off
	s_wait_loadcnt 0x0
	v_cvt_f32_f16_e32 v3, v3
	s_branch .LBB27_64
.LBB27_60:                              ;   in Loop: Header=BB27_3 Depth=1
	s_ashr_i32 s82, s59, 31
	v_dual_mov_b32 v25, v2 :: v_dual_ashrrev_i32 v20, 31, v1
	s_mov_b32 s83, s82
	s_delay_alu instid0(SALU_CYCLE_1) | instskip(NEXT) | instid1(VALU_DEP_1)
	s_add_nc_u64 s[84:85], s[58:59], s[82:83]
	v_mov_b32_e32 v21, v20
	s_xor_b64 s[84:85], s[84:85], s[82:83]
	s_delay_alu instid0(SALU_CYCLE_1)
	s_cvt_f32_u32 s0, s84
	s_cvt_f32_u32 s2, s85
	s_sub_nc_u64 s[92:93], 0, s[84:85]
	v_add_nc_u64_e32 v[22:23], v[0:1], v[20:21]
	v_mov_b32_e32 v37, v2
	s_fmamk_f32 s0, s2, 0x4f800000, s0
	s_delay_alu instid0(SALU_CYCLE_3) | instskip(NEXT) | instid1(VALU_DEP_2)
	v_s_rcp_f32 s0, s0
	v_xor_b32_e32 v24, v22, v20
	s_delay_alu instid0(VALU_DEP_3) | instskip(NEXT) | instid1(TRANS32_DEP_1)
	v_dual_mov_b32 v41, v2 :: v_dual_bitop2_b32 v36, v23, v20 bitop3:0x14
	s_mul_f32 s0, s0, 0x5f7ffffc
	s_delay_alu instid0(SALU_CYCLE_3) | instskip(NEXT) | instid1(SALU_CYCLE_3)
	s_mul_f32 s2, s0, 0x2f800000
	s_trunc_f32 s2, s2
	s_delay_alu instid0(SALU_CYCLE_3) | instskip(SKIP_1) | instid1(SALU_CYCLE_2)
	s_fmamk_f32 s0, s2, 0xcf800000, s0
	s_cvt_u32_f32 s91, s2
	s_cvt_u32_f32 s90, s0
	s_delay_alu instid0(SALU_CYCLE_3) | instskip(NEXT) | instid1(SALU_CYCLE_1)
	s_mul_u64 s[94:95], s[92:93], s[90:91]
	s_mul_hi_u32 s97, s90, s95
	s_mul_i32 s96, s90, s95
	s_mul_hi_u32 s2, s90, s94
	s_mul_i32 s83, s91, s94
	s_add_nc_u64 s[96:97], s[2:3], s[96:97]
	s_mul_hi_u32 s0, s91, s94
	s_mul_hi_u32 s98, s91, s95
	s_add_co_u32 s2, s96, s83
	s_add_co_ci_u32 s2, s97, s0
	s_mul_i32 s94, s91, s95
	s_add_co_ci_u32 s95, s98, 0
	s_delay_alu instid0(SALU_CYCLE_1) | instskip(NEXT) | instid1(SALU_CYCLE_1)
	s_add_nc_u64 s[94:95], s[2:3], s[94:95]
	s_add_co_u32 s90, s90, s94
	s_cselect_b32 s0, -1, 0
	s_delay_alu instid0(SALU_CYCLE_1) | instskip(SKIP_1) | instid1(SALU_CYCLE_1)
	s_cmp_lg_u32 s0, 0
	s_add_co_ci_u32 s91, s91, s95
	s_mul_u64 s[92:93], s[92:93], s[90:91]
	s_delay_alu instid0(SALU_CYCLE_1)
	s_mul_hi_u32 s95, s90, s93
	s_mul_i32 s94, s90, s93
	s_mul_hi_u32 s2, s90, s92
	s_mul_i32 s83, s91, s92
	s_add_nc_u64 s[94:95], s[2:3], s[94:95]
	s_mul_hi_u32 s0, s91, s92
	s_mul_hi_u32 s96, s91, s93
	s_add_co_u32 s2, s94, s83
	s_add_co_ci_u32 s2, s95, s0
	s_mul_i32 s92, s91, s93
	s_add_co_ci_u32 s93, s96, 0
	s_delay_alu instid0(SALU_CYCLE_1) | instskip(NEXT) | instid1(SALU_CYCLE_1)
	s_add_nc_u64 s[92:93], s[2:3], s[92:93]
	s_add_co_u32 s0, s90, s92
	s_cselect_b32 s2, -1, 0
	v_mul_hi_u32 v40, v24, s0
	s_cmp_lg_u32 s2, 0
	s_add_co_ci_u32 s2, s91, s93
	s_and_b64 s[90:91], s[0:1], s[78:79]
	v_mul_u64_e32 v[28:29], s[2:3], v[24:25]
	v_mul_u64_e32 v[22:23], s[90:91], v[36:37]
	;; [unrolled: 1-line block ×3, first 2 shown]
	s_delay_alu instid0(VALU_DEP_3) | instskip(NEXT) | instid1(VALU_DEP_1)
	v_add_nc_u64_e32 v[28:29], v[40:41], v[28:29]
	v_add_co_u32 v3, vcc_lo, v28, v22
	s_delay_alu instid0(VALU_DEP_2) | instskip(NEXT) | instid1(VALU_DEP_4)
	v_add_co_ci_u32_e32 v40, vcc_lo, v29, v23, vcc_lo
	v_add_co_ci_u32_e32 v39, vcc_lo, 0, v39, vcc_lo
	s_delay_alu instid0(VALU_DEP_1) | instskip(NEXT) | instid1(VALU_DEP_1)
	v_add_nc_u64_e32 v[22:23], v[40:41], v[38:39]
	v_mul_u64_e32 v[28:29], s[84:85], v[22:23]
	s_delay_alu instid0(VALU_DEP_1) | instskip(NEXT) | instid1(VALU_DEP_2)
	v_sub_nc_u32_e32 v3, v36, v29
	v_sub_co_u32 v21, vcc_lo, v24, v28
	s_delay_alu instid0(VALU_DEP_1) | instskip(NEXT) | instid1(VALU_DEP_3)
	v_sub_co_ci_u32_e64 v35, null, v36, v29, vcc_lo
	v_subrev_co_ci_u32_e64 v3, null, s85, v3, vcc_lo
	s_delay_alu instid0(VALU_DEP_3) | instskip(SKIP_1) | instid1(VALU_DEP_3)
	v_sub_co_u32 v24, s0, v21, s84
	v_add_nc_u64_e32 v[28:29], 1, v[22:23]
	v_subrev_co_ci_u32_e64 v3, null, 0, v3, s0
	s_delay_alu instid0(VALU_DEP_3) | instskip(SKIP_1) | instid1(VALU_DEP_3)
	v_cmp_le_u32_e32 vcc_lo, s84, v24
	v_cndmask_b32_e64 v24, 0, -1, vcc_lo
	v_cmp_le_u32_e32 vcc_lo, s85, v3
	v_cndmask_b32_e64 v25, 0, -1, vcc_lo
	;; [unrolled: 2-line block ×4, first 2 shown]
	v_cmp_eq_u32_e32 vcc_lo, s85, v3
	v_cndmask_b32_e32 v3, v25, v24, vcc_lo
	v_cmp_eq_u32_e32 vcc_lo, s85, v35
	v_add_nc_u64_e32 v[24:25], 2, v[22:23]
	v_cndmask_b32_e32 v21, v36, v21, vcc_lo
	s_delay_alu instid0(VALU_DEP_4) | instskip(NEXT) | instid1(VALU_DEP_2)
	v_cmp_ne_u32_e32 vcc_lo, 0, v3
	v_cmp_ne_u32_e64 s0, 0, v21
	s_delay_alu instid0(VALU_DEP_4) | instskip(NEXT) | instid1(VALU_DEP_1)
	v_dual_cndmask_b32 v3, v29, v25, vcc_lo :: v_dual_cndmask_b32 v21, v28, v24, vcc_lo
	v_dual_cndmask_b32 v3, v23, v3, s0 :: v_dual_bitop2_b32 v20, s82, v20 bitop3:0x14
	s_delay_alu instid0(VALU_DEP_1) | instskip(NEXT) | instid1(VALU_DEP_2)
	v_dual_cndmask_b32 v22, v22, v21, s0 :: v_dual_mov_b32 v21, v20
	v_xor_b32_e32 v23, v3, v20
	s_delay_alu instid0(VALU_DEP_2) | instskip(NEXT) | instid1(VALU_DEP_1)
	v_xor_b32_e32 v22, v22, v20
	v_sub_nc_u64_e32 v[20:21], v[22:23], v[20:21]
	s_and_not1_saveexec_b32 s0, s89
	s_cbranch_execz .LBB27_49
.LBB27_61:                              ;   in Loop: Header=BB27_3 Depth=1
	v_cvt_f32_u32_e32 v3, s58
	s_sub_co_i32 s2, 0, s58
	s_delay_alu instid0(VALU_DEP_1) | instskip(SKIP_1) | instid1(TRANS32_DEP_1)
	v_rcp_iflag_f32_e32 v3, v3
	v_nop
	v_mul_f32_e32 v3, 0x4f7ffffe, v3
	s_delay_alu instid0(VALU_DEP_1) | instskip(NEXT) | instid1(VALU_DEP_1)
	v_cvt_u32_f32_e32 v3, v3
	v_mul_lo_u32 v20, s2, v3
	s_delay_alu instid0(VALU_DEP_1) | instskip(NEXT) | instid1(VALU_DEP_1)
	v_mul_hi_u32 v20, v3, v20
	v_add_nc_u32_e32 v3, v3, v20
	s_delay_alu instid0(VALU_DEP_1) | instskip(NEXT) | instid1(VALU_DEP_1)
	v_mul_hi_u32 v3, v0, v3
	v_mul_lo_u32 v20, v3, s58
	s_delay_alu instid0(VALU_DEP_1) | instskip(NEXT) | instid1(VALU_DEP_1)
	v_dual_add_nc_u32 v21, 1, v3 :: v_dual_sub_nc_u32 v20, v0, v20
	v_subrev_nc_u32_e32 v22, s58, v20
	v_cmp_le_u32_e32 vcc_lo, s58, v20
	s_delay_alu instid0(VALU_DEP_2) | instskip(NEXT) | instid1(VALU_DEP_1)
	v_dual_cndmask_b32 v20, v20, v22 :: v_dual_cndmask_b32 v3, v3, v21
	v_cmp_le_u32_e32 vcc_lo, s58, v20
	s_delay_alu instid0(VALU_DEP_2) | instskip(NEXT) | instid1(VALU_DEP_1)
	v_add_nc_u32_e32 v21, 1, v3
	v_dual_cndmask_b32 v20, v3, v21 :: v_dual_mov_b32 v21, v2
	s_or_b32 exec_lo, exec_lo, s0
	s_delay_alu instid0(SALU_CYCLE_1)
	s_and_not1_b32 vcc_lo, exec_lo, s1
	s_cbranch_vccz .LBB27_50
.LBB27_62:                              ;   in Loop: Header=BB27_3 Depth=1
	v_mov_b32_e32 v22, 0
	s_and_not1_b32 vcc_lo, exec_lo, s33
	s_cbranch_vccz .LBB27_55
.LBB27_63:                              ;   in Loop: Header=BB27_3 Depth=1
	v_mov_b32_e32 v3, 0
.LBB27_64:                              ;   in Loop: Header=BB27_3 Depth=1
	s_wait_loadcnt 0x0
	v_cvt_f32_f16_e32 v23, v27
                                        ; implicit-def: $vgpr24
	s_delay_alu instid0(VALU_DEP_1) | instskip(SKIP_2) | instid1(SALU_CYCLE_1)
	v_cmp_ngt_f32_e64 s0, 0x3f200000, |v23|
	s_wait_xcnt 0x0
	s_and_saveexec_b32 s2, s0
	s_xor_b32 s0, exec_lo, s2
	s_cbranch_execz .LBB27_66
; %bb.65:                               ;   in Loop: Header=BB27_3 Depth=1
	v_add_f32_e64 v24, |v23|, |v23|
	s_delay_alu instid0(VALU_DEP_1) | instskip(SKIP_1) | instid1(VALU_DEP_2)
	v_mul_f32_e32 v25, 0x3fb8aa3b, v24
	v_cmp_ngt_f32_e32 vcc_lo, 0xc2ce8ed0, v24
	v_rndne_f32_e32 v27, v25
	v_fma_f32 v28, 0x3fb8aa3b, v24, -v25
	s_delay_alu instid0(VALU_DEP_1) | instskip(SKIP_1) | instid1(VALU_DEP_2)
	v_dual_sub_f32 v25, v25, v27 :: v_dual_fmac_f32 v28, 0x32a5705f, v24
	v_cvt_i32_f32_e32 v27, v27
	v_add_f32_e32 v25, v25, v28
	s_delay_alu instid0(VALU_DEP_1) | instskip(SKIP_1) | instid1(TRANS32_DEP_1)
	v_exp_f32_e32 v25, v25
	v_nop
	v_ldexp_f32 v25, v25, v27
	s_delay_alu instid0(VALU_DEP_1) | instskip(SKIP_1) | instid1(VALU_DEP_2)
	v_cndmask_b32_e32 v25, 0, v25, vcc_lo
	v_cmp_nlt_f32_e32 vcc_lo, 0x42b17218, v24
	v_cndmask_b32_e32 v24, 0x7f800000, v25, vcc_lo
	s_delay_alu instid0(VALU_DEP_1) | instskip(NEXT) | instid1(VALU_DEP_1)
	v_add_f32_e32 v24, 1.0, v24
	v_rcp_f32_e32 v24, v24
	v_nop
	s_delay_alu instid0(TRANS32_DEP_1)
	v_fma_f32 v24, v24, -2.0, 1.0
.LBB27_66:                              ;   in Loop: Header=BB27_3 Depth=1
	s_and_not1_saveexec_b32 s0, s0
	s_cbranch_execz .LBB27_2
; %bb.67:                               ;   in Loop: Header=BB27_3 Depth=1
	v_mul_f32_e32 v24, v23, v23
	s_delay_alu instid0(VALU_DEP_1) | instskip(NEXT) | instid1(VALU_DEP_1)
	v_fmaak_f32 v25, s86, v24, 0x3ca908c9
	v_fmaak_f32 v25, v24, v25, 0xbd5c1c4e
	s_delay_alu instid0(VALU_DEP_1) | instskip(NEXT) | instid1(VALU_DEP_1)
	v_fmaak_f32 v25, v24, v25, 0x3e088382
	v_fmaak_f32 v25, v24, v25, 0xbeaaaa99
	s_delay_alu instid0(VALU_DEP_1) | instskip(NEXT) | instid1(VALU_DEP_1)
	v_mul_f32_e64 v25, |v23|, v25
	v_fma_f32 v24, v24, v25, |v23|
	s_branch .LBB27_2
.LBB27_68:
	s_endpgm
	.section	.rodata,"a",@progbits
	.p2align	6, 0x0
	.amdhsa_kernel _ZN2at6native12_GLOBAL__N_16kernel18lstm_cell_backwardIN3c104HalfEflLi2EEEvNS_4cuda6detail10TensorInfoIT_T1_EESB_SB_SB_SB_SB_SB_SA_SA_
		.amdhsa_group_segment_fixed_size 0
		.amdhsa_private_segment_fixed_size 0
		.amdhsa_kernarg_size 3184
		.amdhsa_user_sgpr_count 2
		.amdhsa_user_sgpr_dispatch_ptr 0
		.amdhsa_user_sgpr_queue_ptr 0
		.amdhsa_user_sgpr_kernarg_segment_ptr 1
		.amdhsa_user_sgpr_dispatch_id 0
		.amdhsa_user_sgpr_kernarg_preload_length 0
		.amdhsa_user_sgpr_kernarg_preload_offset 0
		.amdhsa_user_sgpr_private_segment_size 0
		.amdhsa_wavefront_size32 1
		.amdhsa_uses_dynamic_stack 0
		.amdhsa_enable_private_segment 0
		.amdhsa_system_sgpr_workgroup_id_x 1
		.amdhsa_system_sgpr_workgroup_id_y 0
		.amdhsa_system_sgpr_workgroup_id_z 0
		.amdhsa_system_sgpr_workgroup_info 0
		.amdhsa_system_vgpr_workitem_id 0
		.amdhsa_next_free_vgpr 46
		.amdhsa_next_free_sgpr 99
		.amdhsa_named_barrier_count 0
		.amdhsa_reserve_vcc 1
		.amdhsa_float_round_mode_32 0
		.amdhsa_float_round_mode_16_64 0
		.amdhsa_float_denorm_mode_32 3
		.amdhsa_float_denorm_mode_16_64 3
		.amdhsa_fp16_overflow 0
		.amdhsa_memory_ordered 1
		.amdhsa_forward_progress 1
		.amdhsa_inst_pref_size 95
		.amdhsa_round_robin_scheduling 0
		.amdhsa_exception_fp_ieee_invalid_op 0
		.amdhsa_exception_fp_denorm_src 0
		.amdhsa_exception_fp_ieee_div_zero 0
		.amdhsa_exception_fp_ieee_overflow 0
		.amdhsa_exception_fp_ieee_underflow 0
		.amdhsa_exception_fp_ieee_inexact 0
		.amdhsa_exception_int_div_zero 0
	.end_amdhsa_kernel
	.section	.text._ZN2at6native12_GLOBAL__N_16kernel18lstm_cell_backwardIN3c104HalfEflLi2EEEvNS_4cuda6detail10TensorInfoIT_T1_EESB_SB_SB_SB_SB_SB_SA_SA_,"axG",@progbits,_ZN2at6native12_GLOBAL__N_16kernel18lstm_cell_backwardIN3c104HalfEflLi2EEEvNS_4cuda6detail10TensorInfoIT_T1_EESB_SB_SB_SB_SB_SB_SA_SA_,comdat
.Lfunc_end27:
	.size	_ZN2at6native12_GLOBAL__N_16kernel18lstm_cell_backwardIN3c104HalfEflLi2EEEvNS_4cuda6detail10TensorInfoIT_T1_EESB_SB_SB_SB_SB_SB_SA_SA_, .Lfunc_end27-_ZN2at6native12_GLOBAL__N_16kernel18lstm_cell_backwardIN3c104HalfEflLi2EEEvNS_4cuda6detail10TensorInfoIT_T1_EESB_SB_SB_SB_SB_SB_SA_SA_
                                        ; -- End function
	.set _ZN2at6native12_GLOBAL__N_16kernel18lstm_cell_backwardIN3c104HalfEflLi2EEEvNS_4cuda6detail10TensorInfoIT_T1_EESB_SB_SB_SB_SB_SB_SA_SA_.num_vgpr, 46
	.set _ZN2at6native12_GLOBAL__N_16kernel18lstm_cell_backwardIN3c104HalfEflLi2EEEvNS_4cuda6detail10TensorInfoIT_T1_EESB_SB_SB_SB_SB_SB_SA_SA_.num_agpr, 0
	.set _ZN2at6native12_GLOBAL__N_16kernel18lstm_cell_backwardIN3c104HalfEflLi2EEEvNS_4cuda6detail10TensorInfoIT_T1_EESB_SB_SB_SB_SB_SB_SA_SA_.numbered_sgpr, 99
	.set _ZN2at6native12_GLOBAL__N_16kernel18lstm_cell_backwardIN3c104HalfEflLi2EEEvNS_4cuda6detail10TensorInfoIT_T1_EESB_SB_SB_SB_SB_SB_SA_SA_.num_named_barrier, 0
	.set _ZN2at6native12_GLOBAL__N_16kernel18lstm_cell_backwardIN3c104HalfEflLi2EEEvNS_4cuda6detail10TensorInfoIT_T1_EESB_SB_SB_SB_SB_SB_SA_SA_.private_seg_size, 0
	.set _ZN2at6native12_GLOBAL__N_16kernel18lstm_cell_backwardIN3c104HalfEflLi2EEEvNS_4cuda6detail10TensorInfoIT_T1_EESB_SB_SB_SB_SB_SB_SA_SA_.uses_vcc, 1
	.set _ZN2at6native12_GLOBAL__N_16kernel18lstm_cell_backwardIN3c104HalfEflLi2EEEvNS_4cuda6detail10TensorInfoIT_T1_EESB_SB_SB_SB_SB_SB_SA_SA_.uses_flat_scratch, 0
	.set _ZN2at6native12_GLOBAL__N_16kernel18lstm_cell_backwardIN3c104HalfEflLi2EEEvNS_4cuda6detail10TensorInfoIT_T1_EESB_SB_SB_SB_SB_SB_SA_SA_.has_dyn_sized_stack, 0
	.set _ZN2at6native12_GLOBAL__N_16kernel18lstm_cell_backwardIN3c104HalfEflLi2EEEvNS_4cuda6detail10TensorInfoIT_T1_EESB_SB_SB_SB_SB_SB_SA_SA_.has_recursion, 0
	.set _ZN2at6native12_GLOBAL__N_16kernel18lstm_cell_backwardIN3c104HalfEflLi2EEEvNS_4cuda6detail10TensorInfoIT_T1_EESB_SB_SB_SB_SB_SB_SA_SA_.has_indirect_call, 0
	.section	.AMDGPU.csdata,"",@progbits
; Kernel info:
; codeLenInByte = 12128
; TotalNumSgprs: 101
; NumVgprs: 46
; ScratchSize: 0
; MemoryBound: 0
; FloatMode: 240
; IeeeMode: 1
; LDSByteSize: 0 bytes/workgroup (compile time only)
; SGPRBlocks: 0
; VGPRBlocks: 2
; NumSGPRsForWavesPerEU: 101
; NumVGPRsForWavesPerEU: 46
; NamedBarCnt: 0
; Occupancy: 16
; WaveLimiterHint : 1
; COMPUTE_PGM_RSRC2:SCRATCH_EN: 0
; COMPUTE_PGM_RSRC2:USER_SGPR: 2
; COMPUTE_PGM_RSRC2:TRAP_HANDLER: 0
; COMPUTE_PGM_RSRC2:TGID_X_EN: 1
; COMPUTE_PGM_RSRC2:TGID_Y_EN: 0
; COMPUTE_PGM_RSRC2:TGID_Z_EN: 0
; COMPUTE_PGM_RSRC2:TIDIG_COMP_CNT: 0
	.section	.text._ZN2at6native12_GLOBAL__N_16kernel18lstm_cell_backwardIN3c108BFloat16EfiLi1EEEvNS_4cuda6detail10TensorInfoIT_T1_EESB_SB_SB_SB_SB_SB_SA_SA_,"axG",@progbits,_ZN2at6native12_GLOBAL__N_16kernel18lstm_cell_backwardIN3c108BFloat16EfiLi1EEEvNS_4cuda6detail10TensorInfoIT_T1_EESB_SB_SB_SB_SB_SB_SA_SA_,comdat
	.globl	_ZN2at6native12_GLOBAL__N_16kernel18lstm_cell_backwardIN3c108BFloat16EfiLi1EEEvNS_4cuda6detail10TensorInfoIT_T1_EESB_SB_SB_SB_SB_SB_SA_SA_ ; -- Begin function _ZN2at6native12_GLOBAL__N_16kernel18lstm_cell_backwardIN3c108BFloat16EfiLi1EEEvNS_4cuda6detail10TensorInfoIT_T1_EESB_SB_SB_SB_SB_SB_SA_SA_
	.p2align	8
	.type	_ZN2at6native12_GLOBAL__N_16kernel18lstm_cell_backwardIN3c108BFloat16EfiLi1EEEvNS_4cuda6detail10TensorInfoIT_T1_EESB_SB_SB_SB_SB_SB_SA_SA_,@function
_ZN2at6native12_GLOBAL__N_16kernel18lstm_cell_backwardIN3c108BFloat16EfiLi1EEEvNS_4cuda6detail10TensorInfoIT_T1_EESB_SB_SB_SB_SB_SB_SA_SA_: ; @_ZN2at6native12_GLOBAL__N_16kernel18lstm_cell_backwardIN3c108BFloat16EfiLi1EEEvNS_4cuda6detail10TensorInfoIT_T1_EESB_SB_SB_SB_SB_SB_SA_SA_
; %bb.0:
	s_clause 0x1
	s_load_b32 s4, s[0:1], 0x5fc
	s_load_b64 s[2:3], s[0:1], 0x5e8
	s_bfe_u32 s5, ttmp6, 0x4000c
	s_and_b32 s6, ttmp6, 15
	s_add_co_i32 s5, s5, 1
	s_getreg_b32 s7, hwreg(HW_REG_IB_STS2, 6, 4)
	s_mul_i32 s5, ttmp9, s5
	s_delay_alu instid0(SALU_CYCLE_1)
	s_add_co_i32 s6, s6, s5
	s_wait_kmcnt 0x0
	s_and_b32 s4, s4, 0xffff
	s_cmp_eq_u32 s7, 0
	s_cselect_b32 s5, ttmp9, s6
	s_mov_b32 s6, exec_lo
	v_mad_u32 v6, s5, s4, v0
	s_mov_b32 s5, 0
	s_delay_alu instid0(VALU_DEP_1)
	v_cmpx_gt_i32_e64 s3, v6
	s_cbranch_execz .LBB28_12
; %bb.1:
	s_clause 0x1
	s_load_b64 s[6:7], s[0:1], 0x360
	s_load_b64 s[8:9], s[0:1], 0x438
	s_add_nc_u64 s[10:11], s[0:1], 0x5f0
	s_clause 0x4
	s_load_b32 s27, s[0:1], 0x21c
	s_load_b32 s28, s[0:1], 0x2f4
	;; [unrolled: 1-line block ×6, first 2 shown]
	s_wait_xcnt 0x0
	s_clause 0x6
	s_load_b64 s[10:11], s[0:1], 0x1b0
	s_load_b64 s[12:13], s[0:1], 0x288
	;; [unrolled: 1-line block ×3, first 2 shown]
	s_load_b32 s23, s[0:1], 0x6c
	s_load_b64 s[18:19], s[0:1], 0xd8
	s_load_b32 s24, s[0:1], 0x144
	s_load_b64 s[14:15], s[0:1], 0x510
	v_mov_b32_e32 v1, 0
	s_wait_xcnt 0x0
	s_mul_i32 s0, s2, 3
	s_mov_b32 s1, 0xbbbac73d
	s_wait_kmcnt 0x0
	v_mul_lo_u32 v7, v6, s27
	s_cmp_lg_u64 s[6:7], 0
	v_mul_lo_u32 v8, v6, s28
	s_cselect_b32 s20, -1, 0
	s_cmp_lg_u64 s[8:9], 0
	s_mul_i32 s25, s25, s4
	s_cselect_b32 s21, -1, 0
	s_abs_i32 s22, s2
	v_mul_lo_u32 v9, v6, s29
	s_cvt_f32_u32 s26, s22
	v_mul_lo_u32 v10, v6, s30
	v_mul_lo_u32 v11, v6, s31
	s_sub_co_i32 s33, 0, s22
	v_rcp_iflag_f32_e32 v0, s26
	s_mul_i32 s27, s25, s27
	s_mul_i32 s28, s25, s28
	s_mul_i32 s29, s25, s29
	s_mul_i32 s30, s25, s30
	s_mul_i32 s31, s25, s31
	v_nop
	v_readfirstlane_b32 s26, v0
	s_mul_f32 s4, s26, 0x4f7ffffe
	s_ashr_i32 s26, s2, 31
	s_delay_alu instid0(SALU_CYCLE_2) | instskip(NEXT) | instid1(SALU_CYCLE_3)
	s_cvt_u32_f32 s4, s4
	s_mul_i32 s33, s33, s4
	s_delay_alu instid0(SALU_CYCLE_1) | instskip(NEXT) | instid1(SALU_CYCLE_1)
	s_mul_hi_u32 s33, s4, s33
	s_add_co_i32 s4, s4, s33
	s_mov_b32 s33, s5
	s_branch .LBB28_3
.LBB28_2:                               ;   in Loop: Header=BB28_3 Depth=1
	s_or_b32 exec_lo, exec_lo, s34
	s_delay_alu instid0(VALU_DEP_1) | instskip(SKIP_3) | instid1(VALU_DEP_4)
	v_bfi_b32 v5, 0x7fffffff, v19, v5
	v_lshlrev_b32_e32 v18, 16, v18
	v_mul_lo_u32 v22, v13, s24
	v_dual_lshlrev_b32 v15, 16, v15 :: v_dual_lshlrev_b32 v17, 16, v17
	v_mov_b32_e32 v19, v5
	v_mul_lo_u32 v14, v14, s24
	v_mul_lo_u32 v16, v16, s24
	v_dual_add_nc_u32 v7, s27, v7 :: v_dual_add_nc_u32 v8, s28, v8
	s_delay_alu instid0(VALU_DEP_4) | instskip(SKIP_2) | instid1(VALU_DEP_3)
	v_pk_mul_f32 v[20:21], v[4:5], v[18:19]
	v_mul_lo_u32 v19, v12, s24
	v_dual_mul_f32 v4, v4, v5 :: v_dual_sub_f32 v5, 1.0, v18
	v_dual_add_nc_u32 v11, s31, v11 :: v_dual_sub_f32 v21, 1.0, v21
	v_dual_lshlrev_b32 v12, 16, v2 :: v_dual_lshlrev_b32 v13, 16, v0
	v_dual_sub_f32 v0, 1.0, v17 :: v_dual_add_nc_u32 v10, s30, v10
	s_delay_alu instid0(VALU_DEP_3) | instskip(NEXT) | instid1(VALU_DEP_3)
	v_fmac_f32_e32 v3, v20, v21
	v_dual_mov_b32 v2, v12 :: v_dual_mul_f32 v20, v5, v4
	s_delay_alu instid0(VALU_DEP_2) | instskip(SKIP_1) | instid1(VALU_DEP_3)
	v_dual_sub_f32 v21, 1.0, v13 :: v_dual_mul_f32 v23, v3, v12
	v_mul_f32_e32 v15, v3, v15
	v_pk_mul_f32 v[4:5], v[2:3], v[12:13]
	s_delay_alu instid0(VALU_DEP_4) | instskip(NEXT) | instid1(VALU_DEP_4)
	v_mul_f32_e32 v2, v20, v18
	v_dual_add_nc_u32 v6, s25, v6 :: v_dual_mul_f32 v12, v21, v23
	s_delay_alu instid0(VALU_DEP_3) | instskip(SKIP_1) | instid1(VALU_DEP_4)
	v_dual_mul_f32 v0, v0, v15 :: v_dual_sub_f32 v4, 1.0, v4
	v_mul_f32_e32 v3, v3, v17
	v_bfe_u32 v15, v2, 16, 1
	s_delay_alu instid0(VALU_DEP_4) | instskip(NEXT) | instid1(VALU_DEP_4)
	v_mul_f32_e32 v12, v12, v13
	v_mul_f32_e32 v0, v0, v17
	;; [unrolled: 1-line block ×3, first 2 shown]
	v_cmp_o_f32_e32 vcc_lo, v2, v2
	v_add3_u32 v5, v2, v15, 0x7fff
	v_bfe_u32 v15, v12, 16, 1
	v_bfe_u32 v17, v0, 16, 1
	;; [unrolled: 1-line block ×3, first 2 shown]
	s_delay_alu instid0(VALU_DEP_4) | instskip(SKIP_4) | instid1(VALU_DEP_4)
	v_lshrrev_b32_e32 v5, 16, v5
	v_bfe_u32 v18, v4, 16, 1
	v_add3_u32 v15, v12, v15, 0x7fff
	v_add3_u32 v17, v0, v17, 0x7fff
	;; [unrolled: 1-line block ×4, first 2 shown]
	s_delay_alu instid0(VALU_DEP_4) | instskip(SKIP_1) | instid1(VALU_DEP_3)
	v_dual_cndmask_b32 v2, 0x7fc0, v5 :: v_dual_lshrrev_b32 v5, 16, v15
	v_cmp_o_f32_e32 vcc_lo, v12, v12
	v_dual_lshrrev_b32 v15, 16, v17 :: v_dual_lshrrev_b32 v17, 16, v18
	s_delay_alu instid0(VALU_DEP_3) | instskip(SKIP_1) | instid1(VALU_DEP_3)
	v_cndmask_b32_e32 v5, 0x7fc0, v5, vcc_lo
	v_cmp_o_f32_e32 vcc_lo, v0, v0
	v_dual_cndmask_b32 v0, 0x7fc0, v15 :: v_dual_lshrrev_b32 v13, 16, v13
	v_cmp_o_f32_e32 vcc_lo, v4, v4
	v_cndmask_b32_e32 v4, 0x7fc0, v17, vcc_lo
	v_cmp_o_f32_e32 vcc_lo, v3, v3
	s_delay_alu instid0(VALU_DEP_4)
	v_cndmask_b32_e32 v3, 0x7fc0, v13, vcc_lo
	v_cmp_le_i32_e32 vcc_lo, s3, v6
	s_clause 0x3
	global_store_b16 v14, v5, s[18:19] scale_offset
	global_store_b16 v16, v0, s[18:19] scale_offset
	;; [unrolled: 1-line block ×5, first 2 shown]
	s_wait_xcnt 0x0
	v_add_nc_u32_e32 v9, s29, v9
	s_or_b32 s33, vcc_lo, s33
	s_delay_alu instid0(SALU_CYCLE_1)
	s_and_not1_b32 exec_lo, exec_lo, s33
	s_cbranch_execz .LBB28_12
.LBB28_3:                               ; =>This Inner Loop Header: Depth=1
	v_sub_nc_u32_e32 v0, 0, v6
	s_delay_alu instid0(VALU_DEP_1) | instskip(NEXT) | instid1(VALU_DEP_1)
	v_max_i32_e32 v0, v6, v0
	v_mul_u64_e32 v[2:3], s[4:5], v[0:1]
	s_delay_alu instid0(VALU_DEP_1) | instskip(NEXT) | instid1(VALU_DEP_1)
	v_mul_lo_u32 v2, v3, s22
	v_dual_sub_nc_u32 v0, v0, v2 :: v_dual_add_nc_u32 v2, 1, v3
	s_delay_alu instid0(VALU_DEP_1) | instskip(SKIP_1) | instid1(VALU_DEP_3)
	v_subrev_nc_u32_e32 v4, s22, v0
	v_cmp_le_u32_e32 vcc_lo, s22, v0
	v_cndmask_b32_e32 v2, v3, v2, vcc_lo
	s_delay_alu instid0(VALU_DEP_3) | instskip(NEXT) | instid1(VALU_DEP_2)
	v_dual_cndmask_b32 v0, v0, v4 :: v_dual_ashrrev_i32 v3, 31, v6
	v_add_nc_u32_e32 v4, 1, v2
	s_delay_alu instid0(VALU_DEP_2) | instskip(NEXT) | instid1(VALU_DEP_2)
	v_cmp_le_u32_e32 vcc_lo, s22, v0
	v_dual_cndmask_b32 v0, v2, v4, vcc_lo :: v_dual_bitop2_b32 v3, s26, v3 bitop3:0x14
	s_delay_alu instid0(VALU_DEP_1) | instskip(SKIP_1) | instid1(VALU_DEP_2)
	v_mul_i32_i24_e32 v2, 3, v3
	s_and_not1_b32 vcc_lo, exec_lo, s20
	v_xor_b32_e32 v0, v0, v3
	s_delay_alu instid0(VALU_DEP_1) | instskip(NEXT) | instid1(VALU_DEP_1)
	v_lshl_add_u32 v4, v0, 1, v0
	v_sub_nc_u32_e32 v2, v4, v2
	s_delay_alu instid0(VALU_DEP_1) | instskip(SKIP_2) | instid1(VALU_DEP_3)
	v_dual_add_nc_u32 v4, 2, v2 :: v_dual_sub_nc_u32 v0, v0, v3
	v_mul_lo_u32 v3, s2, v2
	v_add_nc_u32_e32 v2, 3, v2
	v_mad_u32 v12, s2, v4, v6
	s_delay_alu instid0(VALU_DEP_4) | instskip(NEXT) | instid1(VALU_DEP_3)
	v_mad_u32 v14, s0, v0, v6
	v_mad_u32 v13, s2, v2, v6
	v_add3_u32 v16, v3, s2, v6
	s_delay_alu instid0(VALU_DEP_4) | instskip(NEXT) | instid1(VALU_DEP_4)
	v_mul_lo_u32 v19, v12, s23
	v_mul_lo_u32 v3, v14, s23
	s_delay_alu instid0(VALU_DEP_3)
	v_mul_lo_u32 v4, v16, s23
	v_mul_lo_u32 v20, v13, s23
	global_load_u16 v15, v7, s[10:11] scale_offset
	s_clause 0x3
	global_load_u16 v0, v3, s[16:17] scale_offset
	global_load_u16 v17, v4, s[16:17] scale_offset
	;; [unrolled: 1-line block ×5, first 2 shown]
	s_wait_xcnt 0x3
	v_mov_b32_e32 v4, 0
	s_cbranch_vccnz .LBB28_5
; %bb.4:                                ;   in Loop: Header=BB28_3 Depth=1
	global_load_u16 v3, v10, s[6:7] scale_offset
	s_wait_loadcnt 0x0
	v_lshlrev_b32_e32 v4, 16, v3
.LBB28_5:                               ;   in Loop: Header=BB28_3 Depth=1
	s_and_not1_b32 vcc_lo, exec_lo, s21
	s_cbranch_vccnz .LBB28_7
; %bb.6:                                ;   in Loop: Header=BB28_3 Depth=1
	global_load_u16 v3, v11, s[8:9] scale_offset
	s_wait_loadcnt 0x0
	v_lshlrev_b32_e32 v3, 16, v3
	s_branch .LBB28_8
.LBB28_7:                               ;   in Loop: Header=BB28_3 Depth=1
	v_mov_b32_e32 v3, 0
.LBB28_8:                               ;   in Loop: Header=BB28_3 Depth=1
	s_wait_loadcnt 0x0
	v_lshlrev_b32_e32 v5, 16, v5
                                        ; implicit-def: $vgpr19
	s_delay_alu instid0(VALU_DEP_1) | instskip(SKIP_2) | instid1(SALU_CYCLE_1)
	v_cmp_ngt_f32_e64 s34, 0x3f200000, |v5|
	s_wait_xcnt 0x0
	s_and_saveexec_b32 s35, s34
	s_xor_b32 s34, exec_lo, s35
	s_cbranch_execz .LBB28_10
; %bb.9:                                ;   in Loop: Header=BB28_3 Depth=1
	v_add_f32_e64 v19, |v5|, |v5|
	s_delay_alu instid0(VALU_DEP_1) | instskip(SKIP_1) | instid1(VALU_DEP_2)
	v_mul_f32_e32 v20, 0x3fb8aa3b, v19
	v_cmp_ngt_f32_e32 vcc_lo, 0xc2ce8ed0, v19
	v_rndne_f32_e32 v21, v20
	v_fma_f32 v22, 0x3fb8aa3b, v19, -v20
	s_delay_alu instid0(VALU_DEP_2) | instskip(NEXT) | instid1(VALU_DEP_2)
	v_sub_f32_e32 v20, v20, v21
	v_fmac_f32_e32 v22, 0x32a5705f, v19
	v_cvt_i32_f32_e32 v21, v21
	s_delay_alu instid0(VALU_DEP_2) | instskip(NEXT) | instid1(VALU_DEP_1)
	v_add_f32_e32 v20, v20, v22
	v_exp_f32_e32 v20, v20
	v_nop
	s_delay_alu instid0(TRANS32_DEP_1) | instskip(NEXT) | instid1(VALU_DEP_1)
	v_ldexp_f32 v20, v20, v21
	v_cndmask_b32_e32 v20, 0, v20, vcc_lo
	v_cmp_nlt_f32_e32 vcc_lo, 0x42b17218, v19
	s_delay_alu instid0(VALU_DEP_2) | instskip(NEXT) | instid1(VALU_DEP_1)
	v_cndmask_b32_e32 v19, 0x7f800000, v20, vcc_lo
	v_add_f32_e32 v19, 1.0, v19
	s_delay_alu instid0(VALU_DEP_1) | instskip(SKIP_1) | instid1(TRANS32_DEP_1)
	v_rcp_f32_e32 v19, v19
	v_nop
	v_fma_f32 v19, v19, -2.0, 1.0
.LBB28_10:                              ;   in Loop: Header=BB28_3 Depth=1
	s_and_not1_saveexec_b32 s34, s34
	s_cbranch_execz .LBB28_2
; %bb.11:                               ;   in Loop: Header=BB28_3 Depth=1
	v_mul_f32_e32 v19, v5, v5
	s_delay_alu instid0(VALU_DEP_1) | instskip(NEXT) | instid1(VALU_DEP_1)
	v_fmaak_f32 v20, s1, v19, 0x3ca908c9
	v_fmaak_f32 v20, v19, v20, 0xbd5c1c4e
	s_delay_alu instid0(VALU_DEP_1) | instskip(NEXT) | instid1(VALU_DEP_1)
	v_fmaak_f32 v20, v19, v20, 0x3e088382
	v_fmaak_f32 v20, v19, v20, 0xbeaaaa99
	s_delay_alu instid0(VALU_DEP_1) | instskip(NEXT) | instid1(VALU_DEP_1)
	v_mul_f32_e64 v20, |v5|, v20
	v_fma_f32 v19, v19, v20, |v5|
	s_branch .LBB28_2
.LBB28_12:
	s_endpgm
	.section	.rodata,"a",@progbits
	.p2align	6, 0x0
	.amdhsa_kernel _ZN2at6native12_GLOBAL__N_16kernel18lstm_cell_backwardIN3c108BFloat16EfiLi1EEEvNS_4cuda6detail10TensorInfoIT_T1_EESB_SB_SB_SB_SB_SB_SA_SA_
		.amdhsa_group_segment_fixed_size 0
		.amdhsa_private_segment_fixed_size 0
		.amdhsa_kernarg_size 1776
		.amdhsa_user_sgpr_count 2
		.amdhsa_user_sgpr_dispatch_ptr 0
		.amdhsa_user_sgpr_queue_ptr 0
		.amdhsa_user_sgpr_kernarg_segment_ptr 1
		.amdhsa_user_sgpr_dispatch_id 0
		.amdhsa_user_sgpr_kernarg_preload_length 0
		.amdhsa_user_sgpr_kernarg_preload_offset 0
		.amdhsa_user_sgpr_private_segment_size 0
		.amdhsa_wavefront_size32 1
		.amdhsa_uses_dynamic_stack 0
		.amdhsa_enable_private_segment 0
		.amdhsa_system_sgpr_workgroup_id_x 1
		.amdhsa_system_sgpr_workgroup_id_y 0
		.amdhsa_system_sgpr_workgroup_id_z 0
		.amdhsa_system_sgpr_workgroup_info 0
		.amdhsa_system_vgpr_workitem_id 0
		.amdhsa_next_free_vgpr 24
		.amdhsa_next_free_sgpr 36
		.amdhsa_named_barrier_count 0
		.amdhsa_reserve_vcc 1
		.amdhsa_float_round_mode_32 0
		.amdhsa_float_round_mode_16_64 0
		.amdhsa_float_denorm_mode_32 3
		.amdhsa_float_denorm_mode_16_64 3
		.amdhsa_fp16_overflow 0
		.amdhsa_memory_ordered 1
		.amdhsa_forward_progress 1
		.amdhsa_inst_pref_size 13
		.amdhsa_round_robin_scheduling 0
		.amdhsa_exception_fp_ieee_invalid_op 0
		.amdhsa_exception_fp_denorm_src 0
		.amdhsa_exception_fp_ieee_div_zero 0
		.amdhsa_exception_fp_ieee_overflow 0
		.amdhsa_exception_fp_ieee_underflow 0
		.amdhsa_exception_fp_ieee_inexact 0
		.amdhsa_exception_int_div_zero 0
	.end_amdhsa_kernel
	.section	.text._ZN2at6native12_GLOBAL__N_16kernel18lstm_cell_backwardIN3c108BFloat16EfiLi1EEEvNS_4cuda6detail10TensorInfoIT_T1_EESB_SB_SB_SB_SB_SB_SA_SA_,"axG",@progbits,_ZN2at6native12_GLOBAL__N_16kernel18lstm_cell_backwardIN3c108BFloat16EfiLi1EEEvNS_4cuda6detail10TensorInfoIT_T1_EESB_SB_SB_SB_SB_SB_SA_SA_,comdat
.Lfunc_end28:
	.size	_ZN2at6native12_GLOBAL__N_16kernel18lstm_cell_backwardIN3c108BFloat16EfiLi1EEEvNS_4cuda6detail10TensorInfoIT_T1_EESB_SB_SB_SB_SB_SB_SA_SA_, .Lfunc_end28-_ZN2at6native12_GLOBAL__N_16kernel18lstm_cell_backwardIN3c108BFloat16EfiLi1EEEvNS_4cuda6detail10TensorInfoIT_T1_EESB_SB_SB_SB_SB_SB_SA_SA_
                                        ; -- End function
	.set _ZN2at6native12_GLOBAL__N_16kernel18lstm_cell_backwardIN3c108BFloat16EfiLi1EEEvNS_4cuda6detail10TensorInfoIT_T1_EESB_SB_SB_SB_SB_SB_SA_SA_.num_vgpr, 24
	.set _ZN2at6native12_GLOBAL__N_16kernel18lstm_cell_backwardIN3c108BFloat16EfiLi1EEEvNS_4cuda6detail10TensorInfoIT_T1_EESB_SB_SB_SB_SB_SB_SA_SA_.num_agpr, 0
	.set _ZN2at6native12_GLOBAL__N_16kernel18lstm_cell_backwardIN3c108BFloat16EfiLi1EEEvNS_4cuda6detail10TensorInfoIT_T1_EESB_SB_SB_SB_SB_SB_SA_SA_.numbered_sgpr, 36
	.set _ZN2at6native12_GLOBAL__N_16kernel18lstm_cell_backwardIN3c108BFloat16EfiLi1EEEvNS_4cuda6detail10TensorInfoIT_T1_EESB_SB_SB_SB_SB_SB_SA_SA_.num_named_barrier, 0
	.set _ZN2at6native12_GLOBAL__N_16kernel18lstm_cell_backwardIN3c108BFloat16EfiLi1EEEvNS_4cuda6detail10TensorInfoIT_T1_EESB_SB_SB_SB_SB_SB_SA_SA_.private_seg_size, 0
	.set _ZN2at6native12_GLOBAL__N_16kernel18lstm_cell_backwardIN3c108BFloat16EfiLi1EEEvNS_4cuda6detail10TensorInfoIT_T1_EESB_SB_SB_SB_SB_SB_SA_SA_.uses_vcc, 1
	.set _ZN2at6native12_GLOBAL__N_16kernel18lstm_cell_backwardIN3c108BFloat16EfiLi1EEEvNS_4cuda6detail10TensorInfoIT_T1_EESB_SB_SB_SB_SB_SB_SA_SA_.uses_flat_scratch, 0
	.set _ZN2at6native12_GLOBAL__N_16kernel18lstm_cell_backwardIN3c108BFloat16EfiLi1EEEvNS_4cuda6detail10TensorInfoIT_T1_EESB_SB_SB_SB_SB_SB_SA_SA_.has_dyn_sized_stack, 0
	.set _ZN2at6native12_GLOBAL__N_16kernel18lstm_cell_backwardIN3c108BFloat16EfiLi1EEEvNS_4cuda6detail10TensorInfoIT_T1_EESB_SB_SB_SB_SB_SB_SA_SA_.has_recursion, 0
	.set _ZN2at6native12_GLOBAL__N_16kernel18lstm_cell_backwardIN3c108BFloat16EfiLi1EEEvNS_4cuda6detail10TensorInfoIT_T1_EESB_SB_SB_SB_SB_SB_SA_SA_.has_indirect_call, 0
	.section	.AMDGPU.csdata,"",@progbits
; Kernel info:
; codeLenInByte = 1588
; TotalNumSgprs: 38
; NumVgprs: 24
; ScratchSize: 0
; MemoryBound: 0
; FloatMode: 240
; IeeeMode: 1
; LDSByteSize: 0 bytes/workgroup (compile time only)
; SGPRBlocks: 0
; VGPRBlocks: 1
; NumSGPRsForWavesPerEU: 38
; NumVGPRsForWavesPerEU: 24
; NamedBarCnt: 0
; Occupancy: 16
; WaveLimiterHint : 1
; COMPUTE_PGM_RSRC2:SCRATCH_EN: 0
; COMPUTE_PGM_RSRC2:USER_SGPR: 2
; COMPUTE_PGM_RSRC2:TRAP_HANDLER: 0
; COMPUTE_PGM_RSRC2:TGID_X_EN: 1
; COMPUTE_PGM_RSRC2:TGID_Y_EN: 0
; COMPUTE_PGM_RSRC2:TGID_Z_EN: 0
; COMPUTE_PGM_RSRC2:TIDIG_COMP_CNT: 0
	.section	.text._ZN2at6native12_GLOBAL__N_16kernel18lstm_cell_backwardIN3c108BFloat16EfiLi2EEEvNS_4cuda6detail10TensorInfoIT_T1_EESB_SB_SB_SB_SB_SB_SA_SA_,"axG",@progbits,_ZN2at6native12_GLOBAL__N_16kernel18lstm_cell_backwardIN3c108BFloat16EfiLi2EEEvNS_4cuda6detail10TensorInfoIT_T1_EESB_SB_SB_SB_SB_SB_SA_SA_,comdat
	.globl	_ZN2at6native12_GLOBAL__N_16kernel18lstm_cell_backwardIN3c108BFloat16EfiLi2EEEvNS_4cuda6detail10TensorInfoIT_T1_EESB_SB_SB_SB_SB_SB_SA_SA_ ; -- Begin function _ZN2at6native12_GLOBAL__N_16kernel18lstm_cell_backwardIN3c108BFloat16EfiLi2EEEvNS_4cuda6detail10TensorInfoIT_T1_EESB_SB_SB_SB_SB_SB_SA_SA_
	.p2align	8
	.type	_ZN2at6native12_GLOBAL__N_16kernel18lstm_cell_backwardIN3c108BFloat16EfiLi2EEEvNS_4cuda6detail10TensorInfoIT_T1_EESB_SB_SB_SB_SB_SB_SA_SA_,@function
_ZN2at6native12_GLOBAL__N_16kernel18lstm_cell_backwardIN3c108BFloat16EfiLi2EEEvNS_4cuda6detail10TensorInfoIT_T1_EESB_SB_SB_SB_SB_SB_SA_SA_: ; @_ZN2at6native12_GLOBAL__N_16kernel18lstm_cell_backwardIN3c108BFloat16EfiLi2EEEvNS_4cuda6detail10TensorInfoIT_T1_EESB_SB_SB_SB_SB_SB_SA_SA_
; %bb.0:
	s_clause 0x1
	s_load_b32 s2, s[0:1], 0x5fc
	s_load_b64 s[4:5], s[0:1], 0x5e8
	s_bfe_u32 s3, ttmp6, 0x4000c
	s_and_b32 s6, ttmp6, 15
	s_add_co_i32 s3, s3, 1
	s_getreg_b32 s7, hwreg(HW_REG_IB_STS2, 6, 4)
	s_mul_i32 s3, ttmp9, s3
	s_delay_alu instid0(SALU_CYCLE_1)
	s_add_co_i32 s6, s6, s3
	s_wait_kmcnt 0x0
	s_and_b32 s2, s2, 0xffff
	s_cmp_eq_u32 s7, 0
	s_mov_b32 s7, 0
	s_cselect_b32 s3, ttmp9, s6
	s_delay_alu instid0(SALU_CYCLE_1) | instskip(SKIP_1) | instid1(VALU_DEP_1)
	v_mad_u32 v14, s3, s2, v0
	s_mov_b32 s3, exec_lo
	v_cmpx_gt_i32_e64 s5, v14
	s_cbranch_execz .LBB29_12
; %bb.1:
	s_clause 0x4
	s_load_b64 s[8:9], s[0:1], 0x360
	s_load_b64 s[10:11], s[0:1], 0x438
	s_load_b32 s33, s[0:1], 0xc
	s_load_b32 s3, s[0:1], 0x36c
	s_load_b64 s[12:13], s[0:1], 0x3cc
	s_add_nc_u64 s[20:21], s[0:1], 0x5f0
	s_clause 0x2
	s_load_b64 s[14:15], s[0:1], 0x0
	s_load_b64 s[16:17], s[0:1], 0x6c
	;; [unrolled: 1-line block ×3, first 2 shown]
	s_load_b32 s57, s[20:21], 0x0
	s_load_b32 s52, s[0:1], 0xe4
	s_wait_xcnt 0x0
	s_clause 0xa
	s_load_b64 s[20:21], s[0:1], 0x144
	s_load_b64 s[22:23], s[0:1], 0x1b0
	s_load_b32 s73, s[0:1], 0x1bc
	s_load_b64 s[24:25], s[0:1], 0x21c
	s_load_b64 s[26:27], s[0:1], 0x288
	s_load_b32 s74, s[0:1], 0x294
	s_load_b64 s[28:29], s[0:1], 0x2f4
	s_load_b32 s77, s[0:1], 0x444
	s_load_b64 s[30:31], s[0:1], 0x4a4
	s_load_b64 s[34:35], s[0:1], 0x510
	s_load_b32 s75, s[0:1], 0x51c
	s_mov_b32 s43, s7
	s_mov_b32 s47, s7
	;; [unrolled: 1-line block ×3, first 2 shown]
	s_mul_i32 s72, s4, 3
	s_mov_b32 s78, 0xbbbac73d
	s_mov_b32 s79, s7
	s_wait_kmcnt 0x0
	s_cmp_lg_u64 s[8:9], 0
	s_cselect_b32 s53, -1, 0
	s_cmp_lg_u64 s[10:11], 0
	s_cselect_b32 s54, -1, 0
	s_abs_i32 s55, s4
	s_abs_i32 s56, s33
	s_cvt_f32_u32 s6, s55
	s_cvt_f32_u32 s36, s56
	s_abs_i32 s58, s52
	s_mul_i32 s57, s57, s2
	v_rcp_iflag_f32_e32 v0, s6
	v_rcp_iflag_f32_e32 v1, s36
	s_load_b64 s[36:37], s[0:1], 0x57c
	s_wait_xcnt 0x0
	s_cvt_f32_u32 s0, s58
	s_abs_i32 s61, s73
	s_sub_co_i32 s6, 0, s56
	s_cvt_f32_u32 s38, s61
	v_readfirstlane_b32 s1, v0
	v_readfirstlane_b32 s2, v1
	v_rcp_iflag_f32_e32 v0, s0
	s_abs_i32 s63, s74
	s_abs_i32 s64, s75
	s_mul_f32 s0, s1, 0x4f7ffffe
	s_mul_f32 s1, s2, 0x4f7ffffe
	s_sub_co_i32 s2, 0, s55
	s_cvt_f32_u32 s41, s63
	s_cvt_u32_f32 s0, s0
	s_cvt_u32_f32 s1, s1
	v_nop
	v_readfirstlane_b32 s39, v0
	v_rcp_iflag_f32_e32 v0, s38
	s_mul_i32 s2, s2, s0
	s_mul_i32 s6, s6, s1
	s_mul_hi_u32 s2, s0, s2
	s_mul_hi_u32 s40, s1, s6
	s_add_co_i32 s6, s0, s2
	s_mul_f32 s0, s39, 0x4f7ffffe
	v_nop
	v_readfirstlane_b32 s2, v0
	s_add_co_i32 s38, s1, s40
	s_sub_co_i32 s1, 0, s58
	s_cvt_u32_f32 s0, s0
	v_rcp_iflag_f32_e32 v0, s41
	s_mul_f32 s2, s2, 0x4f7ffffe
	s_abs_i32 s66, s3
	s_mul_i32 s1, s1, s0
	s_abs_i32 s68, s77
	s_mul_hi_u32 s1, s0, s1
	s_sub_co_i32 s44, 0, s63
	s_add_co_i32 s40, s0, s1
	s_cvt_u32_f32 s0, s2
	s_cvt_f32_u32 s1, s64
	s_sub_co_i32 s2, 0, s61
	s_sub_co_i32 s45, 0, s64
	s_mul_i32 s2, s2, s0
	v_rcp_iflag_f32_e32 v1, s1
	v_nop
	v_readfirstlane_b32 s1, v0
	s_mul_hi_u32 s2, s0, s2
	s_sub_co_i32 s49, 0, s68
	s_add_co_i32 s42, s0, s2
	s_cvt_f32_u32 s2, s66
	s_mul_f32 s0, s1, 0x4f7ffffe
	v_readfirstlane_b32 s1, v1
	s_ashr_i32 s59, s4, 31
	v_rcp_iflag_f32_e32 v0, s2
	s_cvt_f32_u32 s2, s68
	s_cvt_u32_f32 s0, s0
	s_mul_f32 s1, s1, 0x4f7ffffe
	s_ashr_i32 s60, s33, 31
	v_rcp_iflag_f32_e32 v1, s2
	s_mul_i32 s44, s44, s0
	v_nop
	v_readfirstlane_b32 s2, v0
	s_cvt_u32_f32 s1, s1
	s_mul_hi_u32 s44, s0, s44
	s_mov_b32 s39, s7
	s_add_co_i32 s44, s0, s44
	v_readfirstlane_b32 s48, v1
	s_mul_i32 s0, s45, s1
	s_mul_f32 s2, s2, 0x4f7ffffe
	s_mul_hi_u32 s0, s1, s0
	v_mov_b32_e32 v1, 0
	s_add_co_i32 s46, s1, s0
	s_cvt_u32_f32 s0, s2
	s_mul_f32 s1, s48, 0x4f7ffffe
	s_sub_co_i32 s2, 0, s66
	s_ashr_i32 s62, s52, 31
	s_mul_i32 s2, s2, s0
	s_cvt_u32_f32 s1, s1
	s_mul_hi_u32 s2, s0, s2
	s_mov_b32 s41, s7
	s_add_co_i32 s48, s0, s2
	s_mul_i32 s0, s49, s1
	s_ashr_i32 s65, s73, 31
	s_mul_hi_u32 s0, s1, s0
	s_ashr_i32 s67, s74, 31
	s_mov_b32 s45, s7
	s_ashr_i32 s69, s75, 31
	s_ashr_i32 s70, s3, 31
	s_mov_b32 s49, s7
	s_ashr_i32 s71, s77, 31
	s_add_co_i32 s50, s1, s0
	s_sub_co_i32 s73, 0, s73
	s_sub_co_i32 s74, 0, s74
	;; [unrolled: 1-line block ×5, first 2 shown]
	s_branch .LBB29_3
.LBB29_2:                               ;   in Loop: Header=BB29_3 Depth=1
	s_or_b32 exec_lo, exec_lo, s0
	v_mul_u64_e32 v[30:31], s[40:41], v[2:3]
	v_mul_u64_e32 v[32:33], s[40:41], v[6:7]
	v_mul_u64_e32 v[34:35], s[40:41], v[4:5]
	v_mul_u64_e32 v[36:37], s[40:41], v[8:9]
	v_mul_u64_e32 v[38:39], s[46:47], v[0:1]
	v_dual_lshlrev_b32 v24, 16, v24 :: v_dual_bitop2_b32 v3, s62, v18 bitop3:0x14
	v_dual_lshlrev_b32 v18, 16, v26 :: v_dual_bitop2_b32 v5, s62, v19 bitop3:0x14
	v_xor_b32_e32 v29, s69, v11
	v_bfi_b32 v11, 0x7fffffff, v28, v27
	v_dual_lshlrev_b32 v25, 16, v25 :: v_dual_bitop2_b32 v7, s62, v20 bitop3:0x14
	v_dual_lshlrev_b32 v21, 16, v22 :: v_dual_bitop2_b32 v9, s62, v21 bitop3:0x14
	s_delay_alu instid0(VALU_DEP_3) | instskip(NEXT) | instid1(VALU_DEP_1)
	v_dual_mov_b32 v19, v11 :: v_dual_lshlrev_b32 v20, 16, v23
	v_pk_mul_f32 v[22:23], v[10:11], v[18:19]
	v_mul_lo_u32 v26, v31, s58
	v_mul_lo_u32 v27, v33, s58
	;; [unrolled: 1-line block ×5, first 2 shown]
	v_add_nc_u32_e32 v36, 1, v35
	v_dual_add_nc_u32 v19, 1, v31 :: v_dual_add_nc_u32 v38, 1, v37
	v_dual_add_nc_u32 v40, 1, v39 :: v_dual_add_nc_u32 v34, 1, v33
	v_sub_nc_u32_e32 v2, v2, v26
	v_dual_sub_nc_u32 v6, v6, v27 :: v_dual_sub_nc_u32 v4, v4, v28
	v_sub_nc_u32_e32 v8, v8, v30
	s_delay_alu instid0(VALU_DEP_3)
	v_cmp_le_u32_e32 vcc_lo, s58, v2
	v_subrev_nc_u32_e32 v26, s58, v2
	v_sub_nc_u32_e32 v0, v0, v32
	v_cmp_le_u32_e64 s0, s58, v6
	v_subrev_nc_u32_e32 v28, s58, v6
	v_cndmask_b32_e32 v19, v31, v19, vcc_lo
	v_cmp_le_u32_e64 s1, s58, v4
	v_cndmask_b32_e32 v2, v2, v26, vcc_lo
	v_cndmask_b32_e64 v27, v33, v34, s0
	v_subrev_nc_u32_e32 v31, s58, v4
	s_delay_alu instid0(VALU_DEP_4) | instskip(NEXT) | instid1(VALU_DEP_3)
	v_dual_add_nc_u32 v26, 1, v19 :: v_dual_cndmask_b32 v30, v35, v36, s1
	v_dual_cndmask_b32 v6, v6, v28, s0 :: v_dual_add_nc_u32 v28, 1, v27
	v_cmp_le_u32_e32 vcc_lo, s58, v2
	v_cmp_le_u32_e64 s2, s58, v8
	v_subrev_nc_u32_e32 v33, s58, v8
	v_dual_cndmask_b32 v4, v4, v31, s1 :: v_dual_add_nc_u32 v31, 1, v30
	v_cndmask_b32_e32 v2, v19, v26, vcc_lo
	v_cmp_le_u32_e32 vcc_lo, s58, v6
	v_cmp_le_u32_e64 s3, s64, v0
	v_dual_cndmask_b32 v32, v37, v38, s2 :: v_dual_cndmask_b32 v8, v8, v33, s2
	v_subrev_nc_u32_e32 v35, s64, v0
	v_cndmask_b32_e32 v6, v27, v28, vcc_lo
	v_cmp_le_u32_e32 vcc_lo, s58, v4
	v_dual_cndmask_b32 v34, v39, v40, s3 :: v_dual_cndmask_b32 v4, v30, v31, vcc_lo
	v_dual_add_nc_u32 v19, 1, v32 :: v_dual_bitop2_b32 v2, v2, v3 bitop3:0x14
	v_cmp_le_u32_e32 vcc_lo, s58, v8
	s_delay_alu instid0(VALU_DEP_2) | instskip(NEXT) | instid1(VALU_DEP_4)
	v_dual_cndmask_b32 v8, v32, v19, vcc_lo :: v_dual_bitop2_b32 v6, v6, v5 bitop3:0x14
	v_xor_b32_e32 v4, v4, v7
	s_delay_alu instid0(VALU_DEP_4) | instskip(NEXT) | instid1(VALU_DEP_3)
	v_sub_nc_u32_e32 v2, v2, v3
	v_dual_sub_nc_u32 v3, v6, v5 :: v_dual_add_nc_u32 v19, 1, v34
	s_delay_alu instid0(VALU_DEP_4) | instskip(NEXT) | instid1(VALU_DEP_4)
	v_xor_b32_e32 v5, v8, v9
	v_sub_nc_u32_e32 v4, v4, v7
	v_cndmask_b32_e64 v0, v0, v35, s3
	v_mul_lo_u32 v6, v2, s52
	v_mul_lo_u32 v7, v3, s52
	v_sub_nc_u32_e32 v5, v5, v9
	v_mul_lo_u32 v8, v4, s52
	v_cmp_le_u32_e32 vcc_lo, s64, v0
	v_dual_sub_f32 v9, 1.0, v23 :: v_dual_sub_f32 v23, 1.0, v21
	v_cndmask_b32_e32 v0, v34, v19, vcc_lo
	v_mul_lo_u32 v19, v5, s52
	s_delay_alu instid0(VALU_DEP_3) | instskip(SKIP_1) | instid1(VALU_DEP_2)
	v_dual_fmac_f32 v13, v22, v9 :: v_dual_sub_nc_u32 v7, v15, v7
	v_dual_sub_nc_u32 v6, v12, v6 :: v_dual_sub_nc_u32 v8, v17, v8
	v_dual_mul_f32 v9, v13, v20 :: v_dual_bitop2_b32 v0, v0, v29 bitop3:0x14
	s_delay_alu instid0(VALU_DEP_2) | instskip(NEXT) | instid1(VALU_DEP_3)
	v_dual_add_nc_u32 v7, v14, v7 :: v_dual_add_nc_u32 v6, v14, v6
	v_add_nc_u32_e32 v8, v14, v8
	v_dual_mul_f32 v17, v13, v24 :: v_dual_sub_nc_u32 v12, v16, v19
	s_delay_alu instid0(VALU_DEP_4) | instskip(SKIP_1) | instid1(VALU_DEP_4)
	v_mul_f32_e32 v9, v23, v9
	v_sub_nc_u32_e32 v0, v0, v29
	v_mul_lo_u32 v8, v8, s21
	v_mul_lo_u32 v6, v6, s21
	v_add_nc_u32_e32 v12, v14, v12
	v_mul_lo_u32 v7, v7, s21
	v_mad_u32 v15, s75, v0, v14
	v_mul_f32_e32 v9, v9, v21
	v_sub_f32_e32 v16, 1.0, v25
	v_mul_lo_u32 v19, v12, s21
	v_dual_mov_b32 v12, v20 :: v_dual_mul_f32 v10, v10, v11
	s_delay_alu instid0(VALU_DEP_4)
	v_bfe_u32 v11, v9, 16, 1
	v_mad_u32 v4, v4, s20, v8
	v_mad_u32 v6, v2, s20, v6
	v_cmp_o_f32_e32 vcc_lo, v9, v9
	v_mad_u32 v7, v3, s20, v7
	s_wait_kmcnt 0x0
	v_mul_lo_u32 v8, v15, s37
	v_pk_mul_f32 v[2:3], v[12:13], v[20:21]
	v_dual_mul_f32 v15, v16, v17 :: v_dual_sub_f32 v12, 1.0, v18
	v_add3_u32 v11, v9, v11, 0x7fff
	v_add_nc_u32_e32 v14, s57, v14
	s_delay_alu instid0(VALU_DEP_3) | instskip(SKIP_3) | instid1(VALU_DEP_4)
	v_dual_sub_f32 v2, 1.0, v2 :: v_dual_mul_f32 v15, v15, v25
	v_mad_u32 v5, v5, s20, v19
	v_mad_u32 v0, v0, s36, v8
	v_dual_lshrrev_b32 v8, 16, v11 :: v_dual_mul_f32 v10, v12, v10
	v_mul_f32_e32 v2, v2, v3
	v_bfe_u32 v11, v15, 16, 1
	s_delay_alu instid0(VALU_DEP_3) | instskip(NEXT) | instid1(VALU_DEP_3)
	v_dual_cndmask_b32 v8, 0x7fc0, v8 :: v_dual_mul_f32 v3, v10, v18
	v_bfe_u32 v10, v2, 16, 1
	s_delay_alu instid0(VALU_DEP_3)
	v_add3_u32 v9, v15, v11, 0x7fff
	v_cmp_o_f32_e32 vcc_lo, v15, v15
	global_store_b16 v6, v8, s[18:19] scale_offset
	v_bfe_u32 v12, v3, 16, 1
	s_wait_xcnt 0x0
	v_add3_u32 v8, v2, v10, 0x7fff
	v_lshrrev_b32_e32 v6, 16, v9
	s_delay_alu instid0(VALU_DEP_3) | instskip(NEXT) | instid1(VALU_DEP_3)
	v_add3_u32 v10, v3, v12, 0x7fff
	v_dual_mul_f32 v11, v13, v25 :: v_dual_lshrrev_b32 v8, 16, v8
	s_delay_alu instid0(VALU_DEP_3) | instskip(SKIP_1) | instid1(VALU_DEP_3)
	v_cndmask_b32_e32 v6, 0x7fc0, v6, vcc_lo
	v_cmp_o_f32_e32 vcc_lo, v2, v2
	v_bfe_u32 v9, v11, 16, 1
	v_cmp_o_f32_e64 s0, v11, v11
	v_cndmask_b32_e32 v2, 0x7fc0, v8, vcc_lo
	v_cmp_o_f32_e32 vcc_lo, v3, v3
	s_clause 0x1
	global_store_b16 v7, v6, s[18:19] scale_offset
	global_store_b16 v4, v2, s[18:19] scale_offset
	v_add3_u32 v9, v11, v9, 0x7fff
	s_delay_alu instid0(VALU_DEP_1) | instskip(NEXT) | instid1(VALU_DEP_1)
	v_dual_lshrrev_b32 v10, 16, v10 :: v_dual_lshrrev_b32 v8, 16, v9
	v_cndmask_b32_e32 v3, 0x7fc0, v10, vcc_lo
	v_cmp_le_i32_e32 vcc_lo, s5, v14
	s_delay_alu instid0(VALU_DEP_3)
	v_cndmask_b32_e64 v8, 0x7fc0, v8, s0
	global_store_b16 v5, v3, s[18:19] scale_offset
	global_store_b16 v0, v8, s[34:35] scale_offset
	s_or_b32 s79, vcc_lo, s79
	s_wait_xcnt 0x0
	s_and_not1_b32 exec_lo, exec_lo, s79
	s_cbranch_execz .LBB29_12
.LBB29_3:                               ; =>This Inner Loop Header: Depth=1
	v_dual_sub_nc_u32 v0, 0, v14 :: v_dual_ashrrev_i32 v11, 31, v14
	s_delay_alu instid0(VALU_DEP_1) | instskip(NEXT) | instid1(VALU_DEP_1)
	v_dual_mov_b32 v7, v1 :: v_dual_max_i32 v0, v14, v0
	v_mul_u64_e32 v[2:3], s[6:7], v[0:1]
	v_mul_u64_e32 v[22:23], s[42:43], v[0:1]
	;; [unrolled: 1-line block ×3, first 2 shown]
	v_xor_b32_e32 v22, s65, v11
	s_delay_alu instid0(VALU_DEP_4) | instskip(SKIP_3) | instid1(VALU_DEP_4)
	v_mul_lo_u32 v2, v3, s55
	v_add_nc_u32_e32 v4, 1, v3
	v_mul_lo_u32 v10, v23, s61
	v_mul_lo_u32 v13, v25, s63
	v_dual_add_nc_u32 v24, 1, v23 :: v_dual_sub_nc_u32 v2, v0, v2
	s_delay_alu instid0(VALU_DEP_3) | instskip(NEXT) | instid1(VALU_DEP_2)
	v_sub_nc_u32_e32 v10, v0, v10
	v_cmp_le_u32_e32 vcc_lo, s55, v2
	v_cndmask_b32_e32 v3, v3, v4, vcc_lo
	v_subrev_nc_u32_e32 v5, s55, v2
	s_delay_alu instid0(VALU_DEP_1) | instskip(NEXT) | instid1(VALU_DEP_1)
	v_dual_add_nc_u32 v4, 1, v3 :: v_dual_cndmask_b32 v2, v2, v5, vcc_lo
	v_cmp_le_u32_e32 vcc_lo, s55, v2
	s_delay_alu instid0(VALU_DEP_2) | instskip(NEXT) | instid1(VALU_DEP_1)
	v_dual_cndmask_b32 v2, v3, v4, vcc_lo :: v_dual_bitop2_b32 v5, s59, v11 bitop3:0x14
	v_mul_i32_i24_e32 v4, 3, v5
	v_cmp_le_u32_e32 vcc_lo, s61, v10
	v_sub_nc_u32_e32 v13, v0, v13
	s_delay_alu instid0(VALU_DEP_4) | instskip(NEXT) | instid1(VALU_DEP_2)
	v_dual_cndmask_b32 v23, v23, v24, vcc_lo :: v_dual_bitop2_b32 v2, v2, v5 bitop3:0x14
	v_cmp_le_u32_e64 s0, s63, v13
	s_delay_alu instid0(VALU_DEP_2) | instskip(SKIP_1) | instid1(VALU_DEP_1)
	v_sub_nc_u32_e32 v3, v2, v5
	v_lshl_add_u32 v2, v2, 1, v2
	v_sub_nc_u32_e32 v2, v2, v4
	s_delay_alu instid0(VALU_DEP_3) | instskip(NEXT) | instid1(VALU_DEP_2)
	v_mul_lo_u32 v12, s72, v3
	v_mad_u32 v15, s4, v2, s4
	v_dual_add_nc_u32 v3, 2, v2 :: v_dual_add_nc_u32 v2, 3, v2
	s_delay_alu instid0(VALU_DEP_1) | instskip(NEXT) | instid1(VALU_DEP_4)
	v_mul_lo_u32 v17, s4, v3
	v_add_nc_u32_e32 v4, v14, v12
	s_delay_alu instid0(VALU_DEP_3) | instskip(NEXT) | instid1(VALU_DEP_2)
	v_mul_lo_u32 v16, s4, v2
	v_dual_add_nc_u32 v2, v14, v15 :: v_dual_ashrrev_i32 v18, 31, v4
	s_delay_alu instid0(VALU_DEP_1) | instskip(NEXT) | instid1(VALU_DEP_2)
	v_dual_mov_b32 v3, v1 :: v_dual_ashrrev_i32 v19, 31, v2
	v_add3_u32 v4, v18, v12, v14
	s_delay_alu instid0(VALU_DEP_4) | instskip(NEXT) | instid1(VALU_DEP_1)
	v_dual_add_nc_u32 v5, v14, v17 :: v_dual_add_nc_u32 v6, v14, v16
	v_dual_ashrrev_i32 v20, 31, v5 :: v_dual_bitop2_b32 v2, v4, v18 bitop3:0x14
	s_delay_alu instid0(VALU_DEP_4) | instskip(NEXT) | instid1(VALU_DEP_3)
	v_add3_u32 v4, v19, v15, v14
	v_dual_ashrrev_i32 v21, 31, v6 :: v_dual_mov_b32 v5, v1
	s_delay_alu instid0(VALU_DEP_3) | instskip(NEXT) | instid1(VALU_DEP_4)
	v_mul_u64_e32 v[26:27], s[38:39], v[2:3]
	v_xor_b32_e32 v34, s60, v20
	s_delay_alu instid0(VALU_DEP_4) | instskip(SKIP_3) | instid1(VALU_DEP_4)
	v_xor_b32_e32 v6, v4, v19
	v_add3_u32 v4, v20, v17, v14
	v_add3_u32 v8, v21, v16, v14
	v_mov_b32_e32 v9, v1
	v_mul_u64_e32 v[28:29], s[38:39], v[6:7]
	s_delay_alu instid0(VALU_DEP_4) | instskip(NEXT) | instid1(VALU_DEP_4)
	v_xor_b32_e32 v4, v4, v20
	v_xor_b32_e32 v8, v8, v21
	v_subrev_nc_u32_e32 v28, s61, v10
	v_add_nc_u32_e32 v26, 1, v25
	s_delay_alu instid0(VALU_DEP_4) | instskip(NEXT) | instid1(VALU_DEP_4)
	v_mul_u64_e32 v[30:31], s[38:39], v[4:5]
	v_mul_u64_e32 v[32:33], s[38:39], v[8:9]
	s_delay_alu instid0(VALU_DEP_3) | instskip(SKIP_3) | instid1(VALU_DEP_4)
	v_dual_cndmask_b32 v10, v10, v28, vcc_lo :: v_dual_cndmask_b32 v24, v25, v26, s0
	v_add_nc_u32_e32 v26, 1, v23
	v_subrev_nc_u32_e32 v25, s63, v13
	v_xor_b32_e32 v30, s67, v11
	v_cmp_le_u32_e32 vcc_lo, s61, v10
	s_delay_alu instid0(VALU_DEP_3) | instskip(SKIP_4) | instid1(VALU_DEP_3)
	v_dual_cndmask_b32 v13, v13, v25, s0 :: v_dual_add_nc_u32 v25, 1, v24
	v_dual_cndmask_b32 v10, v23, v26, vcc_lo :: v_dual_bitop2_b32 v26, s60, v19 bitop3:0x14
	v_mul_lo_u32 v28, v27, s56
	v_dual_add_nc_u32 v36, 1, v27 :: v_dual_bitop2_b32 v23, s60, v18 bitop3:0x14
	v_mul_lo_u32 v32, v29, s56
	v_dual_add_nc_u32 v37, 1, v29 :: v_dual_sub_nc_u32 v28, v2, v28
	v_mul_lo_u32 v38, v31, s56
	v_mul_lo_u32 v39, v33, s56
	s_delay_alu instid0(VALU_DEP_3) | instskip(SKIP_2) | instid1(VALU_DEP_3)
	v_subrev_nc_u32_e32 v40, s56, v28
	v_cmp_le_u32_e32 vcc_lo, s56, v28
	v_dual_sub_nc_u32 v32, v6, v32 :: v_dual_bitop2_b32 v35, s60, v21 bitop3:0x14
	v_dual_cndmask_b32 v28, v28, v40 :: v_dual_add_nc_u32 v41, 1, v33
	v_dual_cndmask_b32 v27, v27, v36 :: v_dual_add_nc_u32 v36, 1, v31
	s_delay_alu instid0(VALU_DEP_3) | instskip(NEXT) | instid1(VALU_DEP_3)
	v_cmp_le_u32_e32 vcc_lo, s56, v32
	v_cmp_le_u32_e64 s0, s56, v28
	s_delay_alu instid0(VALU_DEP_3) | instskip(SKIP_1) | instid1(VALU_DEP_2)
	v_dual_cndmask_b32 v29, v29, v37 :: v_dual_add_nc_u32 v40, 1, v27
	v_subrev_nc_u32_e32 v37, s56, v32
	v_dual_sub_nc_u32 v38, v4, v38 :: v_dual_cndmask_b32 v27, v27, v40, s0
	s_delay_alu instid0(VALU_DEP_2) | instskip(NEXT) | instid1(VALU_DEP_2)
	v_cndmask_b32_e32 v28, v32, v37, vcc_lo
	v_cmp_le_u32_e32 vcc_lo, s56, v38
	v_sub_nc_u32_e32 v39, v8, v39
	v_subrev_nc_u32_e32 v32, s56, v38
	v_cndmask_b32_e32 v31, v31, v36, vcc_lo
	s_delay_alu instid0(VALU_DEP_3) | instskip(SKIP_1) | instid1(VALU_DEP_4)
	v_subrev_nc_u32_e32 v36, s56, v39
	v_cmp_le_u32_e64 s0, s56, v39
	v_dual_cndmask_b32 v32, v38, v32 :: v_dual_add_nc_u32 v37, 1, v29
	v_cmp_le_u32_e32 vcc_lo, s56, v28
	s_delay_alu instid0(VALU_DEP_3) | instskip(NEXT) | instid1(VALU_DEP_3)
	v_dual_add_nc_u32 v38, 1, v31 :: v_dual_cndmask_b32 v33, v33, v41, s0
	v_dual_cndmask_b32 v36, v39, v36, s0 :: v_dual_cndmask_b32 v28, v29, v37, vcc_lo
	s_delay_alu instid0(VALU_DEP_4) | instskip(NEXT) | instid1(VALU_DEP_3)
	v_cmp_le_u32_e32 vcc_lo, s56, v32
	v_dual_add_nc_u32 v39, 1, v33 :: v_dual_cndmask_b32 v29, v31, v38, vcc_lo
	s_delay_alu instid0(VALU_DEP_3) | instskip(NEXT) | instid1(VALU_DEP_2)
	v_cmp_le_u32_e32 vcc_lo, s56, v36
	v_cndmask_b32_e32 v31, v33, v39, vcc_lo
	v_cmp_le_u32_e32 vcc_lo, s63, v13
	v_dual_cndmask_b32 v13, v24, v25, vcc_lo :: v_dual_bitop2_b32 v24, v27, v23 bitop3:0x14
	v_xor_b32_e32 v25, v28, v26
	v_xor_b32_e32 v27, v29, v34
	;; [unrolled: 1-line block ×3, first 2 shown]
	s_and_not1_b32 vcc_lo, exec_lo, s53
	s_delay_alu instid0(VALU_DEP_3) | instskip(NEXT) | instid1(VALU_DEP_2)
	v_dual_sub_nc_u32 v23, v24, v23 :: v_dual_sub_nc_u32 v24, v25, v26
	v_dual_sub_nc_u32 v25, v27, v34 :: v_dual_sub_nc_u32 v26, v28, v35
	s_delay_alu instid0(VALU_DEP_2) | instskip(NEXT) | instid1(VALU_DEP_3)
	v_mul_lo_u32 v27, v23, s33
	v_mul_lo_u32 v28, v24, s33
	v_xor_b32_e32 v10, v10, v22
	s_delay_alu instid0(VALU_DEP_4) | instskip(SKIP_2) | instid1(VALU_DEP_4)
	v_mul_lo_u32 v31, v26, s33
	v_mul_lo_u32 v29, v25, s33
	v_dual_sub_nc_u32 v27, v12, v27 :: v_dual_bitop2_b32 v13, v13, v30 bitop3:0x14
	v_dual_sub_nc_u32 v10, v10, v22 :: v_dual_sub_nc_u32 v28, v15, v28
	s_delay_alu instid0(VALU_DEP_2) | instskip(NEXT) | instid1(VALU_DEP_4)
	v_dual_sub_nc_u32 v13, v13, v30 :: v_dual_sub_nc_u32 v31, v16, v31
	v_sub_nc_u32_e32 v29, v17, v29
	s_delay_alu instid0(VALU_DEP_3) | instskip(SKIP_1) | instid1(VALU_DEP_4)
	v_mad_u32 v22, s73, v10, v14
	v_add_nc_u32_e32 v27, v14, v27
	v_mad_u32 v30, s74, v13, v14
	s_delay_alu instid0(VALU_DEP_4) | instskip(SKIP_1) | instid1(VALU_DEP_4)
	v_dual_add_nc_u32 v28, v14, v28 :: v_dual_add_nc_u32 v29, v14, v29
	v_add_nc_u32_e32 v31, v14, v31
	v_mul_lo_u32 v27, v27, s17
	s_delay_alu instid0(VALU_DEP_3) | instskip(NEXT) | instid1(VALU_DEP_4)
	v_mul_lo_u32 v28, v28, s17
	v_mul_lo_u32 v29, v29, s17
	s_delay_alu instid0(VALU_DEP_4) | instskip(SKIP_2) | instid1(VALU_DEP_3)
	v_mul_lo_u32 v31, v31, s17
	v_mul_lo_u32 v22, v22, s25
	;; [unrolled: 1-line block ×3, first 2 shown]
	v_mad_u32 v26, v26, s16, v31
	s_delay_alu instid0(VALU_DEP_3)
	v_mad_u32 v10, v10, s24, v22
	v_mad_u32 v22, v23, s16, v27
	v_mad_u32 v23, v24, s16, v28
	v_mad_u32 v27, v25, s16, v29
	v_mad_u32 v13, v13, s28, v30
	global_load_u16 v24, v10, s[22:23] scale_offset
	s_clause 0x3
	global_load_u16 v22, v22, s[14:15] scale_offset
	global_load_u16 v25, v23, s[14:15] scale_offset
	;; [unrolled: 1-line block ×5, first 2 shown]
	v_mov_b32_e32 v10, v1
	s_cbranch_vccnz .LBB29_5
; %bb.4:                                ;   in Loop: Header=BB29_3 Depth=1
	v_mul_u64_e32 v[28:29], s[48:49], v[0:1]
	s_delay_alu instid0(VALU_DEP_1) | instskip(SKIP_1) | instid1(VALU_DEP_1)
	v_mul_lo_u32 v10, v29, s66
	s_wait_xcnt 0x0
	v_dual_add_nc_u32 v13, 1, v29 :: v_dual_sub_nc_u32 v10, v0, v10
	s_delay_alu instid0(VALU_DEP_1) | instskip(SKIP_1) | instid1(VALU_DEP_2)
	v_subrev_nc_u32_e32 v28, s66, v10
	v_cmp_le_u32_e32 vcc_lo, s66, v10
	v_dual_cndmask_b32 v13, v29, v13 :: v_dual_cndmask_b32 v10, v10, v28
	s_delay_alu instid0(VALU_DEP_1) | instskip(NEXT) | instid1(VALU_DEP_2)
	v_dual_add_nc_u32 v28, 1, v13 :: v_dual_bitop2_b32 v29, s70, v11 bitop3:0x14
	v_cmp_le_u32_e32 vcc_lo, s66, v10
	s_delay_alu instid0(VALU_DEP_2) | instskip(NEXT) | instid1(VALU_DEP_1)
	v_cndmask_b32_e32 v10, v13, v28, vcc_lo
	v_xor_b32_e32 v10, v10, v29
	s_delay_alu instid0(VALU_DEP_1) | instskip(NEXT) | instid1(VALU_DEP_1)
	v_sub_nc_u32_e32 v10, v10, v29
	v_mad_u32 v13, s76, v10, v14
	s_delay_alu instid0(VALU_DEP_1) | instskip(NEXT) | instid1(VALU_DEP_1)
	v_mul_lo_u32 v13, v13, s13
	v_mad_u32 v10, v10, s12, v13
	global_load_u16 v10, v10, s[8:9] scale_offset
	s_wait_loadcnt 0x0
	s_wait_xcnt 0x0
	v_lshlrev_b32_e32 v10, 16, v10
.LBB29_5:                               ;   in Loop: Header=BB29_3 Depth=1
	s_and_not1_b32 vcc_lo, exec_lo, s54
	s_cbranch_vccnz .LBB29_7
; %bb.6:                                ;   in Loop: Header=BB29_3 Depth=1
	v_mul_u64_e32 v[28:29], s[50:51], v[0:1]
	s_wait_xcnt 0x0
	s_delay_alu instid0(VALU_DEP_1) | instskip(SKIP_1) | instid1(VALU_DEP_2)
	v_mul_lo_u32 v13, v29, s68
	v_add_nc_u32_e32 v28, 1, v29
	v_sub_nc_u32_e32 v13, v0, v13
	s_delay_alu instid0(VALU_DEP_1) | instskip(NEXT) | instid1(VALU_DEP_3)
	v_cmp_le_u32_e32 vcc_lo, s68, v13
	v_cndmask_b32_e32 v28, v29, v28, vcc_lo
	v_subrev_nc_u32_e32 v30, s68, v13
	s_delay_alu instid0(VALU_DEP_1) | instskip(SKIP_1) | instid1(VALU_DEP_2)
	v_dual_add_nc_u32 v29, 1, v28 :: v_dual_cndmask_b32 v13, v13, v30, vcc_lo
	v_xor_b32_e32 v30, s71, v11
	v_cmp_le_u32_e32 vcc_lo, s68, v13
	s_delay_alu instid0(VALU_DEP_3) | instskip(NEXT) | instid1(VALU_DEP_1)
	v_cndmask_b32_e32 v13, v28, v29, vcc_lo
	v_xor_b32_e32 v13, v13, v30
	s_delay_alu instid0(VALU_DEP_1) | instskip(NEXT) | instid1(VALU_DEP_1)
	v_sub_nc_u32_e32 v13, v13, v30
	v_mad_u32 v28, s77, v13, v14
	s_delay_alu instid0(VALU_DEP_1) | instskip(NEXT) | instid1(VALU_DEP_1)
	v_mul_lo_u32 v28, v28, s31
	v_mad_u32 v13, v13, s30, v28
	global_load_u16 v13, v13, s[10:11] scale_offset
	s_wait_loadcnt 0x0
	s_wait_xcnt 0x0
	v_lshlrev_b32_e32 v13, 16, v13
	s_branch .LBB29_8
.LBB29_7:                               ;   in Loop: Header=BB29_3 Depth=1
	s_wait_xcnt 0x0
	v_mov_b32_e32 v13, 0
.LBB29_8:                               ;   in Loop: Header=BB29_3 Depth=1
	s_wait_loadcnt 0x0
	v_lshlrev_b32_e32 v27, 16, v27
                                        ; implicit-def: $vgpr28
	s_delay_alu instid0(VALU_DEP_1) | instskip(SKIP_1) | instid1(SALU_CYCLE_1)
	v_cmp_ngt_f32_e64 s0, 0x3f200000, |v27|
	s_and_saveexec_b32 s1, s0
	s_xor_b32 s0, exec_lo, s1
	s_cbranch_execz .LBB29_10
; %bb.9:                                ;   in Loop: Header=BB29_3 Depth=1
	v_add_f32_e64 v28, |v27|, |v27|
	s_delay_alu instid0(VALU_DEP_1) | instskip(SKIP_1) | instid1(VALU_DEP_2)
	v_mul_f32_e32 v29, 0x3fb8aa3b, v28
	v_cmp_ngt_f32_e32 vcc_lo, 0xc2ce8ed0, v28
	v_rndne_f32_e32 v30, v29
	v_fma_f32 v31, 0x3fb8aa3b, v28, -v29
	s_delay_alu instid0(VALU_DEP_2) | instskip(NEXT) | instid1(VALU_DEP_2)
	v_sub_f32_e32 v29, v29, v30
	v_fmac_f32_e32 v31, 0x32a5705f, v28
	v_cvt_i32_f32_e32 v30, v30
	s_delay_alu instid0(VALU_DEP_2) | instskip(NEXT) | instid1(VALU_DEP_1)
	v_add_f32_e32 v29, v29, v31
	v_exp_f32_e32 v29, v29
	v_nop
	s_delay_alu instid0(TRANS32_DEP_1) | instskip(NEXT) | instid1(VALU_DEP_1)
	v_ldexp_f32 v29, v29, v30
	v_cndmask_b32_e32 v29, 0, v29, vcc_lo
	v_cmp_nlt_f32_e32 vcc_lo, 0x42b17218, v28
	s_delay_alu instid0(VALU_DEP_2) | instskip(NEXT) | instid1(VALU_DEP_1)
	v_cndmask_b32_e32 v28, 0x7f800000, v29, vcc_lo
	v_add_f32_e32 v28, 1.0, v28
	s_delay_alu instid0(VALU_DEP_1) | instskip(SKIP_1) | instid1(TRANS32_DEP_1)
	v_rcp_f32_e32 v28, v28
	v_nop
	v_fma_f32 v28, v28, -2.0, 1.0
.LBB29_10:                              ;   in Loop: Header=BB29_3 Depth=1
	s_and_not1_saveexec_b32 s0, s0
	s_cbranch_execz .LBB29_2
; %bb.11:                               ;   in Loop: Header=BB29_3 Depth=1
	v_mul_f32_e32 v28, v27, v27
	s_delay_alu instid0(VALU_DEP_1) | instskip(NEXT) | instid1(VALU_DEP_1)
	v_fmaak_f32 v29, s78, v28, 0x3ca908c9
	v_fmaak_f32 v29, v28, v29, 0xbd5c1c4e
	s_delay_alu instid0(VALU_DEP_1) | instskip(NEXT) | instid1(VALU_DEP_1)
	v_fmaak_f32 v29, v28, v29, 0x3e088382
	v_fmaak_f32 v29, v28, v29, 0xbeaaaa99
	s_delay_alu instid0(VALU_DEP_1) | instskip(NEXT) | instid1(VALU_DEP_1)
	v_mul_f32_e64 v29, |v27|, v29
	v_fma_f32 v28, v28, v29, |v27|
	s_branch .LBB29_2
.LBB29_12:
	s_endpgm
	.section	.rodata,"a",@progbits
	.p2align	6, 0x0
	.amdhsa_kernel _ZN2at6native12_GLOBAL__N_16kernel18lstm_cell_backwardIN3c108BFloat16EfiLi2EEEvNS_4cuda6detail10TensorInfoIT_T1_EESB_SB_SB_SB_SB_SB_SA_SA_
		.amdhsa_group_segment_fixed_size 0
		.amdhsa_private_segment_fixed_size 0
		.amdhsa_kernarg_size 1776
		.amdhsa_user_sgpr_count 2
		.amdhsa_user_sgpr_dispatch_ptr 0
		.amdhsa_user_sgpr_queue_ptr 0
		.amdhsa_user_sgpr_kernarg_segment_ptr 1
		.amdhsa_user_sgpr_dispatch_id 0
		.amdhsa_user_sgpr_kernarg_preload_length 0
		.amdhsa_user_sgpr_kernarg_preload_offset 0
		.amdhsa_user_sgpr_private_segment_size 0
		.amdhsa_wavefront_size32 1
		.amdhsa_uses_dynamic_stack 0
		.amdhsa_enable_private_segment 0
		.amdhsa_system_sgpr_workgroup_id_x 1
		.amdhsa_system_sgpr_workgroup_id_y 0
		.amdhsa_system_sgpr_workgroup_id_z 0
		.amdhsa_system_sgpr_workgroup_info 0
		.amdhsa_system_vgpr_workitem_id 0
		.amdhsa_next_free_vgpr 42
		.amdhsa_next_free_sgpr 80
		.amdhsa_named_barrier_count 0
		.amdhsa_reserve_vcc 1
		.amdhsa_float_round_mode_32 0
		.amdhsa_float_round_mode_16_64 0
		.amdhsa_float_denorm_mode_32 3
		.amdhsa_float_denorm_mode_16_64 3
		.amdhsa_fp16_overflow 0
		.amdhsa_memory_ordered 1
		.amdhsa_forward_progress 1
		.amdhsa_inst_pref_size 28
		.amdhsa_round_robin_scheduling 0
		.amdhsa_exception_fp_ieee_invalid_op 0
		.amdhsa_exception_fp_denorm_src 0
		.amdhsa_exception_fp_ieee_div_zero 0
		.amdhsa_exception_fp_ieee_overflow 0
		.amdhsa_exception_fp_ieee_underflow 0
		.amdhsa_exception_fp_ieee_inexact 0
		.amdhsa_exception_int_div_zero 0
	.end_amdhsa_kernel
	.section	.text._ZN2at6native12_GLOBAL__N_16kernel18lstm_cell_backwardIN3c108BFloat16EfiLi2EEEvNS_4cuda6detail10TensorInfoIT_T1_EESB_SB_SB_SB_SB_SB_SA_SA_,"axG",@progbits,_ZN2at6native12_GLOBAL__N_16kernel18lstm_cell_backwardIN3c108BFloat16EfiLi2EEEvNS_4cuda6detail10TensorInfoIT_T1_EESB_SB_SB_SB_SB_SB_SA_SA_,comdat
.Lfunc_end29:
	.size	_ZN2at6native12_GLOBAL__N_16kernel18lstm_cell_backwardIN3c108BFloat16EfiLi2EEEvNS_4cuda6detail10TensorInfoIT_T1_EESB_SB_SB_SB_SB_SB_SA_SA_, .Lfunc_end29-_ZN2at6native12_GLOBAL__N_16kernel18lstm_cell_backwardIN3c108BFloat16EfiLi2EEEvNS_4cuda6detail10TensorInfoIT_T1_EESB_SB_SB_SB_SB_SB_SA_SA_
                                        ; -- End function
	.set _ZN2at6native12_GLOBAL__N_16kernel18lstm_cell_backwardIN3c108BFloat16EfiLi2EEEvNS_4cuda6detail10TensorInfoIT_T1_EESB_SB_SB_SB_SB_SB_SA_SA_.num_vgpr, 42
	.set _ZN2at6native12_GLOBAL__N_16kernel18lstm_cell_backwardIN3c108BFloat16EfiLi2EEEvNS_4cuda6detail10TensorInfoIT_T1_EESB_SB_SB_SB_SB_SB_SA_SA_.num_agpr, 0
	.set _ZN2at6native12_GLOBAL__N_16kernel18lstm_cell_backwardIN3c108BFloat16EfiLi2EEEvNS_4cuda6detail10TensorInfoIT_T1_EESB_SB_SB_SB_SB_SB_SA_SA_.numbered_sgpr, 80
	.set _ZN2at6native12_GLOBAL__N_16kernel18lstm_cell_backwardIN3c108BFloat16EfiLi2EEEvNS_4cuda6detail10TensorInfoIT_T1_EESB_SB_SB_SB_SB_SB_SA_SA_.num_named_barrier, 0
	.set _ZN2at6native12_GLOBAL__N_16kernel18lstm_cell_backwardIN3c108BFloat16EfiLi2EEEvNS_4cuda6detail10TensorInfoIT_T1_EESB_SB_SB_SB_SB_SB_SA_SA_.private_seg_size, 0
	.set _ZN2at6native12_GLOBAL__N_16kernel18lstm_cell_backwardIN3c108BFloat16EfiLi2EEEvNS_4cuda6detail10TensorInfoIT_T1_EESB_SB_SB_SB_SB_SB_SA_SA_.uses_vcc, 1
	.set _ZN2at6native12_GLOBAL__N_16kernel18lstm_cell_backwardIN3c108BFloat16EfiLi2EEEvNS_4cuda6detail10TensorInfoIT_T1_EESB_SB_SB_SB_SB_SB_SA_SA_.uses_flat_scratch, 0
	.set _ZN2at6native12_GLOBAL__N_16kernel18lstm_cell_backwardIN3c108BFloat16EfiLi2EEEvNS_4cuda6detail10TensorInfoIT_T1_EESB_SB_SB_SB_SB_SB_SA_SA_.has_dyn_sized_stack, 0
	.set _ZN2at6native12_GLOBAL__N_16kernel18lstm_cell_backwardIN3c108BFloat16EfiLi2EEEvNS_4cuda6detail10TensorInfoIT_T1_EESB_SB_SB_SB_SB_SB_SA_SA_.has_recursion, 0
	.set _ZN2at6native12_GLOBAL__N_16kernel18lstm_cell_backwardIN3c108BFloat16EfiLi2EEEvNS_4cuda6detail10TensorInfoIT_T1_EESB_SB_SB_SB_SB_SB_SA_SA_.has_indirect_call, 0
	.section	.AMDGPU.csdata,"",@progbits
; Kernel info:
; codeLenInByte = 3528
; TotalNumSgprs: 82
; NumVgprs: 42
; ScratchSize: 0
; MemoryBound: 0
; FloatMode: 240
; IeeeMode: 1
; LDSByteSize: 0 bytes/workgroup (compile time only)
; SGPRBlocks: 0
; VGPRBlocks: 2
; NumSGPRsForWavesPerEU: 82
; NumVGPRsForWavesPerEU: 42
; NamedBarCnt: 0
; Occupancy: 16
; WaveLimiterHint : 1
; COMPUTE_PGM_RSRC2:SCRATCH_EN: 0
; COMPUTE_PGM_RSRC2:USER_SGPR: 2
; COMPUTE_PGM_RSRC2:TRAP_HANDLER: 0
; COMPUTE_PGM_RSRC2:TGID_X_EN: 1
; COMPUTE_PGM_RSRC2:TGID_Y_EN: 0
; COMPUTE_PGM_RSRC2:TGID_Z_EN: 0
; COMPUTE_PGM_RSRC2:TIDIG_COMP_CNT: 0
	.section	.text._ZN2at6native12_GLOBAL__N_16kernel18lstm_cell_backwardIN3c108BFloat16EflLi1EEEvNS_4cuda6detail10TensorInfoIT_T1_EESB_SB_SB_SB_SB_SB_SA_SA_,"axG",@progbits,_ZN2at6native12_GLOBAL__N_16kernel18lstm_cell_backwardIN3c108BFloat16EflLi1EEEvNS_4cuda6detail10TensorInfoIT_T1_EESB_SB_SB_SB_SB_SB_SA_SA_,comdat
	.globl	_ZN2at6native12_GLOBAL__N_16kernel18lstm_cell_backwardIN3c108BFloat16EflLi1EEEvNS_4cuda6detail10TensorInfoIT_T1_EESB_SB_SB_SB_SB_SB_SA_SA_ ; -- Begin function _ZN2at6native12_GLOBAL__N_16kernel18lstm_cell_backwardIN3c108BFloat16EflLi1EEEvNS_4cuda6detail10TensorInfoIT_T1_EESB_SB_SB_SB_SB_SB_SA_SA_
	.p2align	8
	.type	_ZN2at6native12_GLOBAL__N_16kernel18lstm_cell_backwardIN3c108BFloat16EflLi1EEEvNS_4cuda6detail10TensorInfoIT_T1_EESB_SB_SB_SB_SB_SB_SA_SA_,@function
_ZN2at6native12_GLOBAL__N_16kernel18lstm_cell_backwardIN3c108BFloat16EflLi1EEEvNS_4cuda6detail10TensorInfoIT_T1_EESB_SB_SB_SB_SB_SB_SA_SA_: ; @_ZN2at6native12_GLOBAL__N_16kernel18lstm_cell_backwardIN3c108BFloat16EflLi1EEEvNS_4cuda6detail10TensorInfoIT_T1_EESB_SB_SB_SB_SB_SB_SA_SA_
; %bb.0:
	s_clause 0x1
	s_load_b32 s2, s[0:1], 0xb7c
	s_load_b128 s[4:7], s[0:1], 0xb60
	s_bfe_u32 s3, ttmp6, 0x4000c
	s_and_b32 s8, ttmp6, 15
	s_add_co_i32 s3, s3, 1
	s_getreg_b32 s9, hwreg(HW_REG_IB_STS2, 6, 4)
	s_mul_i32 s3, ttmp9, s3
	v_mov_b32_e32 v2, 0
	s_add_co_i32 s8, s8, s3
	s_delay_alu instid0(VALU_DEP_1)
	v_mov_b32_e32 v1, v2
	s_wait_kmcnt 0x0
	s_and_b32 s2, s2, 0xffff
	s_cmp_eq_u32 s9, 0
	s_cselect_b32 s3, ttmp9, s8
	s_mov_b32 s8, exec_lo
	v_mad_u32 v0, s3, s2, v0
	s_mov_b32 s3, 0
	s_delay_alu instid0(VALU_DEP_1)
	v_cmpx_gt_i64_e64 s[6:7], v[0:1]
	s_cbranch_execz .LBB30_15
; %bb.1:
	s_clause 0x6
	s_load_b64 s[22:23], s[0:1], 0x410
	s_load_b64 s[24:25], s[0:1], 0x5b0
	s_load_b64 s[26:27], s[0:1], 0xa90
	s_load_b64 s[28:29], s[0:1], 0x750
	s_load_b64 s[30:31], s[0:1], 0x8f0
	s_load_b64 s[34:35], s[0:1], 0x680
	s_load_b64 s[36:37], s[0:1], 0x4e0
	s_add_nc_u64 s[8:9], s[0:1], 0xb70
	s_load_b64 s[38:39], s[0:1], 0x820
	s_load_b32 s16, s[8:9], 0x0
	s_clause 0x1
	s_load_b64 s[40:41], s[0:1], 0x340
	s_load_b64 s[42:43], s[0:1], 0x9c0
	s_wait_xcnt 0x0
	s_clause 0x3
	s_load_b64 s[8:9], s[0:1], 0x0
	s_load_b64 s[10:11], s[0:1], 0xd0
	;; [unrolled: 1-line block ×4, first 2 shown]
	s_mov_b32 s17, s3
	s_mul_u64 s[18:19], s[4:5], 3
	s_mov_b64 s[20:21], 0xffffffff
	s_wait_kmcnt 0x0
	v_mul_u64_e32 v[4:5], s[22:23], v[0:1]
	v_mul_u64_e32 v[6:7], s[24:25], v[0:1]
	;; [unrolled: 1-line block ×5, first 2 shown]
	s_cmp_lg_u64 s[34:35], 0
	s_cselect_b32 s1, -1, 0
	s_mul_i32 s16, s16, s2
	s_cmp_lg_u64 s[38:39], 0
	s_mul_u64 s[22:23], s[16:17], s[22:23]
	s_mul_u64 s[24:25], s[16:17], s[24:25]
	;; [unrolled: 1-line block ×5, first 2 shown]
	s_cselect_b32 s33, -1, 0
	s_lshl_b64 s[22:23], s[22:23], 1
	s_lshl_b64 s[24:25], s[24:25], 1
	s_lshl_b64 s[26:27], s[26:27], 1
	s_lshl_b64 s[28:29], s[28:29], 1
	s_lshl_b64 s[30:31], s[30:31], 1
	v_lshl_add_u64 v[4:5], v[4:5], 1, s[40:41]
	v_lshl_add_u64 v[6:7], v[6:7], 1, s[36:37]
	;; [unrolled: 1-line block ×5, first 2 shown]
	s_ashr_i32 s34, s5, 31
	s_mov_b32 s38, 0xbbbac73d
	s_sub_co_i32 s39, 0, s4
	s_mov_b32 s40, 0
	s_branch .LBB30_3
.LBB30_2:                               ;   in Loop: Header=BB30_3 Depth=1
	s_or_b32 exec_lo, exec_lo, s0
	s_delay_alu instid0(VALU_DEP_1)
	v_bfi_b32 v25, 0x7fffffff, v29, v25
	v_mul_u64_e32 v[22:23], s[14:15], v[22:23]
	v_lshlrev_b32_e32 v28, 16, v28
	v_mul_u64_e32 v[20:21], s[14:15], v[20:21]
	v_mul_u64_e32 v[18:19], s[14:15], v[18:19]
	v_dual_mov_b32 v29, v25 :: v_dual_mul_f32 v30, v24, v25
	s_delay_alu instid0(VALU_DEP_4) | instskip(SKIP_2) | instid1(VALU_DEP_4)
	v_sub_f32_e32 v31, 1.0, v28
	v_mul_u64_e32 v[14:15], s[14:15], v[14:15]
	v_add_nc_u64_e32 v[0:1], s[16:17], v[0:1]
	v_pk_mul_f32 v[24:25], v[24:25], v[28:29]
	v_add_nc_u64_e32 v[4:5], s[22:23], v[4:5]
	v_dual_mul_f32 v29, v31, v30 :: v_dual_lshlrev_b32 v30, 16, v27
	s_delay_alu instid0(VALU_DEP_3) | instskip(SKIP_1) | instid1(VALU_DEP_3)
	v_dual_sub_f32 v25, 1.0, v25 :: v_dual_lshlrev_b32 v26, 16, v26
	v_lshlrev_b32_e32 v31, 16, v16
	v_dual_mul_f32 v28, v29, v28 :: v_dual_lshlrev_b32 v27, 16, v3
	v_add_nc_u64_e32 v[6:7], s[24:25], v[6:7]
	s_delay_alu instid0(VALU_DEP_3) | instskip(SKIP_1) | instid1(VALU_DEP_4)
	v_dual_fmac_f32 v17, v24, v25 :: v_dual_sub_f32 v3, 1.0, v31
	v_mov_b32_e32 v16, v26
	v_bfe_u32 v29, v28, 16, 1
	s_delay_alu instid0(VALU_DEP_3) | instskip(SKIP_1) | instid1(VALU_DEP_4)
	v_dual_sub_f32 v32, 1.0, v27 :: v_dual_mul_f32 v30, v17, v30
	v_mul_f32_e32 v33, v17, v26
	v_pk_mul_f32 v[24:25], v[16:17], v[26:27]
	s_delay_alu instid0(VALU_DEP_4) | instskip(NEXT) | instid1(VALU_DEP_4)
	v_add3_u32 v16, v28, v29, 0x7fff
	v_dual_mul_f32 v26, v17, v31 :: v_dual_mul_f32 v3, v3, v30
	s_delay_alu instid0(VALU_DEP_3) | instskip(NEXT) | instid1(VALU_DEP_3)
	v_dual_mul_f32 v29, v32, v33 :: v_dual_sub_f32 v24, 1.0, v24
	v_lshrrev_b32_e32 v30, 16, v16
	v_lshl_add_u64 v[16:17], v[22:23], 1, s[12:13]
	s_delay_alu instid0(VALU_DEP_4) | instskip(NEXT) | instid1(VALU_DEP_4)
	v_mul_f32_e32 v3, v3, v31
	v_mul_f32_e32 v22, v29, v27
	v_cmp_o_f32_e32 vcc_lo, v28, v28
	v_mul_f32_e32 v23, v24, v25
	v_bfe_u32 v32, v26, 16, 1
	v_bfe_u32 v25, v3, 16, 1
	;; [unrolled: 1-line block ×3, first 2 shown]
	v_cndmask_b32_e32 v28, 0x7fc0, v30, vcc_lo
	v_bfe_u32 v27, v23, 16, 1
	v_add3_u32 v29, v26, v32, 0x7fff
	v_add3_u32 v25, v3, v25, 0x7fff
	;; [unrolled: 1-line block ×3, first 2 shown]
	v_cmp_o_f32_e32 vcc_lo, v22, v22
	v_add3_u32 v27, v23, v27, 0x7fff
	v_lshl_add_u64 v[20:21], v[20:21], 1, s[12:13]
	s_delay_alu instid0(VALU_DEP_4) | instskip(NEXT) | instid1(VALU_DEP_3)
	v_dual_lshrrev_b32 v29, 16, v29 :: v_dual_lshrrev_b32 v24, 16, v24
	v_dual_lshrrev_b32 v25, 16, v25 :: v_dual_lshrrev_b32 v27, 16, v27
	v_lshl_add_u64 v[18:19], v[18:19], 1, s[12:13]
	v_lshl_add_u64 v[14:15], v[14:15], 1, s[12:13]
	s_delay_alu instid0(VALU_DEP_4)
	v_cndmask_b32_e32 v22, 0x7fc0, v24, vcc_lo
	v_cmp_o_f32_e32 vcc_lo, v3, v3
	v_add_nc_u64_e32 v[10:11], s[28:29], v[10:11]
	v_add_nc_u64_e32 v[12:13], s[30:31], v[12:13]
	global_store_b16 v[16:17], v22, off
	v_cndmask_b32_e32 v3, 0x7fc0, v25, vcc_lo
	v_cmp_o_f32_e32 vcc_lo, v23, v23
	v_cndmask_b32_e32 v23, 0x7fc0, v27, vcc_lo
	v_cmp_o_f32_e32 vcc_lo, v26, v26
	v_cndmask_b32_e32 v24, 0x7fc0, v29, vcc_lo
	v_cmp_le_i64_e32 vcc_lo, s[6:7], v[0:1]
	s_clause 0x2
	global_store_b16 v[20:21], v3, off
	global_store_b16 v[18:19], v23, off
	;; [unrolled: 1-line block ×4, first 2 shown]
	s_wait_xcnt 0x0
	v_add_nc_u64_e32 v[8:9], s[26:27], v[8:9]
	s_or_b32 s40, vcc_lo, s40
	s_delay_alu instid0(SALU_CYCLE_1)
	s_and_not1_b32 exec_lo, exec_lo, s40
	s_cbranch_execz .LBB30_15
.LBB30_3:                               ; =>This Inner Loop Header: Depth=1
	v_or_b32_e32 v3, s5, v1
                                        ; implicit-def: $vgpr16_vgpr17
	s_mov_b32 s0, exec_lo
	s_delay_alu instid0(VALU_DEP_1)
	v_cmpx_ne_u64_e32 0, v[2:3]
	s_xor_b32 s41, exec_lo, s0
	s_cbranch_execz .LBB30_5
; %bb.4:                                ;   in Loop: Header=BB30_3 Depth=1
	s_mov_b32 s35, s34
	v_dual_mov_b32 v19, v2 :: v_dual_ashrrev_i32 v14, 31, v1
	s_add_nc_u64 s[36:37], s[4:5], s[34:35]
	v_mov_b32_e32 v27, v2
	s_xor_b64 s[36:37], s[36:37], s[34:35]
	s_delay_alu instid0(VALU_DEP_2) | instskip(SKIP_3) | instid1(VALU_DEP_1)
	v_mov_b32_e32 v15, v14
	s_cvt_f32_u32 s0, s36
	s_cvt_f32_u32 s2, s37
	s_sub_nc_u64 s[44:45], 0, s[36:37]
	v_add_nc_u64_e32 v[16:17], v[0:1], v[14:15]
	s_delay_alu instid0(SALU_CYCLE_1) | instskip(SKIP_1) | instid1(SALU_CYCLE_2)
	s_fmamk_f32 s0, s2, 0x4f800000, s0
	v_mov_b32_e32 v23, v2
	v_s_rcp_f32 s0, s0
	s_delay_alu instid0(VALU_DEP_2) | instskip(NEXT) | instid1(VALU_DEP_3)
	v_xor_b32_e32 v18, v16, v14
	v_xor_b32_e32 v22, v17, v14
	s_delay_alu instid0(TRANS32_DEP_1) | instskip(NEXT) | instid1(SALU_CYCLE_3)
	s_mul_f32 s0, s0, 0x5f7ffffc
	s_mul_f32 s2, s0, 0x2f800000
	s_delay_alu instid0(SALU_CYCLE_3) | instskip(NEXT) | instid1(SALU_CYCLE_3)
	s_trunc_f32 s2, s2
	s_fmamk_f32 s0, s2, 0xcf800000, s0
	s_cvt_u32_f32 s43, s2
	s_delay_alu instid0(SALU_CYCLE_2) | instskip(NEXT) | instid1(SALU_CYCLE_3)
	s_cvt_u32_f32 s42, s0
	s_mul_u64 s[46:47], s[44:45], s[42:43]
	s_delay_alu instid0(SALU_CYCLE_1)
	s_mul_hi_u32 s49, s42, s47
	s_mul_i32 s48, s42, s47
	s_mul_hi_u32 s2, s42, s46
	s_mul_i32 s35, s43, s46
	s_add_nc_u64 s[48:49], s[2:3], s[48:49]
	s_mul_hi_u32 s0, s43, s46
	s_mul_hi_u32 s50, s43, s47
	s_add_co_u32 s2, s48, s35
	s_add_co_ci_u32 s2, s49, s0
	s_mul_i32 s46, s43, s47
	s_add_co_ci_u32 s47, s50, 0
	s_delay_alu instid0(SALU_CYCLE_1) | instskip(NEXT) | instid1(SALU_CYCLE_1)
	s_add_nc_u64 s[46:47], s[2:3], s[46:47]
	s_add_co_u32 s42, s42, s46
	s_cselect_b32 s0, -1, 0
	s_delay_alu instid0(SALU_CYCLE_1) | instskip(SKIP_1) | instid1(SALU_CYCLE_1)
	s_cmp_lg_u32 s0, 0
	s_add_co_ci_u32 s43, s43, s47
	s_mul_u64 s[44:45], s[44:45], s[42:43]
	s_delay_alu instid0(SALU_CYCLE_1)
	s_mul_hi_u32 s47, s42, s45
	s_mul_i32 s46, s42, s45
	s_mul_hi_u32 s2, s42, s44
	s_mul_i32 s35, s43, s44
	s_add_nc_u64 s[46:47], s[2:3], s[46:47]
	s_mul_hi_u32 s0, s43, s44
	s_mul_hi_u32 s48, s43, s45
	s_add_co_u32 s2, s46, s35
	s_add_co_ci_u32 s2, s47, s0
	s_mul_i32 s44, s43, s45
	s_add_co_ci_u32 s45, s48, 0
	s_delay_alu instid0(SALU_CYCLE_1) | instskip(NEXT) | instid1(SALU_CYCLE_1)
	s_add_nc_u64 s[44:45], s[2:3], s[44:45]
	s_add_co_u32 s0, s42, s44
	s_cselect_b32 s2, -1, 0
	v_mul_hi_u32 v26, v18, s0
	s_cmp_lg_u32 s2, 0
	s_add_co_ci_u32 s2, s43, s45
	s_and_b64 s[42:43], s[0:1], s[20:21]
	v_mul_u64_e32 v[20:21], s[2:3], v[18:19]
	v_mul_u64_e32 v[16:17], s[42:43], v[22:23]
	;; [unrolled: 1-line block ×3, first 2 shown]
	s_delay_alu instid0(VALU_DEP_3) | instskip(NEXT) | instid1(VALU_DEP_1)
	v_add_nc_u64_e32 v[20:21], v[26:27], v[20:21]
	v_add_co_u32 v3, vcc_lo, v20, v16
	s_delay_alu instid0(VALU_DEP_2) | instskip(NEXT) | instid1(VALU_DEP_4)
	v_add_co_ci_u32_e32 v26, vcc_lo, v21, v17, vcc_lo
	v_add_co_ci_u32_e32 v25, vcc_lo, 0, v25, vcc_lo
	s_delay_alu instid0(VALU_DEP_1) | instskip(NEXT) | instid1(VALU_DEP_1)
	v_add_nc_u64_e32 v[16:17], v[26:27], v[24:25]
	v_mul_u64_e32 v[20:21], s[36:37], v[16:17]
	s_delay_alu instid0(VALU_DEP_1) | instskip(NEXT) | instid1(VALU_DEP_2)
	v_sub_nc_u32_e32 v3, v22, v21
	v_sub_co_u32 v15, vcc_lo, v18, v20
	s_delay_alu instid0(VALU_DEP_1) | instskip(NEXT) | instid1(VALU_DEP_3)
	v_sub_co_ci_u32_e64 v22, null, v22, v21, vcc_lo
	v_subrev_co_ci_u32_e64 v3, null, s37, v3, vcc_lo
	s_delay_alu instid0(VALU_DEP_3) | instskip(SKIP_1) | instid1(VALU_DEP_3)
	v_sub_co_u32 v18, s0, v15, s36
	v_add_nc_u64_e32 v[20:21], 1, v[16:17]
	v_subrev_co_ci_u32_e64 v3, null, 0, v3, s0
	s_delay_alu instid0(VALU_DEP_3) | instskip(SKIP_1) | instid1(VALU_DEP_3)
	v_cmp_le_u32_e32 vcc_lo, s36, v18
	v_cndmask_b32_e64 v18, 0, -1, vcc_lo
	v_cmp_le_u32_e32 vcc_lo, s37, v3
	v_cndmask_b32_e64 v19, 0, -1, vcc_lo
	v_cmp_le_u32_e32 vcc_lo, s36, v15
	v_cndmask_b32_e64 v15, 0, -1, vcc_lo
	v_cmp_le_u32_e32 vcc_lo, s37, v22
	v_cndmask_b32_e64 v23, 0, -1, vcc_lo
	v_cmp_eq_u32_e32 vcc_lo, s37, v3
	v_cndmask_b32_e32 v3, v19, v18, vcc_lo
	v_cmp_eq_u32_e32 vcc_lo, s37, v22
	v_add_nc_u64_e32 v[18:19], 2, v[16:17]
	v_cndmask_b32_e32 v15, v23, v15, vcc_lo
	s_delay_alu instid0(VALU_DEP_4) | instskip(NEXT) | instid1(VALU_DEP_2)
	v_cmp_ne_u32_e32 vcc_lo, 0, v3
	v_cmp_ne_u32_e64 s0, 0, v15
	s_delay_alu instid0(VALU_DEP_4) | instskip(NEXT) | instid1(VALU_DEP_1)
	v_dual_cndmask_b32 v3, v21, v19, vcc_lo :: v_dual_cndmask_b32 v15, v20, v18, vcc_lo
	v_dual_cndmask_b32 v3, v17, v3, s0 :: v_dual_bitop2_b32 v14, s34, v14 bitop3:0x14
	s_delay_alu instid0(VALU_DEP_1) | instskip(NEXT) | instid1(VALU_DEP_2)
	v_dual_cndmask_b32 v16, v16, v15, s0 :: v_dual_mov_b32 v15, v14
	v_xor_b32_e32 v17, v3, v14
	s_delay_alu instid0(VALU_DEP_2) | instskip(NEXT) | instid1(VALU_DEP_1)
	v_xor_b32_e32 v16, v16, v14
	v_sub_nc_u64_e32 v[16:17], v[16:17], v[14:15]
.LBB30_5:                               ;   in Loop: Header=BB30_3 Depth=1
	s_and_not1_saveexec_b32 s0, s41
	s_cbranch_execz .LBB30_7
; %bb.6:                                ;   in Loop: Header=BB30_3 Depth=1
	v_cvt_f32_u32_e32 v3, s4
	v_mov_b32_e32 v17, v2
	s_delay_alu instid0(VALU_DEP_2) | instskip(SKIP_1) | instid1(TRANS32_DEP_1)
	v_rcp_iflag_f32_e32 v3, v3
	v_nop
	v_mul_f32_e32 v3, 0x4f7ffffe, v3
	s_delay_alu instid0(VALU_DEP_1) | instskip(NEXT) | instid1(VALU_DEP_1)
	v_cvt_u32_f32_e32 v3, v3
	v_mul_lo_u32 v14, s39, v3
	s_delay_alu instid0(VALU_DEP_1) | instskip(NEXT) | instid1(VALU_DEP_1)
	v_mul_hi_u32 v14, v3, v14
	v_add_nc_u32_e32 v3, v3, v14
	s_delay_alu instid0(VALU_DEP_1) | instskip(NEXT) | instid1(VALU_DEP_1)
	v_mul_hi_u32 v3, v0, v3
	v_mul_lo_u32 v14, v3, s4
	s_delay_alu instid0(VALU_DEP_1) | instskip(NEXT) | instid1(VALU_DEP_1)
	v_dual_add_nc_u32 v15, 1, v3 :: v_dual_sub_nc_u32 v14, v0, v14
	v_subrev_nc_u32_e32 v16, s4, v14
	v_cmp_le_u32_e32 vcc_lo, s4, v14
	s_delay_alu instid0(VALU_DEP_2) | instskip(NEXT) | instid1(VALU_DEP_1)
	v_dual_cndmask_b32 v14, v14, v16 :: v_dual_cndmask_b32 v3, v3, v15
	v_cmp_le_u32_e32 vcc_lo, s4, v14
	s_delay_alu instid0(VALU_DEP_2) | instskip(NEXT) | instid1(VALU_DEP_1)
	v_add_nc_u32_e32 v15, 1, v3
	v_cndmask_b32_e32 v16, v3, v15, vcc_lo
.LBB30_7:                               ;   in Loop: Header=BB30_3 Depth=1
	s_or_b32 exec_lo, exec_lo, s0
	s_delay_alu instid0(VALU_DEP_1) | instskip(SKIP_2) | instid1(VALU_DEP_1)
	v_mul_u64_e32 v[14:15], 3, v[16:17]
	v_mad_nc_u64_u32 v[22:23], s18, v16, v[0:1]
	s_and_not1_b32 vcc_lo, exec_lo, s1
	v_mad_u32 v3, s19, v16, v23
	s_delay_alu instid0(VALU_DEP_1) | instskip(NEXT) | instid1(VALU_DEP_4)
	v_mad_u32 v23, s18, v17, v3
	v_add_nc_u64_e32 v[24:25], 1, v[14:15]
	v_add_nc_u64_e32 v[26:27], 2, v[14:15]
	;; [unrolled: 1-line block ×3, first 2 shown]
	s_delay_alu instid0(VALU_DEP_3) | instskip(NEXT) | instid1(VALU_DEP_3)
	v_mad_nc_u64_u32 v[20:21], s4, v24, v[0:1]
	v_mad_nc_u64_u32 v[18:19], s4, v26, v[0:1]
	s_delay_alu instid0(VALU_DEP_3) | instskip(NEXT) | instid1(VALU_DEP_3)
	v_mad_nc_u64_u32 v[14:15], s4, v28, v[0:1]
	v_mad_u32 v16, s5, v24, v21
	s_delay_alu instid0(VALU_DEP_3) | instskip(NEXT) | instid1(VALU_DEP_3)
	v_mad_u32 v19, s5, v26, v19
	v_mad_u32 v15, s5, v28, v15
	s_delay_alu instid0(VALU_DEP_3) | instskip(NEXT) | instid1(VALU_DEP_3)
	v_mad_u32 v21, s4, v25, v16
	v_mad_u32 v19, s4, v27, v19
	s_delay_alu instid0(VALU_DEP_3) | instskip(SKIP_1) | instid1(VALU_DEP_4)
	v_mad_u32 v15, s4, v29, v15
	v_mul_u64_e32 v[16:17], s[10:11], v[22:23]
	v_mul_u64_e32 v[24:25], s[10:11], v[20:21]
	s_delay_alu instid0(VALU_DEP_4) | instskip(NEXT) | instid1(VALU_DEP_4)
	v_mul_u64_e32 v[26:27], s[10:11], v[18:19]
	v_mul_u64_e32 v[28:29], s[10:11], v[14:15]
	s_delay_alu instid0(VALU_DEP_4)
	v_lshl_add_u64 v[30:31], v[16:17], 1, s[8:9]
	v_mov_b32_e32 v17, 0
	v_lshl_add_u64 v[32:33], v[24:25], 1, s[8:9]
	v_lshl_add_u64 v[34:35], v[26:27], 1, s[8:9]
	;; [unrolled: 1-line block ×3, first 2 shown]
	global_load_u16 v27, v[4:5], off
	s_clause 0x3
	global_load_u16 v3, v[30:31], off
	global_load_u16 v16, v[32:33], off
	;; [unrolled: 1-line block ×5, first 2 shown]
	v_mov_b32_e32 v24, 0
	s_cbranch_vccnz .LBB30_9
; %bb.8:                                ;   in Loop: Header=BB30_3 Depth=1
	global_load_u16 v24, v[10:11], off
	s_wait_loadcnt 0x0
	v_lshlrev_b32_e32 v24, 16, v24
.LBB30_9:                               ;   in Loop: Header=BB30_3 Depth=1
	s_and_not1_b32 vcc_lo, exec_lo, s33
	s_cbranch_vccnz .LBB30_11
; %bb.10:                               ;   in Loop: Header=BB30_3 Depth=1
	global_load_u16 v17, v[12:13], off
	s_wait_loadcnt 0x0
	v_lshlrev_b32_e32 v17, 16, v17
.LBB30_11:                              ;   in Loop: Header=BB30_3 Depth=1
	s_wait_loadcnt 0x0
	v_lshlrev_b32_e32 v25, 16, v25
                                        ; implicit-def: $vgpr29
	s_delay_alu instid0(VALU_DEP_1) | instskip(SKIP_2) | instid1(SALU_CYCLE_1)
	v_cmp_ngt_f32_e64 s0, 0x3f200000, |v25|
	s_wait_xcnt 0x0
	s_and_saveexec_b32 s2, s0
	s_xor_b32 s0, exec_lo, s2
	s_cbranch_execz .LBB30_13
; %bb.12:                               ;   in Loop: Header=BB30_3 Depth=1
	v_add_f32_e64 v29, |v25|, |v25|
	s_delay_alu instid0(VALU_DEP_1) | instskip(SKIP_1) | instid1(VALU_DEP_2)
	v_mul_f32_e32 v30, 0x3fb8aa3b, v29
	v_cmp_ngt_f32_e32 vcc_lo, 0xc2ce8ed0, v29
	v_rndne_f32_e32 v31, v30
	v_fma_f32 v32, 0x3fb8aa3b, v29, -v30
	s_delay_alu instid0(VALU_DEP_2) | instskip(NEXT) | instid1(VALU_DEP_2)
	v_sub_f32_e32 v30, v30, v31
	v_fmac_f32_e32 v32, 0x32a5705f, v29
	v_cvt_i32_f32_e32 v31, v31
	s_delay_alu instid0(VALU_DEP_2) | instskip(NEXT) | instid1(VALU_DEP_1)
	v_add_f32_e32 v30, v30, v32
	v_exp_f32_e32 v30, v30
	v_nop
	s_delay_alu instid0(TRANS32_DEP_1) | instskip(NEXT) | instid1(VALU_DEP_1)
	v_ldexp_f32 v30, v30, v31
	v_cndmask_b32_e32 v30, 0, v30, vcc_lo
	v_cmp_nlt_f32_e32 vcc_lo, 0x42b17218, v29
	s_delay_alu instid0(VALU_DEP_2) | instskip(NEXT) | instid1(VALU_DEP_1)
	v_cndmask_b32_e32 v29, 0x7f800000, v30, vcc_lo
	v_add_f32_e32 v29, 1.0, v29
	s_delay_alu instid0(VALU_DEP_1) | instskip(SKIP_1) | instid1(TRANS32_DEP_1)
	v_rcp_f32_e32 v29, v29
	v_nop
	v_fma_f32 v29, v29, -2.0, 1.0
.LBB30_13:                              ;   in Loop: Header=BB30_3 Depth=1
	s_and_not1_saveexec_b32 s0, s0
	s_cbranch_execz .LBB30_2
; %bb.14:                               ;   in Loop: Header=BB30_3 Depth=1
	v_mul_f32_e32 v29, v25, v25
	s_delay_alu instid0(VALU_DEP_1) | instskip(NEXT) | instid1(VALU_DEP_1)
	v_fmaak_f32 v30, s38, v29, 0x3ca908c9
	v_fmaak_f32 v30, v29, v30, 0xbd5c1c4e
	s_delay_alu instid0(VALU_DEP_1) | instskip(NEXT) | instid1(VALU_DEP_1)
	v_fmaak_f32 v30, v29, v30, 0x3e088382
	v_fmaak_f32 v30, v29, v30, 0xbeaaaa99
	s_delay_alu instid0(VALU_DEP_1) | instskip(NEXT) | instid1(VALU_DEP_1)
	v_mul_f32_e64 v30, |v25|, v30
	v_fma_f32 v29, v29, v30, |v25|
	s_branch .LBB30_2
.LBB30_15:
	s_endpgm
	.section	.rodata,"a",@progbits
	.p2align	6, 0x0
	.amdhsa_kernel _ZN2at6native12_GLOBAL__N_16kernel18lstm_cell_backwardIN3c108BFloat16EflLi1EEEvNS_4cuda6detail10TensorInfoIT_T1_EESB_SB_SB_SB_SB_SB_SA_SA_
		.amdhsa_group_segment_fixed_size 0
		.amdhsa_private_segment_fixed_size 0
		.amdhsa_kernarg_size 3184
		.amdhsa_user_sgpr_count 2
		.amdhsa_user_sgpr_dispatch_ptr 0
		.amdhsa_user_sgpr_queue_ptr 0
		.amdhsa_user_sgpr_kernarg_segment_ptr 1
		.amdhsa_user_sgpr_dispatch_id 0
		.amdhsa_user_sgpr_kernarg_preload_length 0
		.amdhsa_user_sgpr_kernarg_preload_offset 0
		.amdhsa_user_sgpr_private_segment_size 0
		.amdhsa_wavefront_size32 1
		.amdhsa_uses_dynamic_stack 0
		.amdhsa_enable_private_segment 0
		.amdhsa_system_sgpr_workgroup_id_x 1
		.amdhsa_system_sgpr_workgroup_id_y 0
		.amdhsa_system_sgpr_workgroup_id_z 0
		.amdhsa_system_sgpr_workgroup_info 0
		.amdhsa_system_vgpr_workitem_id 0
		.amdhsa_next_free_vgpr 38
		.amdhsa_next_free_sgpr 51
		.amdhsa_named_barrier_count 0
		.amdhsa_reserve_vcc 1
		.amdhsa_float_round_mode_32 0
		.amdhsa_float_round_mode_16_64 0
		.amdhsa_float_denorm_mode_32 3
		.amdhsa_float_denorm_mode_16_64 3
		.amdhsa_fp16_overflow 0
		.amdhsa_memory_ordered 1
		.amdhsa_forward_progress 1
		.amdhsa_inst_pref_size 18
		.amdhsa_round_robin_scheduling 0
		.amdhsa_exception_fp_ieee_invalid_op 0
		.amdhsa_exception_fp_denorm_src 0
		.amdhsa_exception_fp_ieee_div_zero 0
		.amdhsa_exception_fp_ieee_overflow 0
		.amdhsa_exception_fp_ieee_underflow 0
		.amdhsa_exception_fp_ieee_inexact 0
		.amdhsa_exception_int_div_zero 0
	.end_amdhsa_kernel
	.section	.text._ZN2at6native12_GLOBAL__N_16kernel18lstm_cell_backwardIN3c108BFloat16EflLi1EEEvNS_4cuda6detail10TensorInfoIT_T1_EESB_SB_SB_SB_SB_SB_SA_SA_,"axG",@progbits,_ZN2at6native12_GLOBAL__N_16kernel18lstm_cell_backwardIN3c108BFloat16EflLi1EEEvNS_4cuda6detail10TensorInfoIT_T1_EESB_SB_SB_SB_SB_SB_SA_SA_,comdat
.Lfunc_end30:
	.size	_ZN2at6native12_GLOBAL__N_16kernel18lstm_cell_backwardIN3c108BFloat16EflLi1EEEvNS_4cuda6detail10TensorInfoIT_T1_EESB_SB_SB_SB_SB_SB_SA_SA_, .Lfunc_end30-_ZN2at6native12_GLOBAL__N_16kernel18lstm_cell_backwardIN3c108BFloat16EflLi1EEEvNS_4cuda6detail10TensorInfoIT_T1_EESB_SB_SB_SB_SB_SB_SA_SA_
                                        ; -- End function
	.set _ZN2at6native12_GLOBAL__N_16kernel18lstm_cell_backwardIN3c108BFloat16EflLi1EEEvNS_4cuda6detail10TensorInfoIT_T1_EESB_SB_SB_SB_SB_SB_SA_SA_.num_vgpr, 38
	.set _ZN2at6native12_GLOBAL__N_16kernel18lstm_cell_backwardIN3c108BFloat16EflLi1EEEvNS_4cuda6detail10TensorInfoIT_T1_EESB_SB_SB_SB_SB_SB_SA_SA_.num_agpr, 0
	.set _ZN2at6native12_GLOBAL__N_16kernel18lstm_cell_backwardIN3c108BFloat16EflLi1EEEvNS_4cuda6detail10TensorInfoIT_T1_EESB_SB_SB_SB_SB_SB_SA_SA_.numbered_sgpr, 51
	.set _ZN2at6native12_GLOBAL__N_16kernel18lstm_cell_backwardIN3c108BFloat16EflLi1EEEvNS_4cuda6detail10TensorInfoIT_T1_EESB_SB_SB_SB_SB_SB_SA_SA_.num_named_barrier, 0
	.set _ZN2at6native12_GLOBAL__N_16kernel18lstm_cell_backwardIN3c108BFloat16EflLi1EEEvNS_4cuda6detail10TensorInfoIT_T1_EESB_SB_SB_SB_SB_SB_SA_SA_.private_seg_size, 0
	.set _ZN2at6native12_GLOBAL__N_16kernel18lstm_cell_backwardIN3c108BFloat16EflLi1EEEvNS_4cuda6detail10TensorInfoIT_T1_EESB_SB_SB_SB_SB_SB_SA_SA_.uses_vcc, 1
	.set _ZN2at6native12_GLOBAL__N_16kernel18lstm_cell_backwardIN3c108BFloat16EflLi1EEEvNS_4cuda6detail10TensorInfoIT_T1_EESB_SB_SB_SB_SB_SB_SA_SA_.uses_flat_scratch, 0
	.set _ZN2at6native12_GLOBAL__N_16kernel18lstm_cell_backwardIN3c108BFloat16EflLi1EEEvNS_4cuda6detail10TensorInfoIT_T1_EESB_SB_SB_SB_SB_SB_SA_SA_.has_dyn_sized_stack, 0
	.set _ZN2at6native12_GLOBAL__N_16kernel18lstm_cell_backwardIN3c108BFloat16EflLi1EEEvNS_4cuda6detail10TensorInfoIT_T1_EESB_SB_SB_SB_SB_SB_SA_SA_.has_recursion, 0
	.set _ZN2at6native12_GLOBAL__N_16kernel18lstm_cell_backwardIN3c108BFloat16EflLi1EEEvNS_4cuda6detail10TensorInfoIT_T1_EESB_SB_SB_SB_SB_SB_SA_SA_.has_indirect_call, 0
	.section	.AMDGPU.csdata,"",@progbits
; Kernel info:
; codeLenInByte = 2268
; TotalNumSgprs: 53
; NumVgprs: 38
; ScratchSize: 0
; MemoryBound: 0
; FloatMode: 240
; IeeeMode: 1
; LDSByteSize: 0 bytes/workgroup (compile time only)
; SGPRBlocks: 0
; VGPRBlocks: 2
; NumSGPRsForWavesPerEU: 53
; NumVGPRsForWavesPerEU: 38
; NamedBarCnt: 0
; Occupancy: 16
; WaveLimiterHint : 1
; COMPUTE_PGM_RSRC2:SCRATCH_EN: 0
; COMPUTE_PGM_RSRC2:USER_SGPR: 2
; COMPUTE_PGM_RSRC2:TRAP_HANDLER: 0
; COMPUTE_PGM_RSRC2:TGID_X_EN: 1
; COMPUTE_PGM_RSRC2:TGID_Y_EN: 0
; COMPUTE_PGM_RSRC2:TGID_Z_EN: 0
; COMPUTE_PGM_RSRC2:TIDIG_COMP_CNT: 0
	.section	.text._ZN2at6native12_GLOBAL__N_16kernel18lstm_cell_backwardIN3c108BFloat16EflLi2EEEvNS_4cuda6detail10TensorInfoIT_T1_EESB_SB_SB_SB_SB_SB_SA_SA_,"axG",@progbits,_ZN2at6native12_GLOBAL__N_16kernel18lstm_cell_backwardIN3c108BFloat16EflLi2EEEvNS_4cuda6detail10TensorInfoIT_T1_EESB_SB_SB_SB_SB_SB_SA_SA_,comdat
	.globl	_ZN2at6native12_GLOBAL__N_16kernel18lstm_cell_backwardIN3c108BFloat16EflLi2EEEvNS_4cuda6detail10TensorInfoIT_T1_EESB_SB_SB_SB_SB_SB_SA_SA_ ; -- Begin function _ZN2at6native12_GLOBAL__N_16kernel18lstm_cell_backwardIN3c108BFloat16EflLi2EEEvNS_4cuda6detail10TensorInfoIT_T1_EESB_SB_SB_SB_SB_SB_SA_SA_
	.p2align	8
	.type	_ZN2at6native12_GLOBAL__N_16kernel18lstm_cell_backwardIN3c108BFloat16EflLi2EEEvNS_4cuda6detail10TensorInfoIT_T1_EESB_SB_SB_SB_SB_SB_SA_SA_,@function
_ZN2at6native12_GLOBAL__N_16kernel18lstm_cell_backwardIN3c108BFloat16EflLi2EEEvNS_4cuda6detail10TensorInfoIT_T1_EESB_SB_SB_SB_SB_SB_SA_SA_: ; @_ZN2at6native12_GLOBAL__N_16kernel18lstm_cell_backwardIN3c108BFloat16EflLi2EEEvNS_4cuda6detail10TensorInfoIT_T1_EESB_SB_SB_SB_SB_SB_SA_SA_
; %bb.0:
	s_clause 0x1
	s_load_b32 s2, s[0:1], 0xb7c
	s_load_b128 s[4:7], s[0:1], 0xb60
	s_bfe_u32 s3, ttmp6, 0x4000c
	s_and_b32 s8, ttmp6, 15
	s_add_co_i32 s3, s3, 1
	s_getreg_b32 s9, hwreg(HW_REG_IB_STS2, 6, 4)
	s_mul_i32 s3, ttmp9, s3
	v_mov_b32_e32 v2, 0
	s_add_co_i32 s8, s8, s3
	s_delay_alu instid0(VALU_DEP_1)
	v_mov_b32_e32 v1, v2
	s_wait_kmcnt 0x0
	s_and_b32 s2, s2, 0xffff
	s_cmp_eq_u32 s9, 0
	s_cselect_b32 s3, ttmp9, s8
	s_mov_b32 s8, exec_lo
	v_mad_u32 v0, s3, s2, v0
	s_mov_b32 s3, 0
	s_delay_alu instid0(VALU_DEP_1)
	v_cmpx_gt_i64_e64 s[6:7], v[0:1]
	s_cbranch_execz .LBB31_68
; %bb.1:
	s_add_nc_u64 s[20:21], s[0:1], 0xb70
	v_cvt_f32_u32_e32 v3, s4
	s_clause 0x6
	s_load_b64 s[34:35], s[0:1], 0x0
	s_load_b64 s[40:41], s[0:1], 0x10
	;; [unrolled: 1-line block ×3, first 2 shown]
	s_load_b128 s[8:11], s[0:1], 0x750
	s_load_b64 s[44:45], s[0:1], 0x820
	s_load_b128 s[12:15], s[0:1], 0xd0
	s_load_b64 s[46:47], s[0:1], 0x1a0
	s_load_b32 s66, s[20:21], 0x0
	s_clause 0x6
	s_load_b64 s[48:49], s[0:1], 0x1b0
	s_load_b128 s[16:19], s[0:1], 0x270
	s_load_b64 s[50:51], s[0:1], 0x340
	s_load_b64 s[52:53], s[0:1], 0x350
	s_load_b64 s[54:55], s[0:1], 0x4f0
	s_load_b64 s[56:57], s[0:1], 0x9c0
	s_load_b64 s[58:59], s[0:1], 0x9d0
                                        ; kill: killed $sgpr20_sgpr21
	s_wait_xcnt 0x0
	s_clause 0x6
	s_load_b128 s[20:23], s[0:1], 0x410
	s_load_b64 s[60:61], s[0:1], 0x4e0
	s_load_b64 s[62:63], s[0:1], 0x690
	s_load_b128 s[24:27], s[0:1], 0x5b0
	s_load_b64 s[64:65], s[0:1], 0x830
	s_load_b128 s[28:31], s[0:1], 0x8f0
	s_load_b128 s[36:39], s[0:1], 0xa90
	s_wait_kmcnt 0x0
	s_cmp_lg_u64 s[42:43], 0
	s_mov_b32 s67, s3
	v_rcp_iflag_f32_e32 v3, v3
	s_cselect_b32 s1, -1, 0
	s_cmp_lg_u64 s[44:45], 0
	s_mul_i32 s66, s66, s2
	s_cselect_b32 s33, -1, 0
	s_mul_u64 s[68:69], s[4:5], 3
	s_sub_nc_u64 s[70:71], 0, s[52:53]
	v_nop
	v_mul_f32_e32 v3, 0x4f7ffffe, v3
	s_sub_nc_u64 s[72:73], 0, s[54:55]
	s_sub_nc_u64 s[74:75], 0, s[58:59]
	s_mov_b64 s[76:77], 0xffffffff
	s_mov_b32 s86, 0xbbbac73d
	v_cvt_u32_f32_e32 v30, v3
	s_sub_nc_u64 s[78:79], 0, s[62:63]
	s_mov_b32 s87, 0
	s_sub_nc_u64 s[80:81], 0, s[64:65]
	s_branch .LBB31_3
.LBB31_2:                               ;   in Loop: Header=BB31_3 Depth=1
	s_or_b32 exec_lo, exec_lo, s0
	v_mul_u64_e32 v[28:29], s[48:49], v[12:13]
	v_mul_u64_e32 v[38:39], s[48:49], v[18:19]
	;; [unrolled: 1-line block ×4, first 2 shown]
	v_bfi_b32 v23, 0x7fffffff, v23, v3
	v_mad_nc_u64_u32 v[36:37], s74, v20, v[0:1]
	v_lshlrev_b32_e32 v34, 16, v34
	v_mul_u64_e32 v[44:45], s[36:37], v[20:21]
	s_delay_alu instid0(VALU_DEP_4) | instskip(NEXT) | instid1(VALU_DEP_3)
	v_dual_lshlrev_b32 v27, 16, v31 :: v_dual_mov_b32 v35, v23
	v_dual_mul_f32 v3, v22, v23 :: v_dual_sub_f32 v24, 1.0, v34
	v_mul_u64_e32 v[12:13], s[16:17], v[12:13]
	v_mul_u64_e32 v[18:19], s[16:17], v[18:19]
	s_delay_alu instid0(VALU_DEP_4) | instskip(NEXT) | instid1(VALU_DEP_4)
	v_pk_mul_f32 v[22:23], v[22:23], v[34:35]
	v_dual_lshlrev_b32 v35, 16, v26 :: v_dual_mul_f32 v3, v24, v3
	v_mad_u32 v20, s75, v20, v37
	s_delay_alu instid0(VALU_DEP_3) | instskip(NEXT) | instid1(VALU_DEP_3)
	v_dual_sub_f32 v23, 1.0, v23 :: v_dual_lshlrev_b32 v32, 16, v32
	v_dual_mul_f32 v3, v3, v34 :: v_dual_lshlrev_b32 v26, 16, v33
	v_mul_u64_e32 v[14:15], s[16:17], v[14:15]
	s_delay_alu instid0(VALU_DEP_3) | instskip(NEXT) | instid1(VALU_DEP_3)
	v_dual_sub_f32 v31, 1.0, v32 :: v_dual_fmac_f32 v25, v22, v23
	v_dual_sub_f32 v22, 1.0, v27 :: v_dual_mov_b32 v24, v26
	v_mul_u64_e32 v[16:17], s[16:17], v[16:17]
	v_mad_u32 v37, s74, v21, v20
	s_delay_alu instid0(VALU_DEP_4)
	v_mul_f32_e32 v34, v25, v35
	v_bfe_u32 v23, v3, 16, 1
	v_pk_mul_f32 v[20:21], v[24:25], v[26:27]
	v_sub_nc_u64_e32 v[4:5], v[4:5], v[28:29]
	v_sub_nc_u64_e32 v[10:11], v[10:11], v[38:39]
	;; [unrolled: 1-line block ×4, first 2 shown]
	v_dual_mul_f32 v28, v25, v26 :: v_dual_sub_f32 v20, 1.0, v20
	v_mul_f32_e32 v26, v31, v34
	v_add_nc_u64_e32 v[4:5], v[0:1], v[4:5]
	v_mul_f32_e32 v33, v25, v32
	v_add_nc_u64_e32 v[10:11], v[0:1], v[10:11]
	v_add_nc_u64_e32 v[6:7], v[0:1], v[6:7]
	v_dual_mul_f32 v25, v22, v28 :: v_dual_mul_f32 v20, v20, v21
	v_add_nc_u64_e32 v[8:9], v[0:1], v[8:9]
	v_mul_u64_e32 v[4:5], s[18:19], v[4:5]
	s_delay_alu instid0(VALU_DEP_3) | instskip(NEXT) | instid1(VALU_DEP_4)
	v_dual_mul_f32 v26, v26, v32 :: v_dual_mul_f32 v27, v25, v27
	v_bfe_u32 v32, v20, 16, 1
	v_mul_u64_e32 v[10:11], s[18:19], v[10:11]
	v_mul_u64_e32 v[6:7], s[18:19], v[6:7]
	v_add3_u32 v24, v3, v23, 0x7fff
	v_mul_u64_e32 v[22:23], s[38:39], v[36:37]
	v_mul_u64_e32 v[8:9], s[18:19], v[8:9]
	v_bfe_u32 v21, v27, 16, 1
	v_add3_u32 v32, v20, v32, 0x7fff
	v_cmp_o_f32_e32 vcc_lo, v27, v27
	v_bfe_u32 v29, v33, 16, 1
	v_lshl_add_u64 v[12:13], v[12:13], 1, s[46:47]
	v_add3_u32 v21, v27, v21, 0x7fff
	v_lshrrev_b32_e32 v32, 16, v32
	v_bfe_u32 v31, v26, 16, 1
	v_add_nc_u64_e32 v[0:1], s[66:67], v[0:1]
	v_add3_u32 v29, v33, v29, 0x7fff
	v_lshrrev_b32_e32 v21, 16, v21
	v_cmp_o_f32_e64 s0, v3, v3
	v_add3_u32 v31, v26, v31, 0x7fff
	v_lshrrev_b32_e32 v28, 16, v24
	v_lshl_add_u64 v[18:19], v[18:19], 1, s[46:47]
	v_cndmask_b32_e32 v21, 0x7fc0, v21, vcc_lo
	v_cmp_o_f32_e32 vcc_lo, v26, v26
	v_lshrrev_b32_e32 v31, 16, v31
	v_lshl_add_u64 v[14:15], v[14:15], 1, s[46:47]
	v_lshl_add_u64 v[24:25], v[44:45], 1, s[56:57]
	v_lshl_add_u64 v[16:17], v[16:17], 1, s[46:47]
	v_cndmask_b32_e64 v3, 0x7fc0, v28, s0
	v_cndmask_b32_e32 v26, 0x7fc0, v31, vcc_lo
	v_cmp_o_f32_e32 vcc_lo, v20, v20
	v_lshl_add_u64 v[4:5], v[4:5], 1, v[12:13]
	v_cmp_o_f32_e64 s0, v33, v33
	v_lshl_add_u64 v[10:11], v[10:11], 1, v[18:19]
	v_cndmask_b32_e32 v20, 0x7fc0, v32, vcc_lo
	global_store_b16 v[4:5], v21, off
	s_wait_xcnt 0x0
	v_lshrrev_b32_e32 v4, 16, v29
	v_cmp_le_i64_e32 vcc_lo, s[6:7], v[0:1]
	v_lshl_add_u64 v[6:7], v[6:7], 1, v[14:15]
	v_lshl_add_u64 v[12:13], v[22:23], 1, v[24:25]
	;; [unrolled: 1-line block ×3, first 2 shown]
	v_cndmask_b32_e64 v4, 0x7fc0, v4, s0
	s_clause 0x1
	global_store_b16 v[6:7], v26, off
	global_store_b16 v[8:9], v20, off
	s_or_b32 s87, vcc_lo, s87
	global_store_b16 v[10:11], v3, off
	global_store_b16 v[12:13], v4, off
	s_wait_xcnt 0x0
	s_and_not1_b32 exec_lo, exec_lo, s87
	s_cbranch_execz .LBB31_68
.LBB31_3:                               ; =>This Inner Loop Header: Depth=1
	v_or_b32_e32 v3, s5, v1
                                        ; implicit-def: $vgpr6_vgpr7
	s_mov_b32 s0, exec_lo
	s_delay_alu instid0(VALU_DEP_1)
	v_cmpx_ne_u64_e32 0, v[2:3]
	s_xor_b32 s88, exec_lo, s0
	s_cbranch_execz .LBB31_5
; %bb.4:                                ;   in Loop: Header=BB31_3 Depth=1
	s_ashr_i32 s82, s5, 31
	v_dual_mov_b32 v9, v2 :: v_dual_ashrrev_i32 v4, 31, v1
	s_mov_b32 s83, s82
	s_delay_alu instid0(SALU_CYCLE_1) | instskip(NEXT) | instid1(VALU_DEP_1)
	s_add_nc_u64 s[84:85], s[4:5], s[82:83]
	v_mov_b32_e32 v5, v4
	s_xor_b64 s[84:85], s[84:85], s[82:83]
	s_delay_alu instid0(SALU_CYCLE_1)
	s_cvt_f32_u32 s0, s84
	s_cvt_f32_u32 s2, s85
	s_sub_nc_u64 s[92:93], 0, s[84:85]
	v_add_nc_u64_e32 v[6:7], v[0:1], v[4:5]
	v_mov_b32_e32 v13, v2
	s_fmamk_f32 s0, s2, 0x4f800000, s0
	s_delay_alu instid0(SALU_CYCLE_3) | instskip(NEXT) | instid1(VALU_DEP_2)
	v_s_rcp_f32 s0, s0
	v_xor_b32_e32 v8, v6, v4
	s_delay_alu instid0(VALU_DEP_3) | instskip(SKIP_1) | instid1(TRANS32_DEP_1)
	v_dual_mov_b32 v17, v2 :: v_dual_bitop2_b32 v12, v7, v4 bitop3:0x14
	v_xor_b32_e32 v4, s82, v4
	s_mul_f32 s0, s0, 0x5f7ffffc
	s_delay_alu instid0(SALU_CYCLE_3) | instskip(NEXT) | instid1(SALU_CYCLE_3)
	s_mul_f32 s2, s0, 0x2f800000
	s_trunc_f32 s2, s2
	s_delay_alu instid0(SALU_CYCLE_3) | instskip(SKIP_1) | instid1(SALU_CYCLE_2)
	s_fmamk_f32 s0, s2, 0xcf800000, s0
	s_cvt_u32_f32 s91, s2
	s_cvt_u32_f32 s90, s0
	s_delay_alu instid0(SALU_CYCLE_3) | instskip(NEXT) | instid1(SALU_CYCLE_1)
	s_mul_u64 s[94:95], s[92:93], s[90:91]
	s_mul_hi_u32 s97, s90, s95
	s_mul_i32 s96, s90, s95
	s_mul_hi_u32 s2, s90, s94
	s_mul_i32 s83, s91, s94
	s_add_nc_u64 s[96:97], s[2:3], s[96:97]
	s_mul_hi_u32 s0, s91, s94
	s_mul_hi_u32 s89, s91, s95
	s_add_co_u32 s2, s96, s83
	s_add_co_ci_u32 s2, s97, s0
	s_mul_i32 s94, s91, s95
	s_add_co_ci_u32 s95, s89, 0
	s_delay_alu instid0(SALU_CYCLE_1) | instskip(NEXT) | instid1(SALU_CYCLE_1)
	s_add_nc_u64 s[94:95], s[2:3], s[94:95]
	s_add_co_u32 s90, s90, s94
	s_cselect_b32 s0, -1, 0
	s_delay_alu instid0(SALU_CYCLE_1) | instskip(SKIP_1) | instid1(SALU_CYCLE_1)
	s_cmp_lg_u32 s0, 0
	s_add_co_ci_u32 s91, s91, s95
	s_mul_u64 s[92:93], s[92:93], s[90:91]
	s_delay_alu instid0(SALU_CYCLE_1)
	s_mul_hi_u32 s95, s90, s93
	s_mul_i32 s94, s90, s93
	s_mul_hi_u32 s2, s90, s92
	s_mul_i32 s83, s91, s92
	s_add_nc_u64 s[94:95], s[2:3], s[94:95]
	s_mul_hi_u32 s0, s91, s92
	s_mul_hi_u32 s89, s91, s93
	s_add_co_u32 s2, s94, s83
	s_add_co_ci_u32 s2, s95, s0
	s_mul_i32 s92, s91, s93
	s_add_co_ci_u32 s93, s89, 0
	s_delay_alu instid0(SALU_CYCLE_1) | instskip(NEXT) | instid1(SALU_CYCLE_1)
	s_add_nc_u64 s[92:93], s[2:3], s[92:93]
	s_add_co_u32 s0, s90, s92
	s_cselect_b32 s2, -1, 0
	v_mul_hi_u32 v16, v8, s0
	s_cmp_lg_u32 s2, 0
	s_add_co_ci_u32 s2, s91, s93
	s_and_b64 s[90:91], s[0:1], s[76:77]
	v_mul_u64_e32 v[10:11], s[2:3], v[8:9]
	v_mul_u64_e32 v[6:7], s[90:91], v[12:13]
	;; [unrolled: 1-line block ×3, first 2 shown]
	s_delay_alu instid0(VALU_DEP_3) | instskip(NEXT) | instid1(VALU_DEP_1)
	v_add_nc_u64_e32 v[10:11], v[16:17], v[10:11]
	v_add_co_u32 v3, vcc_lo, v10, v6
	s_delay_alu instid0(VALU_DEP_2) | instskip(NEXT) | instid1(VALU_DEP_4)
	v_add_co_ci_u32_e32 v16, vcc_lo, v11, v7, vcc_lo
	v_add_co_ci_u32_e32 v15, vcc_lo, 0, v15, vcc_lo
	s_delay_alu instid0(VALU_DEP_1) | instskip(NEXT) | instid1(VALU_DEP_1)
	v_add_nc_u64_e32 v[6:7], v[16:17], v[14:15]
	v_mul_u64_e32 v[10:11], s[84:85], v[6:7]
	s_delay_alu instid0(VALU_DEP_1) | instskip(NEXT) | instid1(VALU_DEP_2)
	v_sub_nc_u32_e32 v3, v12, v11
	v_sub_co_u32 v5, vcc_lo, v8, v10
	s_delay_alu instid0(VALU_DEP_1) | instskip(NEXT) | instid1(VALU_DEP_3)
	v_sub_co_ci_u32_e64 v12, null, v12, v11, vcc_lo
	v_subrev_co_ci_u32_e64 v3, null, s85, v3, vcc_lo
	s_delay_alu instid0(VALU_DEP_3) | instskip(SKIP_1) | instid1(VALU_DEP_3)
	v_sub_co_u32 v8, s0, v5, s84
	v_add_nc_u64_e32 v[10:11], 1, v[6:7]
	v_subrev_co_ci_u32_e64 v3, null, 0, v3, s0
	s_delay_alu instid0(VALU_DEP_3) | instskip(SKIP_1) | instid1(VALU_DEP_3)
	v_cmp_le_u32_e32 vcc_lo, s84, v8
	v_cndmask_b32_e64 v8, 0, -1, vcc_lo
	v_cmp_le_u32_e32 vcc_lo, s85, v3
	v_cndmask_b32_e64 v9, 0, -1, vcc_lo
	;; [unrolled: 2-line block ×4, first 2 shown]
	v_cmp_eq_u32_e32 vcc_lo, s85, v3
	v_cndmask_b32_e32 v3, v9, v8, vcc_lo
	v_cmp_eq_u32_e32 vcc_lo, s85, v12
	v_add_nc_u64_e32 v[8:9], 2, v[6:7]
	v_cndmask_b32_e32 v5, v13, v5, vcc_lo
	s_delay_alu instid0(VALU_DEP_4) | instskip(NEXT) | instid1(VALU_DEP_2)
	v_cmp_ne_u32_e32 vcc_lo, 0, v3
	v_cmp_ne_u32_e64 s0, 0, v5
	s_delay_alu instid0(VALU_DEP_4) | instskip(NEXT) | instid1(VALU_DEP_1)
	v_dual_cndmask_b32 v3, v11, v9, vcc_lo :: v_dual_cndmask_b32 v5, v10, v8, vcc_lo
	v_dual_cndmask_b32 v6, v6, v5, s0 :: v_dual_mov_b32 v5, v4
	s_delay_alu instid0(VALU_DEP_1) | instskip(NEXT) | instid1(VALU_DEP_1)
	v_dual_cndmask_b32 v3, v7, v3, s0 :: v_dual_bitop2_b32 v6, v6, v4 bitop3:0x14
	v_xor_b32_e32 v7, v3, v4
	s_delay_alu instid0(VALU_DEP_1)
	v_sub_nc_u64_e32 v[6:7], v[6:7], v[4:5]
.LBB31_5:                               ;   in Loop: Header=BB31_3 Depth=1
	s_and_not1_saveexec_b32 s0, s88
	s_cbranch_execz .LBB31_7
; %bb.6:                                ;   in Loop: Header=BB31_3 Depth=1
	s_sub_co_i32 s2, 0, s4
	v_mov_b32_e32 v7, v2
	v_mul_lo_u32 v3, s2, v30
	s_delay_alu instid0(VALU_DEP_1) | instskip(NEXT) | instid1(VALU_DEP_1)
	v_mul_hi_u32 v3, v30, v3
	v_add_nc_u32_e32 v3, v30, v3
	s_delay_alu instid0(VALU_DEP_1) | instskip(NEXT) | instid1(VALU_DEP_1)
	v_mul_hi_u32 v3, v0, v3
	v_mul_lo_u32 v4, v3, s4
	s_delay_alu instid0(VALU_DEP_1) | instskip(NEXT) | instid1(VALU_DEP_1)
	v_sub_nc_u32_e32 v4, v0, v4
	v_subrev_nc_u32_e32 v6, s4, v4
	v_cmp_le_u32_e32 vcc_lo, s4, v4
	s_delay_alu instid0(VALU_DEP_2) | instskip(NEXT) | instid1(VALU_DEP_1)
	v_dual_cndmask_b32 v4, v4, v6 :: v_dual_add_nc_u32 v5, 1, v3
	v_cndmask_b32_e32 v3, v3, v5, vcc_lo
	s_delay_alu instid0(VALU_DEP_2) | instskip(NEXT) | instid1(VALU_DEP_2)
	v_cmp_le_u32_e32 vcc_lo, s4, v4
	v_add_nc_u32_e32 v5, 1, v3
	s_delay_alu instid0(VALU_DEP_1)
	v_cndmask_b32_e32 v6, v3, v5, vcc_lo
.LBB31_7:                               ;   in Loop: Header=BB31_3 Depth=1
	s_or_b32 exec_lo, exec_lo, s0
	s_delay_alu instid0(VALU_DEP_1) | instskip(SKIP_1) | instid1(VALU_DEP_1)
	v_mul_u64_e32 v[4:5], s[68:69], v[6:7]
                                        ; implicit-def: $vgpr8_vgpr9
	s_mov_b32 s0, exec_lo
	v_add_nc_u64_e32 v[22:23], v[0:1], v[4:5]
	s_delay_alu instid0(VALU_DEP_1) | instskip(NEXT) | instid1(VALU_DEP_1)
	v_dual_ashrrev_i32 v14, 31, v23 :: v_dual_bitop2_b32 v3, s41, v23 bitop3:0x54
	v_cmpx_ne_u64_e32 0, v[2:3]
	s_xor_b32 s88, exec_lo, s0
	s_cbranch_execz .LBB31_9
; %bb.8:                                ;   in Loop: Header=BB31_3 Depth=1
	s_ashr_i32 s82, s41, 31
	v_dual_mov_b32 v15, v14 :: v_dual_mov_b32 v11, v2
	s_mov_b32 s83, s82
	v_mov_b32_e32 v17, v2
	s_add_nc_u64 s[84:85], s[40:41], s[82:83]
	s_delay_alu instid0(VALU_DEP_2)
	v_add_nc_u64_e32 v[8:9], v[22:23], v[14:15]
	s_xor_b64 s[84:85], s[84:85], s[82:83]
	v_mov_b32_e32 v21, v2
	s_cvt_f32_u32 s0, s84
	s_cvt_f32_u32 s2, s85
	s_sub_nc_u64 s[92:93], 0, s[84:85]
	s_delay_alu instid0(VALU_DEP_2) | instskip(NEXT) | instid1(SALU_CYCLE_1)
	v_xor_b32_e32 v10, v8, v14
	s_fmamk_f32 s0, s2, 0x4f800000, s0
	v_xor_b32_e32 v16, v9, v14
	s_delay_alu instid0(SALU_CYCLE_2) | instskip(NEXT) | instid1(TRANS32_DEP_1)
	v_s_rcp_f32 s0, s0
	s_mul_f32 s0, s0, 0x5f7ffffc
	s_delay_alu instid0(SALU_CYCLE_3) | instskip(NEXT) | instid1(SALU_CYCLE_3)
	s_mul_f32 s2, s0, 0x2f800000
	s_trunc_f32 s2, s2
	s_delay_alu instid0(SALU_CYCLE_3) | instskip(SKIP_1) | instid1(SALU_CYCLE_2)
	s_fmamk_f32 s0, s2, 0xcf800000, s0
	s_cvt_u32_f32 s91, s2
	s_cvt_u32_f32 s90, s0
	s_delay_alu instid0(SALU_CYCLE_3) | instskip(NEXT) | instid1(SALU_CYCLE_1)
	s_mul_u64 s[94:95], s[92:93], s[90:91]
	s_mul_hi_u32 s97, s90, s95
	s_mul_i32 s96, s90, s95
	s_mul_hi_u32 s2, s90, s94
	s_mul_i32 s83, s91, s94
	s_add_nc_u64 s[96:97], s[2:3], s[96:97]
	s_mul_hi_u32 s0, s91, s94
	s_mul_hi_u32 s89, s91, s95
	s_add_co_u32 s2, s96, s83
	s_add_co_ci_u32 s2, s97, s0
	s_mul_i32 s94, s91, s95
	s_add_co_ci_u32 s95, s89, 0
	s_delay_alu instid0(SALU_CYCLE_1) | instskip(NEXT) | instid1(SALU_CYCLE_1)
	s_add_nc_u64 s[94:95], s[2:3], s[94:95]
	s_add_co_u32 s90, s90, s94
	s_cselect_b32 s0, -1, 0
	s_delay_alu instid0(SALU_CYCLE_1) | instskip(SKIP_1) | instid1(SALU_CYCLE_1)
	s_cmp_lg_u32 s0, 0
	s_add_co_ci_u32 s91, s91, s95
	s_mul_u64 s[92:93], s[92:93], s[90:91]
	s_delay_alu instid0(SALU_CYCLE_1)
	s_mul_hi_u32 s95, s90, s93
	s_mul_i32 s94, s90, s93
	s_mul_hi_u32 s2, s90, s92
	s_mul_i32 s83, s91, s92
	s_add_nc_u64 s[94:95], s[2:3], s[94:95]
	s_mul_hi_u32 s0, s91, s92
	s_mul_hi_u32 s89, s91, s93
	s_add_co_u32 s2, s94, s83
	s_add_co_ci_u32 s2, s95, s0
	s_mul_i32 s92, s91, s93
	s_add_co_ci_u32 s93, s89, 0
	s_delay_alu instid0(SALU_CYCLE_1) | instskip(NEXT) | instid1(SALU_CYCLE_1)
	s_add_nc_u64 s[92:93], s[2:3], s[92:93]
	s_add_co_u32 s0, s90, s92
	s_cselect_b32 s2, -1, 0
	v_nop
	v_mul_hi_u32 v20, v10, s0
	s_cmp_lg_u32 s2, 0
	s_add_co_ci_u32 s2, s91, s93
	s_and_b64 s[90:91], s[0:1], s[76:77]
	v_mul_u64_e32 v[12:13], s[2:3], v[10:11]
	v_mul_u64_e32 v[8:9], s[90:91], v[16:17]
	;; [unrolled: 1-line block ×3, first 2 shown]
	s_delay_alu instid0(VALU_DEP_3) | instskip(NEXT) | instid1(VALU_DEP_1)
	v_add_nc_u64_e32 v[12:13], v[20:21], v[12:13]
	v_add_co_u32 v3, vcc_lo, v12, v8
	s_delay_alu instid0(VALU_DEP_2) | instskip(NEXT) | instid1(VALU_DEP_4)
	v_add_co_ci_u32_e32 v20, vcc_lo, v13, v9, vcc_lo
	v_add_co_ci_u32_e32 v19, vcc_lo, 0, v19, vcc_lo
	s_delay_alu instid0(VALU_DEP_1) | instskip(NEXT) | instid1(VALU_DEP_1)
	v_add_nc_u64_e32 v[8:9], v[20:21], v[18:19]
	v_mul_u64_e32 v[12:13], s[84:85], v[8:9]
	s_delay_alu instid0(VALU_DEP_1) | instskip(NEXT) | instid1(VALU_DEP_2)
	v_sub_nc_u32_e32 v3, v16, v13
	v_sub_co_u32 v10, vcc_lo, v10, v12
	s_delay_alu instid0(VALU_DEP_1) | instskip(NEXT) | instid1(VALU_DEP_3)
	v_sub_co_ci_u32_e64 v15, null, v16, v13, vcc_lo
	v_subrev_co_ci_u32_e64 v3, null, s85, v3, vcc_lo
	s_delay_alu instid0(VALU_DEP_3) | instskip(NEXT) | instid1(VALU_DEP_1)
	v_sub_co_u32 v11, s0, v10, s84
	v_subrev_co_ci_u32_e64 v3, null, 0, v3, s0
	s_delay_alu instid0(VALU_DEP_2) | instskip(SKIP_1) | instid1(VALU_DEP_3)
	v_cmp_le_u32_e32 vcc_lo, s84, v11
	v_cndmask_b32_e64 v11, 0, -1, vcc_lo
	v_cmp_le_u32_e32 vcc_lo, s85, v3
	v_cndmask_b32_e64 v12, 0, -1, vcc_lo
	;; [unrolled: 2-line block ×4, first 2 shown]
	v_cmp_eq_u32_e32 vcc_lo, s85, v3
	v_cndmask_b32_e32 v3, v12, v11, vcc_lo
	v_cmp_eq_u32_e32 vcc_lo, s85, v15
	v_add_nc_u64_e32 v[10:11], 2, v[8:9]
	v_add_nc_u64_e32 v[12:13], 1, v[8:9]
	v_cndmask_b32_e32 v15, v17, v16, vcc_lo
	v_cmp_ne_u32_e32 vcc_lo, 0, v3
	s_delay_alu instid0(VALU_DEP_2) | instskip(NEXT) | instid1(VALU_DEP_4)
	v_cmp_ne_u32_e64 s0, 0, v15
	v_dual_cndmask_b32 v3, v13, v11, vcc_lo :: v_dual_cndmask_b32 v11, v12, v10, vcc_lo
	s_delay_alu instid0(VALU_DEP_1) | instskip(NEXT) | instid1(VALU_DEP_1)
	v_dual_cndmask_b32 v3, v9, v3, s0 :: v_dual_bitop2_b32 v10, s82, v14 bitop3:0x14
	v_dual_cndmask_b32 v8, v8, v11, s0 :: v_dual_mov_b32 v11, v10
	s_delay_alu instid0(VALU_DEP_2) | instskip(NEXT) | instid1(VALU_DEP_2)
	v_xor_b32_e32 v9, v3, v10
	v_xor_b32_e32 v8, v8, v10
	s_delay_alu instid0(VALU_DEP_1)
	v_sub_nc_u64_e32 v[8:9], v[8:9], v[10:11]
.LBB31_9:                               ;   in Loop: Header=BB31_3 Depth=1
	s_or_saveexec_b32 s0, s88
	v_cvt_f32_u32_e32 v15, s40
	s_xor_b32 exec_lo, exec_lo, s0
	s_cbranch_execz .LBB31_11
; %bb.10:                               ;   in Loop: Header=BB31_3 Depth=1
	s_delay_alu instid0(VALU_DEP_1) | instskip(SKIP_2) | instid1(TRANS32_DEP_1)
	v_rcp_iflag_f32_e32 v3, v15
	s_sub_co_i32 s2, 0, s40
	v_nop
	v_mul_f32_e32 v3, 0x4f7ffffe, v3
	s_delay_alu instid0(VALU_DEP_1) | instskip(NEXT) | instid1(VALU_DEP_1)
	v_cvt_u32_f32_e32 v3, v3
	v_mul_lo_u32 v8, s2, v3
	s_delay_alu instid0(VALU_DEP_1) | instskip(NEXT) | instid1(VALU_DEP_1)
	v_mul_hi_u32 v8, v3, v8
	v_add_nc_u32_e32 v3, v3, v8
	s_delay_alu instid0(VALU_DEP_1) | instskip(NEXT) | instid1(VALU_DEP_1)
	v_mul_hi_u32 v3, v22, v3
	v_mul_lo_u32 v8, v3, s40
	s_delay_alu instid0(VALU_DEP_1) | instskip(NEXT) | instid1(VALU_DEP_1)
	v_dual_add_nc_u32 v9, 1, v3 :: v_dual_sub_nc_u32 v8, v22, v8
	v_subrev_nc_u32_e32 v10, s40, v8
	v_cmp_le_u32_e32 vcc_lo, s40, v8
	s_delay_alu instid0(VALU_DEP_2) | instskip(NEXT) | instid1(VALU_DEP_1)
	v_dual_cndmask_b32 v8, v8, v10 :: v_dual_cndmask_b32 v3, v3, v9
	v_cmp_le_u32_e32 vcc_lo, s40, v8
	s_delay_alu instid0(VALU_DEP_2) | instskip(NEXT) | instid1(VALU_DEP_1)
	v_add_nc_u32_e32 v9, 1, v3
	v_dual_cndmask_b32 v8, v3, v9 :: v_dual_mov_b32 v9, v2
.LBB31_11:                              ;   in Loop: Header=BB31_3 Depth=1
	s_or_b32 exec_lo, exec_lo, s0
	s_delay_alu instid0(VALU_DEP_1) | instskip(SKIP_2) | instid1(VALU_DEP_2)
	v_mul_u64_e32 v[10:11], s[40:41], v[8:9]
	v_mul_u64_e32 v[8:9], s[12:13], v[8:9]
	s_mov_b32 s0, exec_lo
	v_sub_nc_u64_e32 v[10:11], v[4:5], v[10:11]
	s_delay_alu instid0(VALU_DEP_2) | instskip(NEXT) | instid1(VALU_DEP_2)
	v_lshl_add_u64 v[8:9], v[8:9], 1, s[34:35]
	v_add_nc_u64_e32 v[10:11], v[0:1], v[10:11]
	s_delay_alu instid0(VALU_DEP_1) | instskip(NEXT) | instid1(VALU_DEP_1)
	v_mul_u64_e32 v[10:11], s[14:15], v[10:11]
	v_lshl_add_u64 v[8:9], v[10:11], 1, v[8:9]
	v_mul_u64_e32 v[10:11], 3, v[6:7]
	global_load_u16 v31, v[8:9], off
                                        ; implicit-def: $vgpr8_vgpr9
	v_mad_nc_u64_u32 v[6:7], s4, v10, s[4:5]
	s_delay_alu instid0(VALU_DEP_1) | instskip(NEXT) | instid1(VALU_DEP_1)
	v_mad_u32 v3, s5, v10, v7
	v_mad_u32 v7, s4, v11, v3
	s_delay_alu instid0(VALU_DEP_1) | instskip(NEXT) | instid1(VALU_DEP_1)
	v_add_nc_u64_e32 v[24:25], v[0:1], v[6:7]
	v_dual_ashrrev_i32 v16, 31, v25 :: v_dual_bitop2_b32 v3, s41, v25 bitop3:0x54
	s_wait_xcnt 0x0
	s_delay_alu instid0(VALU_DEP_1)
	v_cmpx_ne_u64_e32 0, v[2:3]
	s_xor_b32 s88, exec_lo, s0
	s_cbranch_execz .LBB31_13
; %bb.12:                               ;   in Loop: Header=BB31_3 Depth=1
	s_ashr_i32 s82, s41, 31
	v_dual_mov_b32 v17, v16 :: v_dual_mov_b32 v13, v2
	s_mov_b32 s83, s82
	v_mov_b32_e32 v21, v2
	s_add_nc_u64 s[84:85], s[40:41], s[82:83]
	s_delay_alu instid0(VALU_DEP_2)
	v_add_nc_u64_e32 v[8:9], v[24:25], v[16:17]
	s_xor_b64 s[84:85], s[84:85], s[82:83]
	v_mov_b32_e32 v29, v2
	s_cvt_f32_u32 s0, s84
	s_cvt_f32_u32 s2, s85
	s_sub_nc_u64 s[92:93], 0, s[84:85]
	s_delay_alu instid0(VALU_DEP_2) | instskip(NEXT) | instid1(SALU_CYCLE_1)
	v_xor_b32_e32 v12, v8, v16
	s_fmamk_f32 s0, s2, 0x4f800000, s0
	v_xor_b32_e32 v20, v9, v16
	s_delay_alu instid0(SALU_CYCLE_2) | instskip(NEXT) | instid1(TRANS32_DEP_1)
	v_s_rcp_f32 s0, s0
	s_mul_f32 s0, s0, 0x5f7ffffc
	s_delay_alu instid0(SALU_CYCLE_3) | instskip(NEXT) | instid1(SALU_CYCLE_3)
	s_mul_f32 s2, s0, 0x2f800000
	s_trunc_f32 s2, s2
	s_delay_alu instid0(SALU_CYCLE_3) | instskip(SKIP_1) | instid1(SALU_CYCLE_2)
	s_fmamk_f32 s0, s2, 0xcf800000, s0
	s_cvt_u32_f32 s91, s2
	s_cvt_u32_f32 s90, s0
	s_delay_alu instid0(SALU_CYCLE_3) | instskip(NEXT) | instid1(SALU_CYCLE_1)
	s_mul_u64 s[94:95], s[92:93], s[90:91]
	s_mul_hi_u32 s97, s90, s95
	s_mul_i32 s96, s90, s95
	s_mul_hi_u32 s2, s90, s94
	s_mul_i32 s83, s91, s94
	s_add_nc_u64 s[96:97], s[2:3], s[96:97]
	s_mul_hi_u32 s0, s91, s94
	s_mul_hi_u32 s89, s91, s95
	s_add_co_u32 s2, s96, s83
	s_add_co_ci_u32 s2, s97, s0
	s_mul_i32 s94, s91, s95
	s_add_co_ci_u32 s95, s89, 0
	s_delay_alu instid0(SALU_CYCLE_1) | instskip(NEXT) | instid1(SALU_CYCLE_1)
	s_add_nc_u64 s[94:95], s[2:3], s[94:95]
	s_add_co_u32 s90, s90, s94
	s_cselect_b32 s0, -1, 0
	s_delay_alu instid0(SALU_CYCLE_1) | instskip(SKIP_1) | instid1(SALU_CYCLE_1)
	s_cmp_lg_u32 s0, 0
	s_add_co_ci_u32 s91, s91, s95
	s_mul_u64 s[92:93], s[92:93], s[90:91]
	s_delay_alu instid0(SALU_CYCLE_1)
	s_mul_hi_u32 s95, s90, s93
	s_mul_i32 s94, s90, s93
	s_mul_hi_u32 s2, s90, s92
	s_mul_i32 s83, s91, s92
	s_add_nc_u64 s[94:95], s[2:3], s[94:95]
	s_mul_hi_u32 s0, s91, s92
	s_mul_hi_u32 s89, s91, s93
	s_add_co_u32 s2, s94, s83
	s_add_co_ci_u32 s2, s95, s0
	s_mul_i32 s92, s91, s93
	s_add_co_ci_u32 s93, s89, 0
	s_delay_alu instid0(SALU_CYCLE_1) | instskip(NEXT) | instid1(SALU_CYCLE_1)
	s_add_nc_u64 s[92:93], s[2:3], s[92:93]
	s_add_co_u32 s0, s90, s92
	s_cselect_b32 s2, -1, 0
	v_nop
	v_mul_hi_u32 v28, v12, s0
	s_cmp_lg_u32 s2, 0
	s_add_co_ci_u32 s2, s91, s93
	s_and_b64 s[90:91], s[0:1], s[76:77]
	v_mul_u64_e32 v[18:19], s[2:3], v[12:13]
	v_mul_u64_e32 v[8:9], s[90:91], v[20:21]
	;; [unrolled: 1-line block ×3, first 2 shown]
	s_delay_alu instid0(VALU_DEP_3) | instskip(NEXT) | instid1(VALU_DEP_1)
	v_add_nc_u64_e32 v[18:19], v[28:29], v[18:19]
	v_add_co_u32 v3, vcc_lo, v18, v8
	s_delay_alu instid0(VALU_DEP_2) | instskip(NEXT) | instid1(VALU_DEP_4)
	v_add_co_ci_u32_e32 v28, vcc_lo, v19, v9, vcc_lo
	v_add_co_ci_u32_e32 v27, vcc_lo, 0, v27, vcc_lo
	s_delay_alu instid0(VALU_DEP_1) | instskip(NEXT) | instid1(VALU_DEP_1)
	v_add_nc_u64_e32 v[8:9], v[28:29], v[26:27]
	v_mul_u64_e32 v[18:19], s[84:85], v[8:9]
	s_delay_alu instid0(VALU_DEP_1) | instskip(NEXT) | instid1(VALU_DEP_2)
	v_sub_nc_u32_e32 v3, v20, v19
	v_sub_co_u32 v12, vcc_lo, v12, v18
	s_delay_alu instid0(VALU_DEP_1) | instskip(NEXT) | instid1(VALU_DEP_3)
	v_sub_co_ci_u32_e64 v17, null, v20, v19, vcc_lo
	v_subrev_co_ci_u32_e64 v3, null, s85, v3, vcc_lo
	s_delay_alu instid0(VALU_DEP_3) | instskip(NEXT) | instid1(VALU_DEP_1)
	v_sub_co_u32 v13, s0, v12, s84
	v_subrev_co_ci_u32_e64 v3, null, 0, v3, s0
	s_delay_alu instid0(VALU_DEP_2) | instskip(SKIP_1) | instid1(VALU_DEP_3)
	v_cmp_le_u32_e32 vcc_lo, s84, v13
	v_cndmask_b32_e64 v13, 0, -1, vcc_lo
	v_cmp_le_u32_e32 vcc_lo, s85, v3
	v_cndmask_b32_e64 v18, 0, -1, vcc_lo
	;; [unrolled: 2-line block ×4, first 2 shown]
	v_cmp_eq_u32_e32 vcc_lo, s85, v3
	v_cndmask_b32_e32 v3, v18, v13, vcc_lo
	v_cmp_eq_u32_e32 vcc_lo, s85, v17
	v_add_nc_u64_e32 v[12:13], 2, v[8:9]
	v_add_nc_u64_e32 v[18:19], 1, v[8:9]
	v_cndmask_b32_e32 v17, v21, v20, vcc_lo
	v_cmp_ne_u32_e32 vcc_lo, 0, v3
	s_delay_alu instid0(VALU_DEP_2) | instskip(NEXT) | instid1(VALU_DEP_4)
	v_cmp_ne_u32_e64 s0, 0, v17
	v_dual_cndmask_b32 v3, v19, v13, vcc_lo :: v_dual_cndmask_b32 v13, v18, v12, vcc_lo
	s_delay_alu instid0(VALU_DEP_1) | instskip(NEXT) | instid1(VALU_DEP_2)
	v_dual_cndmask_b32 v3, v9, v3, s0 :: v_dual_bitop2_b32 v12, s82, v16 bitop3:0x14
	v_cndmask_b32_e64 v8, v8, v13, s0
	s_delay_alu instid0(VALU_DEP_2) | instskip(NEXT) | instid1(VALU_DEP_2)
	v_dual_mov_b32 v13, v12 :: v_dual_bitop2_b32 v9, v3, v12 bitop3:0x14
	v_xor_b32_e32 v8, v8, v12
	s_delay_alu instid0(VALU_DEP_1)
	v_sub_nc_u64_e32 v[8:9], v[8:9], v[12:13]
.LBB31_13:                              ;   in Loop: Header=BB31_3 Depth=1
	s_and_not1_saveexec_b32 s0, s88
	s_cbranch_execz .LBB31_15
; %bb.14:                               ;   in Loop: Header=BB31_3 Depth=1
	v_rcp_iflag_f32_e32 v3, v15
	s_sub_co_i32 s2, 0, s40
	v_nop
	s_delay_alu instid0(TRANS32_DEP_1) | instskip(NEXT) | instid1(VALU_DEP_1)
	v_mul_f32_e32 v3, 0x4f7ffffe, v3
	v_cvt_u32_f32_e32 v3, v3
	s_delay_alu instid0(VALU_DEP_1) | instskip(NEXT) | instid1(VALU_DEP_1)
	v_mul_lo_u32 v8, s2, v3
	v_mul_hi_u32 v8, v3, v8
	s_delay_alu instid0(VALU_DEP_1) | instskip(NEXT) | instid1(VALU_DEP_1)
	v_add_nc_u32_e32 v3, v3, v8
	v_mul_hi_u32 v3, v24, v3
	s_delay_alu instid0(VALU_DEP_1) | instskip(NEXT) | instid1(VALU_DEP_1)
	v_mul_lo_u32 v8, v3, s40
	v_sub_nc_u32_e32 v8, v24, v8
	s_delay_alu instid0(VALU_DEP_1) | instskip(SKIP_1) | instid1(VALU_DEP_2)
	v_subrev_nc_u32_e32 v12, s40, v8
	v_cmp_le_u32_e32 vcc_lo, s40, v8
	v_dual_cndmask_b32 v8, v8, v12 :: v_dual_add_nc_u32 v9, 1, v3
	s_delay_alu instid0(VALU_DEP_1) | instskip(NEXT) | instid1(VALU_DEP_2)
	v_cndmask_b32_e32 v3, v3, v9, vcc_lo
	v_cmp_le_u32_e32 vcc_lo, s40, v8
	s_delay_alu instid0(VALU_DEP_2) | instskip(NEXT) | instid1(VALU_DEP_1)
	v_add_nc_u32_e32 v9, 1, v3
	v_dual_cndmask_b32 v8, v3, v9 :: v_dual_mov_b32 v9, v2
.LBB31_15:                              ;   in Loop: Header=BB31_3 Depth=1
	s_or_b32 exec_lo, exec_lo, s0
	s_delay_alu instid0(VALU_DEP_1) | instskip(SKIP_2) | instid1(VALU_DEP_2)
	v_mul_u64_e32 v[12:13], s[40:41], v[8:9]
	v_mul_u64_e32 v[8:9], s[12:13], v[8:9]
	s_mov_b32 s0, exec_lo
	v_sub_nc_u64_e32 v[12:13], v[6:7], v[12:13]
	s_delay_alu instid0(VALU_DEP_2) | instskip(NEXT) | instid1(VALU_DEP_2)
	v_lshl_add_u64 v[8:9], v[8:9], 1, s[34:35]
	v_add_nc_u64_e32 v[12:13], v[0:1], v[12:13]
	s_delay_alu instid0(VALU_DEP_1) | instskip(NEXT) | instid1(VALU_DEP_1)
	v_mul_u64_e32 v[12:13], s[14:15], v[12:13]
	v_lshl_add_u64 v[8:9], v[12:13], 1, v[8:9]
                                        ; implicit-def: $vgpr12_vgpr13
	global_load_u16 v32, v[8:9], off
	s_wait_xcnt 0x0
	v_add_nc_u64_e32 v[8:9], 2, v[10:11]
	s_delay_alu instid0(VALU_DEP_1) | instskip(NEXT) | instid1(VALU_DEP_1)
	v_mul_u64_e32 v[8:9], s[4:5], v[8:9]
	v_add_nc_u64_e32 v[26:27], v[0:1], v[8:9]
	s_delay_alu instid0(VALU_DEP_1) | instskip(NEXT) | instid1(VALU_DEP_1)
	v_dual_ashrrev_i32 v18, 31, v27 :: v_dual_bitop2_b32 v3, s41, v27 bitop3:0x54
	v_cmpx_ne_u64_e32 0, v[2:3]
	s_xor_b32 s88, exec_lo, s0
	s_cbranch_execz .LBB31_17
; %bb.16:                               ;   in Loop: Header=BB31_3 Depth=1
	s_ashr_i32 s82, s41, 31
	v_dual_mov_b32 v19, v18 :: v_dual_mov_b32 v21, v2
	s_mov_b32 s83, s82
	v_mov_b32_e32 v35, v2
	s_add_nc_u64 s[84:85], s[40:41], s[82:83]
	s_delay_alu instid0(VALU_DEP_2)
	v_add_nc_u64_e32 v[12:13], v[26:27], v[18:19]
	s_xor_b64 s[84:85], s[84:85], s[82:83]
	v_mov_b32_e32 v39, v2
	s_cvt_f32_u32 s0, s84
	s_cvt_f32_u32 s2, s85
	s_sub_nc_u64 s[92:93], 0, s[84:85]
	s_delay_alu instid0(VALU_DEP_2) | instskip(NEXT) | instid1(SALU_CYCLE_1)
	v_xor_b32_e32 v20, v12, v18
	s_fmamk_f32 s0, s2, 0x4f800000, s0
	v_xor_b32_e32 v34, v13, v18
	s_delay_alu instid0(SALU_CYCLE_2) | instskip(NEXT) | instid1(TRANS32_DEP_1)
	v_s_rcp_f32 s0, s0
	s_mul_f32 s0, s0, 0x5f7ffffc
	s_delay_alu instid0(SALU_CYCLE_3) | instskip(NEXT) | instid1(SALU_CYCLE_3)
	s_mul_f32 s2, s0, 0x2f800000
	s_trunc_f32 s2, s2
	s_delay_alu instid0(SALU_CYCLE_3) | instskip(SKIP_1) | instid1(SALU_CYCLE_2)
	s_fmamk_f32 s0, s2, 0xcf800000, s0
	s_cvt_u32_f32 s91, s2
	s_cvt_u32_f32 s90, s0
	s_delay_alu instid0(SALU_CYCLE_3) | instskip(NEXT) | instid1(SALU_CYCLE_1)
	s_mul_u64 s[94:95], s[92:93], s[90:91]
	s_mul_hi_u32 s97, s90, s95
	s_mul_i32 s96, s90, s95
	s_mul_hi_u32 s2, s90, s94
	s_mul_i32 s83, s91, s94
	s_add_nc_u64 s[96:97], s[2:3], s[96:97]
	s_mul_hi_u32 s0, s91, s94
	s_mul_hi_u32 s89, s91, s95
	s_add_co_u32 s2, s96, s83
	s_add_co_ci_u32 s2, s97, s0
	s_mul_i32 s94, s91, s95
	s_add_co_ci_u32 s95, s89, 0
	s_delay_alu instid0(SALU_CYCLE_1) | instskip(NEXT) | instid1(SALU_CYCLE_1)
	s_add_nc_u64 s[94:95], s[2:3], s[94:95]
	s_add_co_u32 s90, s90, s94
	s_cselect_b32 s0, -1, 0
	s_delay_alu instid0(SALU_CYCLE_1) | instskip(SKIP_1) | instid1(SALU_CYCLE_1)
	s_cmp_lg_u32 s0, 0
	s_add_co_ci_u32 s91, s91, s95
	s_mul_u64 s[92:93], s[92:93], s[90:91]
	s_delay_alu instid0(SALU_CYCLE_1)
	s_mul_hi_u32 s95, s90, s93
	s_mul_i32 s94, s90, s93
	s_mul_hi_u32 s2, s90, s92
	s_mul_i32 s83, s91, s92
	s_add_nc_u64 s[94:95], s[2:3], s[94:95]
	s_mul_hi_u32 s0, s91, s92
	s_mul_hi_u32 s89, s91, s93
	s_add_co_u32 s2, s94, s83
	s_add_co_ci_u32 s2, s95, s0
	s_mul_i32 s92, s91, s93
	s_add_co_ci_u32 s93, s89, 0
	s_delay_alu instid0(SALU_CYCLE_1) | instskip(NEXT) | instid1(SALU_CYCLE_1)
	s_add_nc_u64 s[92:93], s[2:3], s[92:93]
	s_add_co_u32 s0, s90, s92
	s_cselect_b32 s2, -1, 0
	v_nop
	v_mul_hi_u32 v38, v20, s0
	s_cmp_lg_u32 s2, 0
	s_add_co_ci_u32 s2, s91, s93
	s_and_b64 s[90:91], s[0:1], s[76:77]
	v_mul_u64_e32 v[28:29], s[2:3], v[20:21]
	v_mul_u64_e32 v[12:13], s[90:91], v[34:35]
	;; [unrolled: 1-line block ×3, first 2 shown]
	s_delay_alu instid0(VALU_DEP_3) | instskip(NEXT) | instid1(VALU_DEP_1)
	v_add_nc_u64_e32 v[28:29], v[38:39], v[28:29]
	v_add_co_u32 v3, vcc_lo, v28, v12
	s_delay_alu instid0(VALU_DEP_2) | instskip(NEXT) | instid1(VALU_DEP_4)
	v_add_co_ci_u32_e32 v38, vcc_lo, v29, v13, vcc_lo
	v_add_co_ci_u32_e32 v37, vcc_lo, 0, v37, vcc_lo
	s_delay_alu instid0(VALU_DEP_1) | instskip(NEXT) | instid1(VALU_DEP_1)
	v_add_nc_u64_e32 v[12:13], v[38:39], v[36:37]
	v_mul_u64_e32 v[28:29], s[84:85], v[12:13]
	s_delay_alu instid0(VALU_DEP_1) | instskip(NEXT) | instid1(VALU_DEP_2)
	v_sub_nc_u32_e32 v3, v34, v29
	v_sub_co_u32 v17, vcc_lo, v20, v28
	s_delay_alu instid0(VALU_DEP_1) | instskip(NEXT) | instid1(VALU_DEP_3)
	v_sub_co_ci_u32_e64 v33, null, v34, v29, vcc_lo
	v_subrev_co_ci_u32_e64 v3, null, s85, v3, vcc_lo
	s_delay_alu instid0(VALU_DEP_3) | instskip(SKIP_1) | instid1(VALU_DEP_3)
	v_sub_co_u32 v19, s0, v17, s84
	v_add_nc_u64_e32 v[28:29], 1, v[12:13]
	v_subrev_co_ci_u32_e64 v3, null, 0, v3, s0
	s_delay_alu instid0(VALU_DEP_3) | instskip(SKIP_1) | instid1(VALU_DEP_3)
	v_cmp_le_u32_e32 vcc_lo, s84, v19
	v_cndmask_b32_e64 v19, 0, -1, vcc_lo
	v_cmp_le_u32_e32 vcc_lo, s85, v3
	v_cndmask_b32_e64 v20, 0, -1, vcc_lo
	;; [unrolled: 2-line block ×4, first 2 shown]
	v_cmp_eq_u32_e32 vcc_lo, s85, v3
	v_cndmask_b32_e32 v3, v20, v19, vcc_lo
	v_cmp_eq_u32_e32 vcc_lo, s85, v33
	v_add_nc_u64_e32 v[20:21], 2, v[12:13]
	v_cndmask_b32_e32 v17, v34, v17, vcc_lo
	s_delay_alu instid0(VALU_DEP_4) | instskip(NEXT) | instid1(VALU_DEP_2)
	v_cmp_ne_u32_e32 vcc_lo, 0, v3
	v_cmp_ne_u32_e64 s0, 0, v17
	s_delay_alu instid0(VALU_DEP_4) | instskip(NEXT) | instid1(VALU_DEP_1)
	v_dual_cndmask_b32 v3, v29, v21, vcc_lo :: v_dual_cndmask_b32 v17, v28, v20, vcc_lo
	v_dual_cndmask_b32 v3, v13, v3, s0 :: v_dual_bitop2_b32 v20, s82, v18 bitop3:0x14
	s_delay_alu instid0(VALU_DEP_2) | instskip(NEXT) | instid1(VALU_DEP_2)
	v_cndmask_b32_e64 v12, v12, v17, s0
	v_dual_mov_b32 v21, v20 :: v_dual_bitop2_b32 v13, v3, v20 bitop3:0x14
	s_delay_alu instid0(VALU_DEP_2) | instskip(NEXT) | instid1(VALU_DEP_1)
	v_xor_b32_e32 v12, v12, v20
	v_sub_nc_u64_e32 v[12:13], v[12:13], v[20:21]
.LBB31_17:                              ;   in Loop: Header=BB31_3 Depth=1
	s_and_not1_saveexec_b32 s0, s88
	s_cbranch_execz .LBB31_19
; %bb.18:                               ;   in Loop: Header=BB31_3 Depth=1
	v_rcp_iflag_f32_e32 v3, v15
	s_sub_co_i32 s2, 0, s40
	v_nop
	s_delay_alu instid0(TRANS32_DEP_1) | instskip(NEXT) | instid1(VALU_DEP_1)
	v_mul_f32_e32 v3, 0x4f7ffffe, v3
	v_cvt_u32_f32_e32 v3, v3
	s_delay_alu instid0(VALU_DEP_1) | instskip(NEXT) | instid1(VALU_DEP_1)
	v_mul_lo_u32 v12, s2, v3
	v_mul_hi_u32 v12, v3, v12
	s_delay_alu instid0(VALU_DEP_1) | instskip(NEXT) | instid1(VALU_DEP_1)
	v_add_nc_u32_e32 v3, v3, v12
	v_mul_hi_u32 v3, v26, v3
	s_delay_alu instid0(VALU_DEP_1) | instskip(NEXT) | instid1(VALU_DEP_1)
	v_mul_lo_u32 v12, v3, s40
	v_dual_add_nc_u32 v13, 1, v3 :: v_dual_sub_nc_u32 v12, v26, v12
	s_delay_alu instid0(VALU_DEP_1) | instskip(SKIP_1) | instid1(VALU_DEP_2)
	v_subrev_nc_u32_e32 v17, s40, v12
	v_cmp_le_u32_e32 vcc_lo, s40, v12
	v_cndmask_b32_e32 v12, v12, v17, vcc_lo
	s_delay_alu instid0(VALU_DEP_4) | instskip(NEXT) | instid1(VALU_DEP_2)
	v_cndmask_b32_e32 v3, v3, v13, vcc_lo
	v_cmp_le_u32_e32 vcc_lo, s40, v12
	s_delay_alu instid0(VALU_DEP_2) | instskip(NEXT) | instid1(VALU_DEP_1)
	v_add_nc_u32_e32 v13, 1, v3
	v_dual_cndmask_b32 v12, v3, v13 :: v_dual_mov_b32 v13, v2
.LBB31_19:                              ;   in Loop: Header=BB31_3 Depth=1
	s_or_b32 exec_lo, exec_lo, s0
	s_delay_alu instid0(VALU_DEP_1) | instskip(SKIP_3) | instid1(VALU_DEP_1)
	v_mul_u64_e32 v[20:21], s[40:41], v[12:13]
	v_mul_u64_e32 v[12:13], s[12:13], v[12:13]
	v_add_nc_u64_e32 v[10:11], 3, v[10:11]
	s_mov_b32 s0, exec_lo
	v_mul_u64_e32 v[10:11], s[4:5], v[10:11]
	s_delay_alu instid0(VALU_DEP_4) | instskip(NEXT) | instid1(VALU_DEP_4)
	v_sub_nc_u64_e32 v[20:21], v[8:9], v[20:21]
	v_lshl_add_u64 v[12:13], v[12:13], 1, s[34:35]
	s_delay_alu instid0(VALU_DEP_2) | instskip(NEXT) | instid1(VALU_DEP_4)
	v_add_nc_u64_e32 v[20:21], v[0:1], v[20:21]
	v_add_nc_u64_e32 v[28:29], v[0:1], v[10:11]
	s_delay_alu instid0(VALU_DEP_2) | instskip(NEXT) | instid1(VALU_DEP_2)
	v_mul_u64_e32 v[20:21], s[14:15], v[20:21]
	v_or_b32_e32 v3, s41, v29
	s_delay_alu instid0(VALU_DEP_2)
	v_lshl_add_u64 v[12:13], v[20:21], 1, v[12:13]
	v_ashrrev_i32_e32 v20, 31, v29
	global_load_u16 v33, v[12:13], off
                                        ; implicit-def: $vgpr12_vgpr13
	s_wait_xcnt 0x0
	v_cmpx_ne_u64_e32 0, v[2:3]
	s_xor_b32 s88, exec_lo, s0
	s_cbranch_execz .LBB31_21
; %bb.20:                               ;   in Loop: Header=BB31_3 Depth=1
	s_ashr_i32 s82, s41, 31
	v_dual_mov_b32 v21, v20 :: v_dual_mov_b32 v35, v2
	s_mov_b32 s83, s82
	v_mov_b32_e32 v39, v2
	s_add_nc_u64 s[84:85], s[40:41], s[82:83]
	s_delay_alu instid0(VALU_DEP_2)
	v_add_nc_u64_e32 v[12:13], v[28:29], v[20:21]
	s_xor_b64 s[84:85], s[84:85], s[82:83]
	v_mov_b32_e32 v43, v2
	s_cvt_f32_u32 s0, s84
	s_cvt_f32_u32 s2, s85
	s_sub_nc_u64 s[92:93], 0, s[84:85]
	s_delay_alu instid0(VALU_DEP_2) | instskip(NEXT) | instid1(SALU_CYCLE_1)
	v_xor_b32_e32 v34, v12, v20
	s_fmamk_f32 s0, s2, 0x4f800000, s0
	v_xor_b32_e32 v38, v13, v20
	s_delay_alu instid0(SALU_CYCLE_2) | instskip(NEXT) | instid1(TRANS32_DEP_1)
	v_s_rcp_f32 s0, s0
	s_mul_f32 s0, s0, 0x5f7ffffc
	s_delay_alu instid0(SALU_CYCLE_3) | instskip(NEXT) | instid1(SALU_CYCLE_3)
	s_mul_f32 s2, s0, 0x2f800000
	s_trunc_f32 s2, s2
	s_delay_alu instid0(SALU_CYCLE_3) | instskip(SKIP_1) | instid1(SALU_CYCLE_2)
	s_fmamk_f32 s0, s2, 0xcf800000, s0
	s_cvt_u32_f32 s91, s2
	s_cvt_u32_f32 s90, s0
	s_delay_alu instid0(SALU_CYCLE_3) | instskip(NEXT) | instid1(SALU_CYCLE_1)
	s_mul_u64 s[94:95], s[92:93], s[90:91]
	s_mul_hi_u32 s97, s90, s95
	s_mul_i32 s96, s90, s95
	s_mul_hi_u32 s2, s90, s94
	s_mul_i32 s83, s91, s94
	s_add_nc_u64 s[96:97], s[2:3], s[96:97]
	s_mul_hi_u32 s0, s91, s94
	s_mul_hi_u32 s89, s91, s95
	s_add_co_u32 s2, s96, s83
	s_add_co_ci_u32 s2, s97, s0
	s_mul_i32 s94, s91, s95
	s_add_co_ci_u32 s95, s89, 0
	s_delay_alu instid0(SALU_CYCLE_1) | instskip(NEXT) | instid1(SALU_CYCLE_1)
	s_add_nc_u64 s[94:95], s[2:3], s[94:95]
	s_add_co_u32 s90, s90, s94
	s_cselect_b32 s0, -1, 0
	s_delay_alu instid0(SALU_CYCLE_1) | instskip(SKIP_1) | instid1(SALU_CYCLE_1)
	s_cmp_lg_u32 s0, 0
	s_add_co_ci_u32 s91, s91, s95
	s_mul_u64 s[92:93], s[92:93], s[90:91]
	s_delay_alu instid0(SALU_CYCLE_1)
	s_mul_hi_u32 s95, s90, s93
	s_mul_i32 s94, s90, s93
	s_mul_hi_u32 s2, s90, s92
	s_mul_i32 s83, s91, s92
	s_add_nc_u64 s[94:95], s[2:3], s[94:95]
	s_mul_hi_u32 s0, s91, s92
	s_mul_hi_u32 s89, s91, s93
	s_add_co_u32 s2, s94, s83
	s_add_co_ci_u32 s2, s95, s0
	s_mul_i32 s92, s91, s93
	s_add_co_ci_u32 s93, s89, 0
	s_delay_alu instid0(SALU_CYCLE_1) | instskip(NEXT) | instid1(SALU_CYCLE_1)
	s_add_nc_u64 s[92:93], s[2:3], s[92:93]
	s_add_co_u32 s0, s90, s92
	s_cselect_b32 s2, -1, 0
	v_nop
	v_mul_hi_u32 v42, v34, s0
	s_cmp_lg_u32 s2, 0
	s_add_co_ci_u32 s2, s91, s93
	s_and_b64 s[90:91], s[0:1], s[76:77]
	v_mul_u64_e32 v[36:37], s[2:3], v[34:35]
	v_mul_u64_e32 v[12:13], s[90:91], v[38:39]
	;; [unrolled: 1-line block ×3, first 2 shown]
	s_delay_alu instid0(VALU_DEP_3) | instskip(NEXT) | instid1(VALU_DEP_1)
	v_add_nc_u64_e32 v[36:37], v[42:43], v[36:37]
	v_add_co_u32 v3, vcc_lo, v36, v12
	s_delay_alu instid0(VALU_DEP_2) | instskip(NEXT) | instid1(VALU_DEP_4)
	v_add_co_ci_u32_e32 v42, vcc_lo, v37, v13, vcc_lo
	v_add_co_ci_u32_e32 v41, vcc_lo, 0, v41, vcc_lo
	s_delay_alu instid0(VALU_DEP_1) | instskip(NEXT) | instid1(VALU_DEP_1)
	v_add_nc_u64_e32 v[12:13], v[42:43], v[40:41]
	v_mul_u64_e32 v[36:37], s[84:85], v[12:13]
	s_delay_alu instid0(VALU_DEP_1) | instskip(NEXT) | instid1(VALU_DEP_2)
	v_sub_nc_u32_e32 v3, v38, v37
	v_sub_co_u32 v15, vcc_lo, v34, v36
	s_delay_alu instid0(VALU_DEP_1) | instskip(NEXT) | instid1(VALU_DEP_3)
	v_sub_co_ci_u32_e64 v19, null, v38, v37, vcc_lo
	v_subrev_co_ci_u32_e64 v3, null, s85, v3, vcc_lo
	s_delay_alu instid0(VALU_DEP_3) | instskip(SKIP_1) | instid1(VALU_DEP_3)
	v_sub_co_u32 v17, s0, v15, s84
	v_add_nc_u64_e32 v[34:35], 2, v[12:13]
	v_subrev_co_ci_u32_e64 v3, null, 0, v3, s0
	s_delay_alu instid0(VALU_DEP_3) | instskip(SKIP_2) | instid1(VALU_DEP_4)
	v_cmp_le_u32_e32 vcc_lo, s84, v17
	v_add_nc_u64_e32 v[36:37], 1, v[12:13]
	v_cndmask_b32_e64 v17, 0, -1, vcc_lo
	v_cmp_le_u32_e32 vcc_lo, s85, v3
	v_cndmask_b32_e64 v21, 0, -1, vcc_lo
	v_cmp_le_u32_e32 vcc_lo, s84, v15
	;; [unrolled: 2-line block ×3, first 2 shown]
	v_cndmask_b32_e64 v38, 0, -1, vcc_lo
	v_cmp_eq_u32_e32 vcc_lo, s85, v3
	v_cndmask_b32_e32 v3, v21, v17, vcc_lo
	v_cmp_eq_u32_e32 vcc_lo, s85, v19
	s_delay_alu instid0(VALU_DEP_4) | instskip(NEXT) | instid1(VALU_DEP_3)
	v_cndmask_b32_e32 v15, v38, v15, vcc_lo
	v_cmp_ne_u32_e32 vcc_lo, 0, v3
	s_delay_alu instid0(VALU_DEP_2) | instskip(SKIP_1) | instid1(VALU_DEP_1)
	v_cmp_ne_u32_e64 s0, 0, v15
	v_dual_cndmask_b32 v3, v37, v35, vcc_lo :: v_dual_cndmask_b32 v15, v36, v34, vcc_lo
	v_dual_cndmask_b32 v3, v13, v3, s0 :: v_dual_bitop2_b32 v34, s82, v20 bitop3:0x14
	s_delay_alu instid0(VALU_DEP_1) | instskip(NEXT) | instid1(VALU_DEP_2)
	v_dual_mov_b32 v35, v34 :: v_dual_cndmask_b32 v12, v12, v15, s0
                                        ; implicit-def: $vgpr15
	v_xor_b32_e32 v13, v3, v34
	s_delay_alu instid0(VALU_DEP_2) | instskip(NEXT) | instid1(VALU_DEP_1)
	v_xor_b32_e32 v12, v12, v34
	v_sub_nc_u64_e32 v[12:13], v[12:13], v[34:35]
.LBB31_21:                              ;   in Loop: Header=BB31_3 Depth=1
	s_and_not1_saveexec_b32 s0, s88
	s_cbranch_execz .LBB31_23
; %bb.22:                               ;   in Loop: Header=BB31_3 Depth=1
	v_rcp_iflag_f32_e32 v3, v15
	s_sub_co_i32 s2, 0, s40
	v_nop
	s_delay_alu instid0(TRANS32_DEP_1) | instskip(NEXT) | instid1(VALU_DEP_1)
	v_mul_f32_e32 v3, 0x4f7ffffe, v3
	v_cvt_u32_f32_e32 v3, v3
	s_delay_alu instid0(VALU_DEP_1) | instskip(NEXT) | instid1(VALU_DEP_1)
	v_mul_lo_u32 v12, s2, v3
	v_mul_hi_u32 v12, v3, v12
	s_delay_alu instid0(VALU_DEP_1) | instskip(NEXT) | instid1(VALU_DEP_1)
	v_add_nc_u32_e32 v3, v3, v12
	v_mul_hi_u32 v3, v28, v3
	s_delay_alu instid0(VALU_DEP_1) | instskip(NEXT) | instid1(VALU_DEP_1)
	v_mul_lo_u32 v12, v3, s40
	v_dual_add_nc_u32 v13, 1, v3 :: v_dual_sub_nc_u32 v12, v28, v12
	s_delay_alu instid0(VALU_DEP_1) | instskip(SKIP_1) | instid1(VALU_DEP_2)
	v_subrev_nc_u32_e32 v15, s40, v12
	v_cmp_le_u32_e32 vcc_lo, s40, v12
	v_dual_cndmask_b32 v12, v12, v15 :: v_dual_cndmask_b32 v3, v3, v13
	s_delay_alu instid0(VALU_DEP_1) | instskip(NEXT) | instid1(VALU_DEP_2)
	v_cmp_le_u32_e32 vcc_lo, s40, v12
	v_add_nc_u32_e32 v13, 1, v3
	s_delay_alu instid0(VALU_DEP_1)
	v_dual_cndmask_b32 v12, v3, v13 :: v_dual_mov_b32 v13, v2
.LBB31_23:                              ;   in Loop: Header=BB31_3 Depth=1
	s_or_b32 exec_lo, exec_lo, s0
	s_delay_alu instid0(VALU_DEP_1) | instskip(SKIP_3) | instid1(VALU_DEP_3)
	v_mul_u64_e32 v[34:35], s[40:41], v[12:13]
	v_mul_u64_e32 v[12:13], s[12:13], v[12:13]
	v_or_b32_e32 v3, s49, v23
	s_mov_b32 s0, exec_lo
	v_sub_nc_u64_e32 v[34:35], v[10:11], v[34:35]
	s_delay_alu instid0(VALU_DEP_3) | instskip(NEXT) | instid1(VALU_DEP_2)
	v_lshl_add_u64 v[12:13], v[12:13], 1, s[34:35]
	v_add_nc_u64_e32 v[34:35], v[0:1], v[34:35]
	s_delay_alu instid0(VALU_DEP_1) | instskip(NEXT) | instid1(VALU_DEP_1)
	v_mul_u64_e32 v[34:35], s[14:15], v[34:35]
	v_lshl_add_u64 v[12:13], v[34:35], 1, v[12:13]
	global_load_u16 v34, v[12:13], off
                                        ; implicit-def: $vgpr12_vgpr13
	s_wait_xcnt 0x0
	v_cmpx_ne_u64_e32 0, v[2:3]
	s_xor_b32 s88, exec_lo, s0
	s_cbranch_execz .LBB31_25
; %bb.24:                               ;   in Loop: Header=BB31_3 Depth=1
	s_ashr_i32 s82, s49, 31
	v_mov_b32_e32 v15, v14
	s_mov_b32 s83, s82
	v_mov_b32_e32 v39, v2
	s_add_nc_u64 s[84:85], s[48:49], s[82:83]
	v_mov_b32_e32 v43, v2
	s_xor_b64 s[84:85], s[84:85], s[82:83]
	v_add_nc_u64_e32 v[12:13], v[22:23], v[14:15]
	s_cvt_f32_u32 s0, s84
	s_cvt_f32_u32 s2, s85
	s_sub_nc_u64 s[92:93], 0, s[84:85]
	v_mov_b32_e32 v23, v2
	s_delay_alu instid0(SALU_CYCLE_1) | instskip(NEXT) | instid1(VALU_DEP_2)
	s_fmamk_f32 s0, s2, 0x4f800000, s0
	v_xor_b32_e32 v22, v12, v14
	v_xor_b32_e32 v38, v13, v14
	;; [unrolled: 1-line block ×3, first 2 shown]
	v_s_rcp_f32 s0, s0
	s_delay_alu instid0(TRANS32_DEP_1) | instskip(NEXT) | instid1(SALU_CYCLE_3)
	s_mul_f32 s0, s0, 0x5f7ffffc
	s_mul_f32 s2, s0, 0x2f800000
	s_delay_alu instid0(SALU_CYCLE_3) | instskip(NEXT) | instid1(SALU_CYCLE_3)
	s_trunc_f32 s2, s2
	s_fmamk_f32 s0, s2, 0xcf800000, s0
	s_cvt_u32_f32 s91, s2
	s_delay_alu instid0(SALU_CYCLE_2) | instskip(NEXT) | instid1(SALU_CYCLE_3)
	s_cvt_u32_f32 s90, s0
	s_mul_u64 s[94:95], s[92:93], s[90:91]
	s_delay_alu instid0(SALU_CYCLE_1)
	s_mul_hi_u32 s97, s90, s95
	s_mul_i32 s96, s90, s95
	s_mul_hi_u32 s2, s90, s94
	s_mul_i32 s83, s91, s94
	s_add_nc_u64 s[96:97], s[2:3], s[96:97]
	s_mul_hi_u32 s0, s91, s94
	s_mul_hi_u32 s89, s91, s95
	s_add_co_u32 s2, s96, s83
	s_add_co_ci_u32 s2, s97, s0
	s_mul_i32 s94, s91, s95
	s_add_co_ci_u32 s95, s89, 0
	s_delay_alu instid0(SALU_CYCLE_1) | instskip(NEXT) | instid1(SALU_CYCLE_1)
	s_add_nc_u64 s[94:95], s[2:3], s[94:95]
	s_add_co_u32 s90, s90, s94
	s_cselect_b32 s0, -1, 0
	s_delay_alu instid0(SALU_CYCLE_1) | instskip(SKIP_1) | instid1(SALU_CYCLE_1)
	s_cmp_lg_u32 s0, 0
	s_add_co_ci_u32 s91, s91, s95
	s_mul_u64 s[92:93], s[92:93], s[90:91]
	s_delay_alu instid0(SALU_CYCLE_1)
	s_mul_hi_u32 s95, s90, s93
	s_mul_i32 s94, s90, s93
	s_mul_hi_u32 s2, s90, s92
	s_mul_i32 s83, s91, s92
	s_add_nc_u64 s[94:95], s[2:3], s[94:95]
	s_mul_hi_u32 s0, s91, s92
	s_mul_hi_u32 s89, s91, s93
	s_add_co_u32 s2, s94, s83
	s_add_co_ci_u32 s2, s95, s0
	s_mul_i32 s92, s91, s93
	s_add_co_ci_u32 s93, s89, 0
	s_delay_alu instid0(SALU_CYCLE_1) | instskip(NEXT) | instid1(SALU_CYCLE_1)
	s_add_nc_u64 s[92:93], s[2:3], s[92:93]
	s_add_co_u32 s0, s90, s92
	s_cselect_b32 s2, -1, 0
	v_nop
	v_mul_hi_u32 v42, v22, s0
	s_cmp_lg_u32 s2, 0
	s_add_co_ci_u32 s2, s91, s93
	s_and_b64 s[90:91], s[0:1], s[76:77]
	v_mul_u64_e32 v[36:37], s[2:3], v[22:23]
	v_mul_u64_e32 v[12:13], s[90:91], v[38:39]
	;; [unrolled: 1-line block ×3, first 2 shown]
	s_delay_alu instid0(VALU_DEP_3) | instskip(NEXT) | instid1(VALU_DEP_1)
	v_add_nc_u64_e32 v[36:37], v[42:43], v[36:37]
	v_add_co_u32 v3, vcc_lo, v36, v12
	s_delay_alu instid0(VALU_DEP_2) | instskip(NEXT) | instid1(VALU_DEP_4)
	v_add_co_ci_u32_e32 v42, vcc_lo, v37, v13, vcc_lo
	v_add_co_ci_u32_e32 v41, vcc_lo, 0, v41, vcc_lo
	s_delay_alu instid0(VALU_DEP_1) | instskip(NEXT) | instid1(VALU_DEP_1)
	v_add_nc_u64_e32 v[12:13], v[42:43], v[40:41]
	v_mul_u64_e32 v[36:37], s[84:85], v[12:13]
	s_delay_alu instid0(VALU_DEP_1) | instskip(NEXT) | instid1(VALU_DEP_2)
	v_sub_nc_u32_e32 v3, v38, v37
	v_sub_co_u32 v15, vcc_lo, v22, v36
	s_delay_alu instid0(VALU_DEP_1) | instskip(NEXT) | instid1(VALU_DEP_3)
	v_sub_co_ci_u32_e64 v19, null, v38, v37, vcc_lo
	v_subrev_co_ci_u32_e64 v3, null, s85, v3, vcc_lo
	s_delay_alu instid0(VALU_DEP_3) | instskip(SKIP_1) | instid1(VALU_DEP_3)
	v_sub_co_u32 v17, s0, v15, s84
	v_add_nc_u64_e32 v[22:23], 2, v[12:13]
	v_subrev_co_ci_u32_e64 v3, null, 0, v3, s0
	s_delay_alu instid0(VALU_DEP_3) | instskip(SKIP_2) | instid1(VALU_DEP_4)
	v_cmp_le_u32_e32 vcc_lo, s84, v17
	v_add_nc_u64_e32 v[36:37], 1, v[12:13]
	v_cndmask_b32_e64 v17, 0, -1, vcc_lo
	v_cmp_le_u32_e32 vcc_lo, s85, v3
	v_cndmask_b32_e64 v21, 0, -1, vcc_lo
	v_cmp_le_u32_e32 vcc_lo, s84, v15
	;; [unrolled: 2-line block ×3, first 2 shown]
	v_cndmask_b32_e64 v35, 0, -1, vcc_lo
	v_cmp_eq_u32_e32 vcc_lo, s85, v3
	v_cndmask_b32_e32 v3, v21, v17, vcc_lo
	v_cmp_eq_u32_e32 vcc_lo, s85, v19
	s_delay_alu instid0(VALU_DEP_4) | instskip(NEXT) | instid1(VALU_DEP_3)
	v_cndmask_b32_e32 v15, v35, v15, vcc_lo
	v_cmp_ne_u32_e32 vcc_lo, 0, v3
	s_delay_alu instid0(VALU_DEP_2) | instskip(SKIP_1) | instid1(VALU_DEP_1)
	v_cmp_ne_u32_e64 s0, 0, v15
	v_dual_cndmask_b32 v3, v37, v23, vcc_lo :: v_dual_cndmask_b32 v15, v36, v22, vcc_lo
                                        ; implicit-def: $vgpr22_vgpr23
	v_cndmask_b32_e64 v3, v13, v3, s0
	s_delay_alu instid0(VALU_DEP_2) | instskip(NEXT) | instid1(VALU_DEP_2)
	v_dual_cndmask_b32 v12, v12, v15, s0 :: v_dual_mov_b32 v15, v14
	v_xor_b32_e32 v13, v3, v14
	s_delay_alu instid0(VALU_DEP_2) | instskip(NEXT) | instid1(VALU_DEP_1)
	v_xor_b32_e32 v12, v12, v14
	v_sub_nc_u64_e32 v[12:13], v[12:13], v[14:15]
.LBB31_25:                              ;   in Loop: Header=BB31_3 Depth=1
	s_or_saveexec_b32 s0, s88
	v_cvt_f32_u32_e32 v21, s48
	s_xor_b32 exec_lo, exec_lo, s0
	s_cbranch_execz .LBB31_27
; %bb.26:                               ;   in Loop: Header=BB31_3 Depth=1
	s_delay_alu instid0(VALU_DEP_1) | instskip(SKIP_2) | instid1(TRANS32_DEP_1)
	v_rcp_iflag_f32_e32 v3, v21
	s_sub_co_i32 s2, 0, s48
	v_nop
	v_mul_f32_e32 v3, 0x4f7ffffe, v3
	s_delay_alu instid0(VALU_DEP_1) | instskip(NEXT) | instid1(VALU_DEP_1)
	v_cvt_u32_f32_e32 v3, v3
	v_mul_lo_u32 v12, s2, v3
	s_delay_alu instid0(VALU_DEP_1) | instskip(NEXT) | instid1(VALU_DEP_1)
	v_mul_hi_u32 v12, v3, v12
	v_add_nc_u32_e32 v3, v3, v12
	s_delay_alu instid0(VALU_DEP_1) | instskip(NEXT) | instid1(VALU_DEP_1)
	v_mul_hi_u32 v3, v22, v3
	v_mul_lo_u32 v12, v3, s48
	s_delay_alu instid0(VALU_DEP_1) | instskip(NEXT) | instid1(VALU_DEP_1)
	v_dual_add_nc_u32 v13, 1, v3 :: v_dual_sub_nc_u32 v12, v22, v12
	v_subrev_nc_u32_e32 v14, s48, v12
	v_cmp_le_u32_e32 vcc_lo, s48, v12
	s_delay_alu instid0(VALU_DEP_2) | instskip(NEXT) | instid1(VALU_DEP_1)
	v_dual_cndmask_b32 v12, v12, v14 :: v_dual_cndmask_b32 v3, v3, v13
	v_cmp_le_u32_e32 vcc_lo, s48, v12
	s_delay_alu instid0(VALU_DEP_2) | instskip(NEXT) | instid1(VALU_DEP_1)
	v_add_nc_u32_e32 v13, 1, v3
	v_dual_cndmask_b32 v12, v3, v13 :: v_dual_mov_b32 v13, v2
.LBB31_27:                              ;   in Loop: Header=BB31_3 Depth=1
	s_or_b32 exec_lo, exec_lo, s0
	v_or_b32_e32 v3, s49, v25
                                        ; implicit-def: $vgpr14_vgpr15
	s_mov_b32 s0, exec_lo
	s_delay_alu instid0(VALU_DEP_1)
	v_cmpx_ne_u64_e32 0, v[2:3]
	s_xor_b32 s88, exec_lo, s0
	s_cbranch_execz .LBB31_29
; %bb.28:                               ;   in Loop: Header=BB31_3 Depth=1
	s_ashr_i32 s82, s49, 31
	v_dual_mov_b32 v17, v16 :: v_dual_mov_b32 v23, v2
	s_mov_b32 s83, s82
	v_mov_b32_e32 v41, v2
	s_add_nc_u64 s[84:85], s[48:49], s[82:83]
	s_delay_alu instid0(VALU_DEP_2)
	v_add_nc_u64_e32 v[14:15], v[24:25], v[16:17]
	s_xor_b64 s[84:85], s[84:85], s[82:83]
	v_mov_b32_e32 v37, v2
	s_cvt_f32_u32 s0, s84
	s_cvt_f32_u32 s2, s85
	s_sub_nc_u64 s[92:93], 0, s[84:85]
	s_delay_alu instid0(VALU_DEP_2) | instskip(NEXT) | instid1(SALU_CYCLE_1)
	v_xor_b32_e32 v36, v15, v16
	s_fmamk_f32 s0, s2, 0x4f800000, s0
	v_xor_b32_e32 v22, v14, v16
	v_xor_b32_e32 v16, s82, v16
	s_delay_alu instid0(SALU_CYCLE_1) | instskip(NEXT) | instid1(TRANS32_DEP_1)
	v_s_rcp_f32 s0, s0
	s_mul_f32 s0, s0, 0x5f7ffffc
	s_delay_alu instid0(SALU_CYCLE_3) | instskip(NEXT) | instid1(SALU_CYCLE_3)
	s_mul_f32 s2, s0, 0x2f800000
	s_trunc_f32 s2, s2
	s_delay_alu instid0(SALU_CYCLE_3) | instskip(SKIP_1) | instid1(SALU_CYCLE_2)
	s_fmamk_f32 s0, s2, 0xcf800000, s0
	s_cvt_u32_f32 s91, s2
	s_cvt_u32_f32 s90, s0
	s_delay_alu instid0(SALU_CYCLE_3) | instskip(NEXT) | instid1(SALU_CYCLE_1)
	s_mul_u64 s[94:95], s[92:93], s[90:91]
	s_mul_hi_u32 s97, s90, s95
	s_mul_i32 s96, s90, s95
	s_mul_hi_u32 s2, s90, s94
	s_mul_i32 s83, s91, s94
	s_add_nc_u64 s[96:97], s[2:3], s[96:97]
	s_mul_hi_u32 s0, s91, s94
	s_mul_hi_u32 s89, s91, s95
	s_add_co_u32 s2, s96, s83
	s_add_co_ci_u32 s2, s97, s0
	s_mul_i32 s94, s91, s95
	s_add_co_ci_u32 s95, s89, 0
	s_delay_alu instid0(SALU_CYCLE_1) | instskip(NEXT) | instid1(SALU_CYCLE_1)
	s_add_nc_u64 s[94:95], s[2:3], s[94:95]
	s_add_co_u32 s90, s90, s94
	s_cselect_b32 s0, -1, 0
	s_delay_alu instid0(SALU_CYCLE_1) | instskip(SKIP_1) | instid1(SALU_CYCLE_1)
	s_cmp_lg_u32 s0, 0
	s_add_co_ci_u32 s91, s91, s95
	s_mul_u64 s[92:93], s[92:93], s[90:91]
	s_delay_alu instid0(SALU_CYCLE_1)
	s_mul_hi_u32 s95, s90, s93
	s_mul_i32 s94, s90, s93
	s_mul_hi_u32 s2, s90, s92
	s_mul_i32 s83, s91, s92
	s_add_nc_u64 s[94:95], s[2:3], s[94:95]
	s_mul_hi_u32 s0, s91, s92
	s_mul_hi_u32 s89, s91, s93
	s_add_co_u32 s2, s94, s83
	s_add_co_ci_u32 s2, s95, s0
	s_mul_i32 s92, s91, s93
	s_add_co_ci_u32 s93, s89, 0
	s_delay_alu instid0(SALU_CYCLE_1) | instskip(NEXT) | instid1(SALU_CYCLE_1)
	s_add_nc_u64 s[92:93], s[2:3], s[92:93]
	s_add_co_u32 s0, s90, s92
	s_cselect_b32 s2, -1, 0
	v_nop
	v_mul_hi_u32 v40, v22, s0
	s_cmp_lg_u32 s2, 0
	s_add_co_ci_u32 s2, s91, s93
	s_and_b64 s[90:91], s[0:1], s[76:77]
	v_mul_u64_e32 v[24:25], s[2:3], v[22:23]
	v_mul_u64_e32 v[14:15], s[90:91], v[36:37]
	;; [unrolled: 1-line block ×3, first 2 shown]
	s_delay_alu instid0(VALU_DEP_3) | instskip(NEXT) | instid1(VALU_DEP_1)
	v_add_nc_u64_e32 v[24:25], v[40:41], v[24:25]
	v_add_co_u32 v3, vcc_lo, v24, v14
	s_delay_alu instid0(VALU_DEP_2) | instskip(NEXT) | instid1(VALU_DEP_4)
	v_add_co_ci_u32_e32 v40, vcc_lo, v25, v15, vcc_lo
	v_add_co_ci_u32_e32 v39, vcc_lo, 0, v39, vcc_lo
	s_delay_alu instid0(VALU_DEP_1) | instskip(NEXT) | instid1(VALU_DEP_1)
	v_add_nc_u64_e32 v[14:15], v[40:41], v[38:39]
	v_mul_u64_e32 v[24:25], s[84:85], v[14:15]
	s_delay_alu instid0(VALU_DEP_1) | instskip(NEXT) | instid1(VALU_DEP_2)
	v_sub_nc_u32_e32 v3, v36, v25
	v_sub_co_u32 v17, vcc_lo, v22, v24
	s_delay_alu instid0(VALU_DEP_1) | instskip(NEXT) | instid1(VALU_DEP_3)
	v_sub_co_ci_u32_e64 v35, null, v36, v25, vcc_lo
	v_subrev_co_ci_u32_e64 v3, null, s85, v3, vcc_lo
	s_delay_alu instid0(VALU_DEP_3) | instskip(SKIP_1) | instid1(VALU_DEP_3)
	v_sub_co_u32 v19, s0, v17, s84
	v_add_nc_u64_e32 v[24:25], 1, v[14:15]
	v_subrev_co_ci_u32_e64 v3, null, 0, v3, s0
	s_delay_alu instid0(VALU_DEP_3) | instskip(SKIP_1) | instid1(VALU_DEP_3)
	v_cmp_le_u32_e32 vcc_lo, s84, v19
	v_cndmask_b32_e64 v19, 0, -1, vcc_lo
	v_cmp_le_u32_e32 vcc_lo, s85, v3
	v_cndmask_b32_e64 v22, 0, -1, vcc_lo
	;; [unrolled: 2-line block ×4, first 2 shown]
	v_cmp_eq_u32_e32 vcc_lo, s85, v3
	v_cndmask_b32_e32 v3, v22, v19, vcc_lo
	v_cmp_eq_u32_e32 vcc_lo, s85, v35
	v_add_nc_u64_e32 v[22:23], 2, v[14:15]
	v_cndmask_b32_e32 v17, v36, v17, vcc_lo
	s_delay_alu instid0(VALU_DEP_4) | instskip(NEXT) | instid1(VALU_DEP_2)
	v_cmp_ne_u32_e32 vcc_lo, 0, v3
	v_cmp_ne_u32_e64 s0, 0, v17
	s_delay_alu instid0(VALU_DEP_4) | instskip(NEXT) | instid1(VALU_DEP_1)
	v_dual_cndmask_b32 v3, v25, v23, vcc_lo :: v_dual_cndmask_b32 v17, v24, v22, vcc_lo
                                        ; implicit-def: $vgpr24_vgpr25
	v_dual_cndmask_b32 v3, v15, v3, s0 :: v_dual_cndmask_b32 v14, v14, v17, s0
	s_delay_alu instid0(VALU_DEP_1) | instskip(NEXT) | instid1(VALU_DEP_2)
	v_dual_mov_b32 v17, v16 :: v_dual_bitop2_b32 v15, v3, v16 bitop3:0x14
	v_xor_b32_e32 v14, v14, v16
	s_delay_alu instid0(VALU_DEP_1)
	v_sub_nc_u64_e32 v[14:15], v[14:15], v[16:17]
.LBB31_29:                              ;   in Loop: Header=BB31_3 Depth=1
	s_and_not1_saveexec_b32 s0, s88
	s_cbranch_execz .LBB31_31
; %bb.30:                               ;   in Loop: Header=BB31_3 Depth=1
	v_rcp_iflag_f32_e32 v3, v21
	s_sub_co_i32 s2, 0, s48
	v_nop
	s_delay_alu instid0(TRANS32_DEP_1) | instskip(NEXT) | instid1(VALU_DEP_1)
	v_mul_f32_e32 v3, 0x4f7ffffe, v3
	v_cvt_u32_f32_e32 v3, v3
	s_delay_alu instid0(VALU_DEP_1) | instskip(NEXT) | instid1(VALU_DEP_1)
	v_mul_lo_u32 v14, s2, v3
	v_mul_hi_u32 v14, v3, v14
	s_delay_alu instid0(VALU_DEP_1) | instskip(NEXT) | instid1(VALU_DEP_1)
	v_add_nc_u32_e32 v3, v3, v14
	v_mul_hi_u32 v3, v24, v3
	s_delay_alu instid0(VALU_DEP_1) | instskip(NEXT) | instid1(VALU_DEP_1)
	v_mul_lo_u32 v14, v3, s48
	v_dual_add_nc_u32 v15, 1, v3 :: v_dual_sub_nc_u32 v14, v24, v14
	s_delay_alu instid0(VALU_DEP_1) | instskip(SKIP_1) | instid1(VALU_DEP_2)
	v_subrev_nc_u32_e32 v16, s48, v14
	v_cmp_le_u32_e32 vcc_lo, s48, v14
	v_dual_cndmask_b32 v14, v14, v16 :: v_dual_cndmask_b32 v3, v3, v15
	s_delay_alu instid0(VALU_DEP_1) | instskip(NEXT) | instid1(VALU_DEP_2)
	v_cmp_le_u32_e32 vcc_lo, s48, v14
	v_add_nc_u32_e32 v15, 1, v3
	s_delay_alu instid0(VALU_DEP_1)
	v_dual_cndmask_b32 v14, v3, v15 :: v_dual_mov_b32 v15, v2
.LBB31_31:                              ;   in Loop: Header=BB31_3 Depth=1
	s_or_b32 exec_lo, exec_lo, s0
	v_or_b32_e32 v3, s49, v27
                                        ; implicit-def: $vgpr16_vgpr17
	s_mov_b32 s0, exec_lo
	s_delay_alu instid0(VALU_DEP_1)
	v_cmpx_ne_u64_e32 0, v[2:3]
	s_xor_b32 s88, exec_lo, s0
	s_cbranch_execz .LBB31_33
; %bb.32:                               ;   in Loop: Header=BB31_3 Depth=1
	s_ashr_i32 s82, s49, 31
	v_dual_mov_b32 v19, v18 :: v_dual_mov_b32 v23, v2
	s_mov_b32 s83, s82
	v_mov_b32_e32 v39, v2
	s_add_nc_u64 s[84:85], s[48:49], s[82:83]
	s_delay_alu instid0(VALU_DEP_2)
	v_add_nc_u64_e32 v[16:17], v[26:27], v[18:19]
	s_xor_b64 s[84:85], s[84:85], s[82:83]
	v_mov_b32_e32 v27, v2
	s_cvt_f32_u32 s0, s84
	s_cvt_f32_u32 s2, s85
	s_sub_nc_u64 s[92:93], 0, s[84:85]
	s_delay_alu instid0(VALU_DEP_2) | instskip(NEXT) | instid1(SALU_CYCLE_1)
	v_xor_b32_e32 v22, v16, v18
	s_fmamk_f32 s0, s2, 0x4f800000, s0
	v_xor_b32_e32 v26, v17, v18
	v_xor_b32_e32 v18, s82, v18
	s_delay_alu instid0(SALU_CYCLE_1) | instskip(NEXT) | instid1(TRANS32_DEP_1)
	v_s_rcp_f32 s0, s0
	s_mul_f32 s0, s0, 0x5f7ffffc
	s_delay_alu instid0(SALU_CYCLE_3) | instskip(NEXT) | instid1(SALU_CYCLE_3)
	s_mul_f32 s2, s0, 0x2f800000
	s_trunc_f32 s2, s2
	s_delay_alu instid0(SALU_CYCLE_3) | instskip(SKIP_1) | instid1(SALU_CYCLE_2)
	s_fmamk_f32 s0, s2, 0xcf800000, s0
	s_cvt_u32_f32 s91, s2
	s_cvt_u32_f32 s90, s0
	s_delay_alu instid0(SALU_CYCLE_3) | instskip(NEXT) | instid1(SALU_CYCLE_1)
	s_mul_u64 s[94:95], s[92:93], s[90:91]
	s_mul_hi_u32 s97, s90, s95
	s_mul_i32 s96, s90, s95
	s_mul_hi_u32 s2, s90, s94
	s_mul_i32 s83, s91, s94
	s_add_nc_u64 s[96:97], s[2:3], s[96:97]
	s_mul_hi_u32 s0, s91, s94
	s_mul_hi_u32 s89, s91, s95
	s_add_co_u32 s2, s96, s83
	s_add_co_ci_u32 s2, s97, s0
	s_mul_i32 s94, s91, s95
	s_add_co_ci_u32 s95, s89, 0
	s_delay_alu instid0(SALU_CYCLE_1) | instskip(NEXT) | instid1(SALU_CYCLE_1)
	s_add_nc_u64 s[94:95], s[2:3], s[94:95]
	s_add_co_u32 s90, s90, s94
	s_cselect_b32 s0, -1, 0
	s_delay_alu instid0(SALU_CYCLE_1) | instskip(SKIP_1) | instid1(SALU_CYCLE_1)
	s_cmp_lg_u32 s0, 0
	s_add_co_ci_u32 s91, s91, s95
	s_mul_u64 s[92:93], s[92:93], s[90:91]
	s_delay_alu instid0(SALU_CYCLE_1)
	s_mul_hi_u32 s95, s90, s93
	s_mul_i32 s94, s90, s93
	s_mul_hi_u32 s2, s90, s92
	s_mul_i32 s83, s91, s92
	s_add_nc_u64 s[94:95], s[2:3], s[94:95]
	s_mul_hi_u32 s0, s91, s92
	s_mul_hi_u32 s89, s91, s93
	s_add_co_u32 s2, s94, s83
	s_add_co_ci_u32 s2, s95, s0
	s_mul_i32 s92, s91, s93
	s_add_co_ci_u32 s93, s89, 0
	s_delay_alu instid0(SALU_CYCLE_1) | instskip(NEXT) | instid1(SALU_CYCLE_1)
	s_add_nc_u64 s[92:93], s[2:3], s[92:93]
	s_add_co_u32 s0, s90, s92
	s_cselect_b32 s2, -1, 0
	v_nop
	v_mul_hi_u32 v38, v22, s0
	s_cmp_lg_u32 s2, 0
	s_add_co_ci_u32 s2, s91, s93
	s_and_b64 s[90:91], s[0:1], s[76:77]
	v_mul_u64_e32 v[24:25], s[2:3], v[22:23]
	v_mul_u64_e32 v[16:17], s[90:91], v[26:27]
	;; [unrolled: 1-line block ×3, first 2 shown]
	s_delay_alu instid0(VALU_DEP_3) | instskip(NEXT) | instid1(VALU_DEP_1)
	v_add_nc_u64_e32 v[24:25], v[38:39], v[24:25]
	v_add_co_u32 v3, vcc_lo, v24, v16
	s_delay_alu instid0(VALU_DEP_2) | instskip(NEXT) | instid1(VALU_DEP_4)
	v_add_co_ci_u32_e32 v38, vcc_lo, v25, v17, vcc_lo
	v_add_co_ci_u32_e32 v37, vcc_lo, 0, v37, vcc_lo
	s_delay_alu instid0(VALU_DEP_1) | instskip(NEXT) | instid1(VALU_DEP_1)
	v_add_nc_u64_e32 v[16:17], v[38:39], v[36:37]
	v_mul_u64_e32 v[24:25], s[84:85], v[16:17]
	s_delay_alu instid0(VALU_DEP_1) | instskip(NEXT) | instid1(VALU_DEP_2)
	v_sub_nc_u32_e32 v3, v26, v25
	v_sub_co_u32 v19, vcc_lo, v22, v24
	s_delay_alu instid0(VALU_DEP_1) | instskip(NEXT) | instid1(VALU_DEP_3)
	v_sub_co_ci_u32_e64 v26, null, v26, v25, vcc_lo
	v_subrev_co_ci_u32_e64 v3, null, s85, v3, vcc_lo
	s_delay_alu instid0(VALU_DEP_3) | instskip(SKIP_1) | instid1(VALU_DEP_3)
	v_sub_co_u32 v22, s0, v19, s84
	v_add_nc_u64_e32 v[24:25], 1, v[16:17]
	v_subrev_co_ci_u32_e64 v3, null, 0, v3, s0
	s_delay_alu instid0(VALU_DEP_3) | instskip(SKIP_1) | instid1(VALU_DEP_3)
	v_cmp_le_u32_e32 vcc_lo, s84, v22
	v_cndmask_b32_e64 v22, 0, -1, vcc_lo
	v_cmp_le_u32_e32 vcc_lo, s85, v3
	v_cndmask_b32_e64 v23, 0, -1, vcc_lo
	;; [unrolled: 2-line block ×4, first 2 shown]
	v_cmp_eq_u32_e32 vcc_lo, s85, v3
	v_cndmask_b32_e32 v3, v23, v22, vcc_lo
	v_cmp_eq_u32_e32 vcc_lo, s85, v26
	v_add_nc_u64_e32 v[22:23], 2, v[16:17]
	v_cndmask_b32_e32 v19, v27, v19, vcc_lo
	s_delay_alu instid0(VALU_DEP_4) | instskip(NEXT) | instid1(VALU_DEP_2)
	v_cmp_ne_u32_e32 vcc_lo, 0, v3
                                        ; implicit-def: $vgpr26_vgpr27
	v_cmp_ne_u32_e64 s0, 0, v19
	s_delay_alu instid0(VALU_DEP_4) | instskip(NEXT) | instid1(VALU_DEP_1)
	v_dual_cndmask_b32 v3, v25, v23, vcc_lo :: v_dual_cndmask_b32 v19, v24, v22, vcc_lo
	v_cndmask_b32_e64 v3, v17, v3, s0
	s_delay_alu instid0(VALU_DEP_2) | instskip(NEXT) | instid1(VALU_DEP_2)
	v_dual_cndmask_b32 v16, v16, v19, s0 :: v_dual_mov_b32 v19, v18
	v_xor_b32_e32 v17, v3, v18
	s_delay_alu instid0(VALU_DEP_2) | instskip(NEXT) | instid1(VALU_DEP_1)
	v_xor_b32_e32 v16, v16, v18
	v_sub_nc_u64_e32 v[16:17], v[16:17], v[18:19]
.LBB31_33:                              ;   in Loop: Header=BB31_3 Depth=1
	s_and_not1_saveexec_b32 s0, s88
	s_cbranch_execz .LBB31_35
; %bb.34:                               ;   in Loop: Header=BB31_3 Depth=1
	v_rcp_iflag_f32_e32 v3, v21
	s_sub_co_i32 s2, 0, s48
	v_nop
	s_delay_alu instid0(TRANS32_DEP_1) | instskip(NEXT) | instid1(VALU_DEP_1)
	v_mul_f32_e32 v3, 0x4f7ffffe, v3
	v_cvt_u32_f32_e32 v3, v3
	s_delay_alu instid0(VALU_DEP_1) | instskip(NEXT) | instid1(VALU_DEP_1)
	v_mul_lo_u32 v16, s2, v3
	v_mul_hi_u32 v16, v3, v16
	s_delay_alu instid0(VALU_DEP_1) | instskip(NEXT) | instid1(VALU_DEP_1)
	v_add_nc_u32_e32 v3, v3, v16
	v_mul_hi_u32 v3, v26, v3
	s_delay_alu instid0(VALU_DEP_1) | instskip(NEXT) | instid1(VALU_DEP_1)
	v_mul_lo_u32 v16, v3, s48
	v_dual_add_nc_u32 v17, 1, v3 :: v_dual_sub_nc_u32 v16, v26, v16
	s_delay_alu instid0(VALU_DEP_1) | instskip(SKIP_1) | instid1(VALU_DEP_2)
	v_subrev_nc_u32_e32 v18, s48, v16
	v_cmp_le_u32_e32 vcc_lo, s48, v16
	v_dual_cndmask_b32 v16, v16, v18 :: v_dual_cndmask_b32 v3, v3, v17
	s_delay_alu instid0(VALU_DEP_1) | instskip(NEXT) | instid1(VALU_DEP_2)
	v_cmp_le_u32_e32 vcc_lo, s48, v16
	v_add_nc_u32_e32 v17, 1, v3
	s_delay_alu instid0(VALU_DEP_1)
	v_dual_cndmask_b32 v16, v3, v17 :: v_dual_mov_b32 v17, v2
.LBB31_35:                              ;   in Loop: Header=BB31_3 Depth=1
	s_or_b32 exec_lo, exec_lo, s0
	v_or_b32_e32 v3, s49, v29
                                        ; implicit-def: $vgpr18_vgpr19
	s_mov_b32 s0, exec_lo
	s_delay_alu instid0(VALU_DEP_1)
	v_cmpx_ne_u64_e32 0, v[2:3]
	s_xor_b32 s88, exec_lo, s0
	s_cbranch_execz .LBB31_37
; %bb.36:                               ;   in Loop: Header=BB31_3 Depth=1
	s_ashr_i32 s82, s49, 31
	v_dual_mov_b32 v21, v20 :: v_dual_mov_b32 v23, v2
	s_mov_b32 s83, s82
	v_mov_b32_e32 v37, v2
	s_add_nc_u64 s[84:85], s[48:49], s[82:83]
	s_delay_alu instid0(VALU_DEP_2)
	v_add_nc_u64_e32 v[18:19], v[28:29], v[20:21]
	s_xor_b64 s[84:85], s[84:85], s[82:83]
	v_mov_b32_e32 v27, v2
	s_cvt_f32_u32 s0, s84
	s_cvt_f32_u32 s2, s85
	s_sub_nc_u64 s[92:93], 0, s[84:85]
	s_delay_alu instid0(VALU_DEP_2) | instskip(NEXT) | instid1(SALU_CYCLE_1)
	v_xor_b32_e32 v22, v18, v20
	s_fmamk_f32 s0, s2, 0x4f800000, s0
	v_xor_b32_e32 v26, v19, v20
	v_xor_b32_e32 v20, s82, v20
	s_delay_alu instid0(SALU_CYCLE_1) | instskip(NEXT) | instid1(TRANS32_DEP_1)
	v_s_rcp_f32 s0, s0
	s_mul_f32 s0, s0, 0x5f7ffffc
	s_delay_alu instid0(SALU_CYCLE_3) | instskip(NEXT) | instid1(SALU_CYCLE_3)
	s_mul_f32 s2, s0, 0x2f800000
	s_trunc_f32 s2, s2
	s_delay_alu instid0(SALU_CYCLE_3) | instskip(SKIP_1) | instid1(SALU_CYCLE_2)
	s_fmamk_f32 s0, s2, 0xcf800000, s0
	s_cvt_u32_f32 s91, s2
	s_cvt_u32_f32 s90, s0
	s_delay_alu instid0(SALU_CYCLE_3) | instskip(NEXT) | instid1(SALU_CYCLE_1)
	s_mul_u64 s[94:95], s[92:93], s[90:91]
	s_mul_hi_u32 s97, s90, s95
	s_mul_i32 s96, s90, s95
	s_mul_hi_u32 s2, s90, s94
	s_mul_i32 s83, s91, s94
	s_add_nc_u64 s[96:97], s[2:3], s[96:97]
	s_mul_hi_u32 s0, s91, s94
	s_mul_hi_u32 s89, s91, s95
	s_add_co_u32 s2, s96, s83
	s_add_co_ci_u32 s2, s97, s0
	s_mul_i32 s94, s91, s95
	s_add_co_ci_u32 s95, s89, 0
	s_delay_alu instid0(SALU_CYCLE_1) | instskip(NEXT) | instid1(SALU_CYCLE_1)
	s_add_nc_u64 s[94:95], s[2:3], s[94:95]
	s_add_co_u32 s90, s90, s94
	s_cselect_b32 s0, -1, 0
	s_delay_alu instid0(SALU_CYCLE_1) | instskip(SKIP_1) | instid1(SALU_CYCLE_1)
	s_cmp_lg_u32 s0, 0
	s_add_co_ci_u32 s91, s91, s95
	s_mul_u64 s[92:93], s[92:93], s[90:91]
	s_delay_alu instid0(SALU_CYCLE_1)
	s_mul_hi_u32 s95, s90, s93
	s_mul_i32 s94, s90, s93
	s_mul_hi_u32 s2, s90, s92
	s_mul_i32 s83, s91, s92
	s_add_nc_u64 s[94:95], s[2:3], s[94:95]
	s_mul_hi_u32 s0, s91, s92
	s_mul_hi_u32 s89, s91, s93
	s_add_co_u32 s2, s94, s83
	s_add_co_ci_u32 s2, s95, s0
	s_mul_i32 s92, s91, s93
	s_add_co_ci_u32 s93, s89, 0
	s_delay_alu instid0(SALU_CYCLE_1) | instskip(NEXT) | instid1(SALU_CYCLE_1)
	s_add_nc_u64 s[92:93], s[2:3], s[92:93]
	s_add_co_u32 s0, s90, s92
	s_cselect_b32 s2, -1, 0
	v_nop
	v_mul_hi_u32 v36, v22, s0
	s_cmp_lg_u32 s2, 0
	s_add_co_ci_u32 s2, s91, s93
	s_and_b64 s[90:91], s[0:1], s[76:77]
	v_mul_u64_e32 v[24:25], s[2:3], v[22:23]
	v_mul_u64_e32 v[18:19], s[90:91], v[26:27]
	;; [unrolled: 1-line block ×3, first 2 shown]
	s_delay_alu instid0(VALU_DEP_3) | instskip(NEXT) | instid1(VALU_DEP_1)
	v_add_nc_u64_e32 v[24:25], v[36:37], v[24:25]
	v_add_co_u32 v3, vcc_lo, v24, v18
	s_delay_alu instid0(VALU_DEP_2) | instskip(NEXT) | instid1(VALU_DEP_4)
	v_add_co_ci_u32_e32 v36, vcc_lo, v25, v19, vcc_lo
	v_add_co_ci_u32_e32 v29, vcc_lo, 0, v29, vcc_lo
	s_delay_alu instid0(VALU_DEP_1) | instskip(NEXT) | instid1(VALU_DEP_1)
	v_add_nc_u64_e32 v[18:19], v[36:37], v[28:29]
                                        ; implicit-def: $vgpr28_vgpr29
	v_mul_u64_e32 v[24:25], s[84:85], v[18:19]
	s_delay_alu instid0(VALU_DEP_1) | instskip(NEXT) | instid1(VALU_DEP_2)
	v_sub_nc_u32_e32 v3, v26, v25
	v_sub_co_u32 v21, vcc_lo, v22, v24
	s_delay_alu instid0(VALU_DEP_1) | instskip(NEXT) | instid1(VALU_DEP_3)
	v_sub_co_ci_u32_e64 v26, null, v26, v25, vcc_lo
	v_subrev_co_ci_u32_e64 v3, null, s85, v3, vcc_lo
	s_delay_alu instid0(VALU_DEP_3) | instskip(SKIP_1) | instid1(VALU_DEP_3)
	v_sub_co_u32 v22, s0, v21, s84
	v_add_nc_u64_e32 v[24:25], 1, v[18:19]
	v_subrev_co_ci_u32_e64 v3, null, 0, v3, s0
	s_delay_alu instid0(VALU_DEP_3) | instskip(SKIP_1) | instid1(VALU_DEP_3)
	v_cmp_le_u32_e32 vcc_lo, s84, v22
	v_cndmask_b32_e64 v22, 0, -1, vcc_lo
	v_cmp_le_u32_e32 vcc_lo, s85, v3
	v_cndmask_b32_e64 v23, 0, -1, vcc_lo
	;; [unrolled: 2-line block ×4, first 2 shown]
	v_cmp_eq_u32_e32 vcc_lo, s85, v3
	v_cndmask_b32_e32 v3, v23, v22, vcc_lo
	v_cmp_eq_u32_e32 vcc_lo, s85, v26
	v_add_nc_u64_e32 v[22:23], 2, v[18:19]
	v_cndmask_b32_e32 v21, v27, v21, vcc_lo
	s_delay_alu instid0(VALU_DEP_4) | instskip(NEXT) | instid1(VALU_DEP_2)
	v_cmp_ne_u32_e32 vcc_lo, 0, v3
	v_cmp_ne_u32_e64 s0, 0, v21
	s_delay_alu instid0(VALU_DEP_4) | instskip(NEXT) | instid1(VALU_DEP_1)
	v_dual_cndmask_b32 v3, v25, v23, vcc_lo :: v_dual_cndmask_b32 v21, v24, v22, vcc_lo
	v_dual_cndmask_b32 v3, v19, v3, s0 :: v_dual_cndmask_b32 v18, v18, v21, s0
	s_delay_alu instid0(VALU_DEP_1) | instskip(NEXT) | instid1(VALU_DEP_2)
	v_dual_mov_b32 v21, v20 :: v_dual_bitop2_b32 v19, v3, v20 bitop3:0x14
	v_xor_b32_e32 v18, v18, v20
	s_delay_alu instid0(VALU_DEP_1)
	v_sub_nc_u64_e32 v[18:19], v[18:19], v[20:21]
                                        ; implicit-def: $vgpr21
.LBB31_37:                              ;   in Loop: Header=BB31_3 Depth=1
	s_and_not1_saveexec_b32 s0, s88
	s_cbranch_execz .LBB31_39
; %bb.38:                               ;   in Loop: Header=BB31_3 Depth=1
	v_rcp_iflag_f32_e32 v3, v21
	s_sub_co_i32 s2, 0, s48
	v_nop
	s_delay_alu instid0(TRANS32_DEP_1) | instskip(NEXT) | instid1(VALU_DEP_1)
	v_mul_f32_e32 v3, 0x4f7ffffe, v3
	v_cvt_u32_f32_e32 v3, v3
	s_delay_alu instid0(VALU_DEP_1) | instskip(NEXT) | instid1(VALU_DEP_1)
	v_mul_lo_u32 v18, s2, v3
	v_mul_hi_u32 v18, v3, v18
	s_delay_alu instid0(VALU_DEP_1) | instskip(NEXT) | instid1(VALU_DEP_1)
	v_add_nc_u32_e32 v3, v3, v18
	v_mul_hi_u32 v3, v28, v3
	s_delay_alu instid0(VALU_DEP_1) | instskip(NEXT) | instid1(VALU_DEP_1)
	v_mul_lo_u32 v18, v3, s48
	v_dual_add_nc_u32 v19, 1, v3 :: v_dual_sub_nc_u32 v18, v28, v18
	s_delay_alu instid0(VALU_DEP_1) | instskip(SKIP_1) | instid1(VALU_DEP_2)
	v_subrev_nc_u32_e32 v20, s48, v18
	v_cmp_le_u32_e32 vcc_lo, s48, v18
	v_dual_cndmask_b32 v18, v18, v20 :: v_dual_cndmask_b32 v3, v3, v19
	s_delay_alu instid0(VALU_DEP_1) | instskip(NEXT) | instid1(VALU_DEP_2)
	v_cmp_le_u32_e32 vcc_lo, s48, v18
	v_add_nc_u32_e32 v19, 1, v3
	s_delay_alu instid0(VALU_DEP_1)
	v_dual_cndmask_b32 v18, v3, v19 :: v_dual_mov_b32 v19, v2
.LBB31_39:                              ;   in Loop: Header=BB31_3 Depth=1
	s_or_b32 exec_lo, exec_lo, s0
	v_or_b32_e32 v3, s53, v1
                                        ; implicit-def: $vgpr20_vgpr21
	s_mov_b32 s0, exec_lo
	s_delay_alu instid0(VALU_DEP_1)
	v_cmpx_ne_u64_e32 0, v[2:3]
	s_xor_b32 s88, exec_lo, s0
	s_cbranch_execz .LBB31_41
; %bb.40:                               ;   in Loop: Header=BB31_3 Depth=1
	s_ashr_i32 s82, s53, 31
	v_dual_mov_b32 v25, v2 :: v_dual_ashrrev_i32 v20, 31, v1
	s_mov_b32 s83, s82
	s_delay_alu instid0(SALU_CYCLE_1) | instskip(NEXT) | instid1(VALU_DEP_1)
	s_add_nc_u64 s[84:85], s[52:53], s[82:83]
	v_mov_b32_e32 v21, v20
	s_xor_b64 s[84:85], s[84:85], s[82:83]
	s_delay_alu instid0(SALU_CYCLE_1)
	s_cvt_f32_u32 s0, s84
	s_cvt_f32_u32 s2, s85
	s_sub_nc_u64 s[92:93], 0, s[84:85]
	v_add_nc_u64_e32 v[22:23], v[0:1], v[20:21]
	v_mov_b32_e32 v29, v2
	s_fmamk_f32 s0, s2, 0x4f800000, s0
	s_delay_alu instid0(SALU_CYCLE_3) | instskip(NEXT) | instid1(VALU_DEP_2)
	v_s_rcp_f32 s0, s0
	v_xor_b32_e32 v24, v22, v20
	s_delay_alu instid0(VALU_DEP_3) | instskip(SKIP_1) | instid1(TRANS32_DEP_1)
	v_dual_mov_b32 v39, v2 :: v_dual_bitop2_b32 v28, v23, v20 bitop3:0x14
	v_xor_b32_e32 v20, s82, v20
	s_mul_f32 s0, s0, 0x5f7ffffc
	s_delay_alu instid0(SALU_CYCLE_3) | instskip(NEXT) | instid1(SALU_CYCLE_3)
	s_mul_f32 s2, s0, 0x2f800000
	s_trunc_f32 s2, s2
	s_delay_alu instid0(SALU_CYCLE_3) | instskip(SKIP_1) | instid1(SALU_CYCLE_2)
	s_fmamk_f32 s0, s2, 0xcf800000, s0
	s_cvt_u32_f32 s91, s2
	s_cvt_u32_f32 s90, s0
	s_delay_alu instid0(SALU_CYCLE_3) | instskip(NEXT) | instid1(SALU_CYCLE_1)
	s_mul_u64 s[94:95], s[92:93], s[90:91]
	s_mul_hi_u32 s97, s90, s95
	s_mul_i32 s96, s90, s95
	s_mul_hi_u32 s2, s90, s94
	s_mul_i32 s83, s91, s94
	s_add_nc_u64 s[96:97], s[2:3], s[96:97]
	s_mul_hi_u32 s0, s91, s94
	s_mul_hi_u32 s89, s91, s95
	s_add_co_u32 s2, s96, s83
	s_add_co_ci_u32 s2, s97, s0
	s_mul_i32 s94, s91, s95
	s_add_co_ci_u32 s95, s89, 0
	s_delay_alu instid0(SALU_CYCLE_1) | instskip(NEXT) | instid1(SALU_CYCLE_1)
	s_add_nc_u64 s[94:95], s[2:3], s[94:95]
	s_add_co_u32 s90, s90, s94
	s_cselect_b32 s0, -1, 0
	s_delay_alu instid0(SALU_CYCLE_1) | instskip(SKIP_1) | instid1(SALU_CYCLE_1)
	s_cmp_lg_u32 s0, 0
	s_add_co_ci_u32 s91, s91, s95
	s_mul_u64 s[92:93], s[92:93], s[90:91]
	s_delay_alu instid0(SALU_CYCLE_1)
	s_mul_hi_u32 s95, s90, s93
	s_mul_i32 s94, s90, s93
	s_mul_hi_u32 s2, s90, s92
	s_mul_i32 s83, s91, s92
	s_add_nc_u64 s[94:95], s[2:3], s[94:95]
	s_mul_hi_u32 s0, s91, s92
	s_mul_hi_u32 s89, s91, s93
	s_add_co_u32 s2, s94, s83
	s_add_co_ci_u32 s2, s95, s0
	s_mul_i32 s92, s91, s93
	s_add_co_ci_u32 s93, s89, 0
	s_delay_alu instid0(SALU_CYCLE_1) | instskip(NEXT) | instid1(SALU_CYCLE_1)
	s_add_nc_u64 s[92:93], s[2:3], s[92:93]
	s_add_co_u32 s0, s90, s92
	s_cselect_b32 s2, -1, 0
	v_mul_hi_u32 v38, v24, s0
	s_cmp_lg_u32 s2, 0
	s_add_co_ci_u32 s2, s91, s93
	s_and_b64 s[90:91], s[0:1], s[76:77]
	v_mul_u64_e32 v[26:27], s[2:3], v[24:25]
	v_mul_u64_e32 v[22:23], s[90:91], v[28:29]
	;; [unrolled: 1-line block ×3, first 2 shown]
	s_delay_alu instid0(VALU_DEP_3) | instskip(NEXT) | instid1(VALU_DEP_1)
	v_add_nc_u64_e32 v[26:27], v[38:39], v[26:27]
	v_add_co_u32 v3, vcc_lo, v26, v22
	s_delay_alu instid0(VALU_DEP_2) | instskip(NEXT) | instid1(VALU_DEP_4)
	v_add_co_ci_u32_e32 v38, vcc_lo, v27, v23, vcc_lo
	v_add_co_ci_u32_e32 v37, vcc_lo, 0, v37, vcc_lo
	s_delay_alu instid0(VALU_DEP_1) | instskip(NEXT) | instid1(VALU_DEP_1)
	v_add_nc_u64_e32 v[22:23], v[38:39], v[36:37]
	v_mul_u64_e32 v[26:27], s[84:85], v[22:23]
	s_delay_alu instid0(VALU_DEP_1) | instskip(NEXT) | instid1(VALU_DEP_2)
	v_sub_nc_u32_e32 v3, v28, v27
	v_sub_co_u32 v21, vcc_lo, v24, v26
	s_delay_alu instid0(VALU_DEP_1) | instskip(NEXT) | instid1(VALU_DEP_3)
	v_sub_co_ci_u32_e64 v28, null, v28, v27, vcc_lo
	v_subrev_co_ci_u32_e64 v3, null, s85, v3, vcc_lo
	s_delay_alu instid0(VALU_DEP_3) | instskip(SKIP_1) | instid1(VALU_DEP_3)
	v_sub_co_u32 v24, s0, v21, s84
	v_add_nc_u64_e32 v[26:27], 1, v[22:23]
	v_subrev_co_ci_u32_e64 v3, null, 0, v3, s0
	s_delay_alu instid0(VALU_DEP_3) | instskip(SKIP_1) | instid1(VALU_DEP_3)
	v_cmp_le_u32_e32 vcc_lo, s84, v24
	v_cndmask_b32_e64 v24, 0, -1, vcc_lo
	v_cmp_le_u32_e32 vcc_lo, s85, v3
	v_cndmask_b32_e64 v25, 0, -1, vcc_lo
	;; [unrolled: 2-line block ×4, first 2 shown]
	v_cmp_eq_u32_e32 vcc_lo, s85, v3
	v_cndmask_b32_e32 v3, v25, v24, vcc_lo
	v_cmp_eq_u32_e32 vcc_lo, s85, v28
	v_add_nc_u64_e32 v[24:25], 2, v[22:23]
	v_cndmask_b32_e32 v21, v29, v21, vcc_lo
	s_delay_alu instid0(VALU_DEP_4) | instskip(NEXT) | instid1(VALU_DEP_2)
	v_cmp_ne_u32_e32 vcc_lo, 0, v3
	v_cmp_ne_u32_e64 s0, 0, v21
	s_delay_alu instid0(VALU_DEP_4) | instskip(NEXT) | instid1(VALU_DEP_1)
	v_dual_cndmask_b32 v3, v27, v25, vcc_lo :: v_dual_cndmask_b32 v21, v26, v24, vcc_lo
	v_dual_cndmask_b32 v22, v22, v21, s0 :: v_dual_mov_b32 v21, v20
	s_delay_alu instid0(VALU_DEP_1) | instskip(NEXT) | instid1(VALU_DEP_1)
	v_dual_cndmask_b32 v3, v23, v3, s0 :: v_dual_bitop2_b32 v22, v22, v20 bitop3:0x14
	v_xor_b32_e32 v23, v3, v20
	s_delay_alu instid0(VALU_DEP_1)
	v_sub_nc_u64_e32 v[20:21], v[22:23], v[20:21]
.LBB31_41:                              ;   in Loop: Header=BB31_3 Depth=1
	s_and_not1_saveexec_b32 s0, s88
	s_cbranch_execz .LBB31_43
; %bb.42:                               ;   in Loop: Header=BB31_3 Depth=1
	v_cvt_f32_u32_e32 v3, s52
	s_sub_co_i32 s2, 0, s52
	s_delay_alu instid0(VALU_DEP_1) | instskip(SKIP_1) | instid1(TRANS32_DEP_1)
	v_rcp_iflag_f32_e32 v3, v3
	v_nop
	v_mul_f32_e32 v3, 0x4f7ffffe, v3
	s_delay_alu instid0(VALU_DEP_1) | instskip(NEXT) | instid1(VALU_DEP_1)
	v_cvt_u32_f32_e32 v3, v3
	v_mul_lo_u32 v20, s2, v3
	s_delay_alu instid0(VALU_DEP_1) | instskip(NEXT) | instid1(VALU_DEP_1)
	v_mul_hi_u32 v20, v3, v20
	v_add_nc_u32_e32 v3, v3, v20
	s_delay_alu instid0(VALU_DEP_1) | instskip(NEXT) | instid1(VALU_DEP_1)
	v_mul_hi_u32 v3, v0, v3
	v_mul_lo_u32 v20, v3, s52
	s_delay_alu instid0(VALU_DEP_1) | instskip(NEXT) | instid1(VALU_DEP_1)
	v_dual_add_nc_u32 v21, 1, v3 :: v_dual_sub_nc_u32 v20, v0, v20
	v_subrev_nc_u32_e32 v22, s52, v20
	v_cmp_le_u32_e32 vcc_lo, s52, v20
	s_delay_alu instid0(VALU_DEP_2) | instskip(NEXT) | instid1(VALU_DEP_1)
	v_dual_cndmask_b32 v20, v20, v22 :: v_dual_cndmask_b32 v3, v3, v21
	v_cmp_le_u32_e32 vcc_lo, s52, v20
	s_delay_alu instid0(VALU_DEP_2) | instskip(NEXT) | instid1(VALU_DEP_1)
	v_add_nc_u32_e32 v21, 1, v3
	v_dual_cndmask_b32 v20, v3, v21 :: v_dual_mov_b32 v21, v2
.LBB31_43:                              ;   in Loop: Header=BB31_3 Depth=1
	s_or_b32 exec_lo, exec_lo, s0
	s_delay_alu instid0(VALU_DEP_1) | instskip(SKIP_1) | instid1(VALU_DEP_1)
	v_mad_nc_u64_u32 v[22:23], s70, v20, v[0:1]
	s_mov_b32 s0, exec_lo
	v_mad_u32 v3, s71, v20, v23
	s_delay_alu instid0(VALU_DEP_1) | instskip(SKIP_2) | instid1(VALU_DEP_3)
	v_mad_u32 v23, s70, v21, v3
	v_mul_u64_e32 v[20:21], s[20:21], v[20:21]
	v_or_b32_e32 v3, s55, v1
	v_mul_u64_e32 v[22:23], s[22:23], v[22:23]
	s_delay_alu instid0(VALU_DEP_3) | instskip(NEXT) | instid1(VALU_DEP_1)
	v_lshl_add_u64 v[20:21], v[20:21], 1, s[50:51]
	v_lshl_add_u64 v[20:21], v[22:23], 1, v[20:21]
	global_load_u16 v26, v[20:21], off
                                        ; implicit-def: $vgpr20_vgpr21
	s_wait_xcnt 0x0
	v_cmpx_ne_u64_e32 0, v[2:3]
	s_xor_b32 s88, exec_lo, s0
	s_cbranch_execz .LBB31_45
; %bb.44:                               ;   in Loop: Header=BB31_3 Depth=1
	s_ashr_i32 s82, s55, 31
	v_dual_mov_b32 v25, v2 :: v_dual_ashrrev_i32 v20, 31, v1
	s_mov_b32 s83, s82
	s_delay_alu instid0(SALU_CYCLE_1) | instskip(NEXT) | instid1(VALU_DEP_1)
	s_add_nc_u64 s[84:85], s[54:55], s[82:83]
	v_mov_b32_e32 v21, v20
	s_xor_b64 s[84:85], s[84:85], s[82:83]
	s_delay_alu instid0(SALU_CYCLE_1)
	s_cvt_f32_u32 s0, s84
	s_cvt_f32_u32 s2, s85
	s_sub_nc_u64 s[92:93], 0, s[84:85]
	v_add_nc_u64_e32 v[22:23], v[0:1], v[20:21]
	v_mov_b32_e32 v37, v2
	s_fmamk_f32 s0, s2, 0x4f800000, s0
	s_delay_alu instid0(SALU_CYCLE_3) | instskip(NEXT) | instid1(VALU_DEP_2)
	v_s_rcp_f32 s0, s0
	v_xor_b32_e32 v24, v22, v20
	s_delay_alu instid0(VALU_DEP_3) | instskip(NEXT) | instid1(TRANS32_DEP_1)
	v_dual_mov_b32 v41, v2 :: v_dual_bitop2_b32 v36, v23, v20 bitop3:0x14
	s_mul_f32 s0, s0, 0x5f7ffffc
	s_delay_alu instid0(SALU_CYCLE_3) | instskip(NEXT) | instid1(SALU_CYCLE_3)
	s_mul_f32 s2, s0, 0x2f800000
	s_trunc_f32 s2, s2
	s_delay_alu instid0(SALU_CYCLE_3) | instskip(SKIP_1) | instid1(SALU_CYCLE_2)
	s_fmamk_f32 s0, s2, 0xcf800000, s0
	s_cvt_u32_f32 s91, s2
	s_cvt_u32_f32 s90, s0
	s_delay_alu instid0(SALU_CYCLE_3) | instskip(NEXT) | instid1(SALU_CYCLE_1)
	s_mul_u64 s[94:95], s[92:93], s[90:91]
	s_mul_hi_u32 s97, s90, s95
	s_mul_i32 s96, s90, s95
	s_mul_hi_u32 s2, s90, s94
	s_mul_i32 s83, s91, s94
	s_add_nc_u64 s[96:97], s[2:3], s[96:97]
	s_mul_hi_u32 s0, s91, s94
	s_mul_hi_u32 s89, s91, s95
	s_add_co_u32 s2, s96, s83
	s_add_co_ci_u32 s2, s97, s0
	s_mul_i32 s94, s91, s95
	s_add_co_ci_u32 s95, s89, 0
	s_delay_alu instid0(SALU_CYCLE_1) | instskip(NEXT) | instid1(SALU_CYCLE_1)
	s_add_nc_u64 s[94:95], s[2:3], s[94:95]
	s_add_co_u32 s90, s90, s94
	s_cselect_b32 s0, -1, 0
	s_delay_alu instid0(SALU_CYCLE_1) | instskip(SKIP_1) | instid1(SALU_CYCLE_1)
	s_cmp_lg_u32 s0, 0
	s_add_co_ci_u32 s91, s91, s95
	s_mul_u64 s[92:93], s[92:93], s[90:91]
	s_delay_alu instid0(SALU_CYCLE_1)
	s_mul_hi_u32 s95, s90, s93
	s_mul_i32 s94, s90, s93
	s_mul_hi_u32 s2, s90, s92
	s_mul_i32 s83, s91, s92
	s_add_nc_u64 s[94:95], s[2:3], s[94:95]
	s_mul_hi_u32 s0, s91, s92
	s_mul_hi_u32 s89, s91, s93
	s_add_co_u32 s2, s94, s83
	s_add_co_ci_u32 s2, s95, s0
	s_mul_i32 s92, s91, s93
	s_add_co_ci_u32 s93, s89, 0
	s_delay_alu instid0(SALU_CYCLE_1) | instskip(NEXT) | instid1(SALU_CYCLE_1)
	s_add_nc_u64 s[92:93], s[2:3], s[92:93]
	s_add_co_u32 s0, s90, s92
	s_cselect_b32 s2, -1, 0
	v_mul_hi_u32 v40, v24, s0
	s_cmp_lg_u32 s2, 0
	s_add_co_ci_u32 s2, s91, s93
	s_and_b64 s[90:91], s[0:1], s[76:77]
	v_mul_u64_e32 v[28:29], s[2:3], v[24:25]
	v_mul_u64_e32 v[22:23], s[90:91], v[36:37]
	;; [unrolled: 1-line block ×3, first 2 shown]
	s_delay_alu instid0(VALU_DEP_3) | instskip(NEXT) | instid1(VALU_DEP_1)
	v_add_nc_u64_e32 v[28:29], v[40:41], v[28:29]
	v_add_co_u32 v3, vcc_lo, v28, v22
	s_delay_alu instid0(VALU_DEP_2) | instskip(NEXT) | instid1(VALU_DEP_4)
	v_add_co_ci_u32_e32 v40, vcc_lo, v29, v23, vcc_lo
	v_add_co_ci_u32_e32 v39, vcc_lo, 0, v39, vcc_lo
	s_delay_alu instid0(VALU_DEP_1) | instskip(NEXT) | instid1(VALU_DEP_1)
	v_add_nc_u64_e32 v[22:23], v[40:41], v[38:39]
	v_mul_u64_e32 v[28:29], s[84:85], v[22:23]
	s_delay_alu instid0(VALU_DEP_1) | instskip(NEXT) | instid1(VALU_DEP_2)
	v_sub_nc_u32_e32 v3, v36, v29
	v_sub_co_u32 v21, vcc_lo, v24, v28
	s_delay_alu instid0(VALU_DEP_1) | instskip(NEXT) | instid1(VALU_DEP_3)
	v_sub_co_ci_u32_e64 v27, null, v36, v29, vcc_lo
	v_subrev_co_ci_u32_e64 v3, null, s85, v3, vcc_lo
	s_delay_alu instid0(VALU_DEP_3) | instskip(SKIP_1) | instid1(VALU_DEP_3)
	v_sub_co_u32 v24, s0, v21, s84
	v_add_nc_u64_e32 v[28:29], 1, v[22:23]
	v_subrev_co_ci_u32_e64 v3, null, 0, v3, s0
	s_delay_alu instid0(VALU_DEP_3) | instskip(SKIP_1) | instid1(VALU_DEP_3)
	v_cmp_le_u32_e32 vcc_lo, s84, v24
	v_cndmask_b32_e64 v24, 0, -1, vcc_lo
	v_cmp_le_u32_e32 vcc_lo, s85, v3
	v_cndmask_b32_e64 v25, 0, -1, vcc_lo
	;; [unrolled: 2-line block ×4, first 2 shown]
	v_cmp_eq_u32_e32 vcc_lo, s85, v3
	v_cndmask_b32_e32 v3, v25, v24, vcc_lo
	v_cmp_eq_u32_e32 vcc_lo, s85, v27
	v_add_nc_u64_e32 v[24:25], 2, v[22:23]
	v_cndmask_b32_e32 v21, v35, v21, vcc_lo
	s_delay_alu instid0(VALU_DEP_4) | instskip(NEXT) | instid1(VALU_DEP_2)
	v_cmp_ne_u32_e32 vcc_lo, 0, v3
	v_cmp_ne_u32_e64 s0, 0, v21
	s_delay_alu instid0(VALU_DEP_4) | instskip(NEXT) | instid1(VALU_DEP_1)
	v_dual_cndmask_b32 v3, v29, v25, vcc_lo :: v_dual_cndmask_b32 v21, v28, v24, vcc_lo
	v_dual_cndmask_b32 v3, v23, v3, s0 :: v_dual_bitop2_b32 v20, s82, v20 bitop3:0x14
	s_delay_alu instid0(VALU_DEP_1) | instskip(NEXT) | instid1(VALU_DEP_2)
	v_dual_cndmask_b32 v22, v22, v21, s0 :: v_dual_mov_b32 v21, v20
	v_xor_b32_e32 v23, v3, v20
	s_delay_alu instid0(VALU_DEP_2) | instskip(NEXT) | instid1(VALU_DEP_1)
	v_xor_b32_e32 v22, v22, v20
	v_sub_nc_u64_e32 v[20:21], v[22:23], v[20:21]
.LBB31_45:                              ;   in Loop: Header=BB31_3 Depth=1
	s_and_not1_saveexec_b32 s0, s88
	s_cbranch_execz .LBB31_47
; %bb.46:                               ;   in Loop: Header=BB31_3 Depth=1
	v_cvt_f32_u32_e32 v3, s54
	s_sub_co_i32 s2, 0, s54
	s_delay_alu instid0(VALU_DEP_1) | instskip(SKIP_1) | instid1(TRANS32_DEP_1)
	v_rcp_iflag_f32_e32 v3, v3
	v_nop
	v_mul_f32_e32 v3, 0x4f7ffffe, v3
	s_delay_alu instid0(VALU_DEP_1) | instskip(NEXT) | instid1(VALU_DEP_1)
	v_cvt_u32_f32_e32 v3, v3
	v_mul_lo_u32 v20, s2, v3
	s_delay_alu instid0(VALU_DEP_1) | instskip(NEXT) | instid1(VALU_DEP_1)
	v_mul_hi_u32 v20, v3, v20
	v_add_nc_u32_e32 v3, v3, v20
	s_delay_alu instid0(VALU_DEP_1) | instskip(NEXT) | instid1(VALU_DEP_1)
	v_mul_hi_u32 v3, v0, v3
	v_mul_lo_u32 v20, v3, s54
	s_delay_alu instid0(VALU_DEP_1) | instskip(NEXT) | instid1(VALU_DEP_1)
	v_dual_add_nc_u32 v21, 1, v3 :: v_dual_sub_nc_u32 v20, v0, v20
	v_subrev_nc_u32_e32 v22, s54, v20
	v_cmp_le_u32_e32 vcc_lo, s54, v20
	s_delay_alu instid0(VALU_DEP_2) | instskip(NEXT) | instid1(VALU_DEP_1)
	v_dual_cndmask_b32 v20, v20, v22 :: v_dual_cndmask_b32 v3, v3, v21
	v_cmp_le_u32_e32 vcc_lo, s54, v20
	s_delay_alu instid0(VALU_DEP_2) | instskip(NEXT) | instid1(VALU_DEP_1)
	v_add_nc_u32_e32 v21, 1, v3
	v_dual_cndmask_b32 v20, v3, v21 :: v_dual_mov_b32 v21, v2
.LBB31_47:                              ;   in Loop: Header=BB31_3 Depth=1
	s_or_b32 exec_lo, exec_lo, s0
	s_delay_alu instid0(VALU_DEP_1) | instskip(SKIP_1) | instid1(VALU_DEP_1)
	v_mad_nc_u64_u32 v[22:23], s72, v20, v[0:1]
	s_mov_b32 s0, exec_lo
	v_mad_u32 v3, s73, v20, v23
	s_delay_alu instid0(VALU_DEP_1) | instskip(SKIP_2) | instid1(VALU_DEP_3)
	v_mad_u32 v23, s72, v21, v3
	v_mul_u64_e32 v[20:21], s[24:25], v[20:21]
	v_or_b32_e32 v3, s59, v1
	v_mul_u64_e32 v[22:23], s[26:27], v[22:23]
	s_delay_alu instid0(VALU_DEP_3) | instskip(NEXT) | instid1(VALU_DEP_1)
	v_lshl_add_u64 v[20:21], v[20:21], 1, s[60:61]
	v_lshl_add_u64 v[20:21], v[22:23], 1, v[20:21]
	global_load_u16 v27, v[20:21], off
                                        ; implicit-def: $vgpr20_vgpr21
	s_wait_xcnt 0x0
	v_cmpx_ne_u64_e32 0, v[2:3]
	s_xor_b32 s88, exec_lo, s0
	s_cbranch_execnz .LBB31_60
; %bb.48:                               ;   in Loop: Header=BB31_3 Depth=1
	s_and_not1_saveexec_b32 s0, s88
	s_cbranch_execnz .LBB31_61
.LBB31_49:                              ;   in Loop: Header=BB31_3 Depth=1
	s_or_b32 exec_lo, exec_lo, s0
	s_delay_alu instid0(SALU_CYCLE_1)
	s_and_not1_b32 vcc_lo, exec_lo, s1
	s_cbranch_vccnz .LBB31_62
.LBB31_50:                              ;   in Loop: Header=BB31_3 Depth=1
	v_or_b32_e32 v3, s63, v1
                                        ; implicit-def: $vgpr22_vgpr23
	s_mov_b32 s0, exec_lo
	s_delay_alu instid0(VALU_DEP_1)
	v_cmpx_ne_u64_e32 0, v[2:3]
	s_xor_b32 s88, exec_lo, s0
	s_cbranch_execz .LBB31_52
; %bb.51:                               ;   in Loop: Header=BB31_3 Depth=1
	s_ashr_i32 s82, s63, 31
	v_dual_mov_b32 v29, v2 :: v_dual_ashrrev_i32 v22, 31, v1
	s_mov_b32 s83, s82
	v_mov_b32_e32 v43, v2
	s_add_nc_u64 s[84:85], s[62:63], s[82:83]
	s_delay_alu instid0(VALU_DEP_2) | instskip(SKIP_1) | instid1(SALU_CYCLE_1)
	v_mov_b32_e32 v23, v22
	s_xor_b64 s[84:85], s[84:85], s[82:83]
	s_cvt_f32_u32 s0, s84
	s_cvt_f32_u32 s2, s85
	s_sub_nc_u64 s[92:93], 0, s[84:85]
	v_add_nc_u64_e32 v[24:25], v[0:1], v[22:23]
	v_mov_b32_e32 v39, v2
	s_fmamk_f32 s0, s2, 0x4f800000, s0
	s_delay_alu instid0(SALU_CYCLE_3) | instskip(NEXT) | instid1(VALU_DEP_2)
	v_s_rcp_f32 s0, s0
	v_xor_b32_e32 v28, v24, v22
	s_delay_alu instid0(VALU_DEP_3) | instskip(NEXT) | instid1(TRANS32_DEP_1)
	v_xor_b32_e32 v38, v25, v22
	s_mul_f32 s0, s0, 0x5f7ffffc
	s_delay_alu instid0(SALU_CYCLE_3) | instskip(NEXT) | instid1(SALU_CYCLE_3)
	s_mul_f32 s2, s0, 0x2f800000
	s_trunc_f32 s2, s2
	s_delay_alu instid0(SALU_CYCLE_3) | instskip(SKIP_1) | instid1(SALU_CYCLE_2)
	s_fmamk_f32 s0, s2, 0xcf800000, s0
	s_cvt_u32_f32 s91, s2
	s_cvt_u32_f32 s90, s0
	s_delay_alu instid0(SALU_CYCLE_3) | instskip(NEXT) | instid1(SALU_CYCLE_1)
	s_mul_u64 s[94:95], s[92:93], s[90:91]
	s_mul_hi_u32 s97, s90, s95
	s_mul_i32 s96, s90, s95
	s_mul_hi_u32 s2, s90, s94
	s_mul_i32 s83, s91, s94
	s_add_nc_u64 s[96:97], s[2:3], s[96:97]
	s_mul_hi_u32 s0, s91, s94
	s_mul_hi_u32 s89, s91, s95
	s_add_co_u32 s2, s96, s83
	s_add_co_ci_u32 s2, s97, s0
	s_mul_i32 s94, s91, s95
	s_add_co_ci_u32 s95, s89, 0
	s_delay_alu instid0(SALU_CYCLE_1) | instskip(NEXT) | instid1(SALU_CYCLE_1)
	s_add_nc_u64 s[94:95], s[2:3], s[94:95]
	s_add_co_u32 s90, s90, s94
	s_cselect_b32 s0, -1, 0
	s_delay_alu instid0(SALU_CYCLE_1) | instskip(SKIP_1) | instid1(SALU_CYCLE_1)
	s_cmp_lg_u32 s0, 0
	s_add_co_ci_u32 s91, s91, s95
	s_mul_u64 s[92:93], s[92:93], s[90:91]
	s_delay_alu instid0(SALU_CYCLE_1)
	s_mul_hi_u32 s95, s90, s93
	s_mul_i32 s94, s90, s93
	s_mul_hi_u32 s2, s90, s92
	s_mul_i32 s83, s91, s92
	s_add_nc_u64 s[94:95], s[2:3], s[94:95]
	s_mul_hi_u32 s0, s91, s92
	s_mul_hi_u32 s89, s91, s93
	s_add_co_u32 s2, s94, s83
	s_add_co_ci_u32 s2, s95, s0
	s_mul_i32 s92, s91, s93
	s_add_co_ci_u32 s93, s89, 0
	s_delay_alu instid0(SALU_CYCLE_1) | instskip(NEXT) | instid1(SALU_CYCLE_1)
	s_add_nc_u64 s[92:93], s[2:3], s[92:93]
	s_add_co_u32 s0, s90, s92
	s_cselect_b32 s2, -1, 0
	v_mul_hi_u32 v42, v28, s0
	s_cmp_lg_u32 s2, 0
	s_add_co_ci_u32 s2, s91, s93
	s_and_b64 s[90:91], s[0:1], s[76:77]
	v_mul_u64_e32 v[36:37], s[2:3], v[28:29]
	v_mul_u64_e32 v[24:25], s[90:91], v[38:39]
	;; [unrolled: 1-line block ×3, first 2 shown]
	s_delay_alu instid0(VALU_DEP_3) | instskip(NEXT) | instid1(VALU_DEP_1)
	v_add_nc_u64_e32 v[36:37], v[42:43], v[36:37]
	v_add_co_u32 v3, vcc_lo, v36, v24
	s_delay_alu instid0(VALU_DEP_2) | instskip(NEXT) | instid1(VALU_DEP_4)
	v_add_co_ci_u32_e32 v42, vcc_lo, v37, v25, vcc_lo
	v_add_co_ci_u32_e32 v41, vcc_lo, 0, v41, vcc_lo
	s_delay_alu instid0(VALU_DEP_1) | instskip(NEXT) | instid1(VALU_DEP_1)
	v_add_nc_u64_e32 v[24:25], v[42:43], v[40:41]
	v_mul_u64_e32 v[36:37], s[84:85], v[24:25]
	s_delay_alu instid0(VALU_DEP_1) | instskip(NEXT) | instid1(VALU_DEP_2)
	v_sub_nc_u32_e32 v3, v38, v37
	v_sub_co_u32 v23, vcc_lo, v28, v36
	s_delay_alu instid0(VALU_DEP_1) | instskip(NEXT) | instid1(VALU_DEP_3)
	v_sub_co_ci_u32_e64 v35, null, v38, v37, vcc_lo
	v_subrev_co_ci_u32_e64 v3, null, s85, v3, vcc_lo
	s_delay_alu instid0(VALU_DEP_3) | instskip(SKIP_1) | instid1(VALU_DEP_3)
	v_sub_co_u32 v28, s0, v23, s84
	v_add_nc_u64_e32 v[36:37], 1, v[24:25]
	v_subrev_co_ci_u32_e64 v3, null, 0, v3, s0
	s_delay_alu instid0(VALU_DEP_3) | instskip(SKIP_1) | instid1(VALU_DEP_3)
	v_cmp_le_u32_e32 vcc_lo, s84, v28
	v_cndmask_b32_e64 v28, 0, -1, vcc_lo
	v_cmp_le_u32_e32 vcc_lo, s85, v3
	v_cndmask_b32_e64 v29, 0, -1, vcc_lo
	;; [unrolled: 2-line block ×4, first 2 shown]
	v_cmp_eq_u32_e32 vcc_lo, s85, v3
	v_cndmask_b32_e32 v3, v29, v28, vcc_lo
	v_cmp_eq_u32_e32 vcc_lo, s85, v35
	v_add_nc_u64_e32 v[28:29], 2, v[24:25]
	v_cndmask_b32_e32 v23, v38, v23, vcc_lo
	s_delay_alu instid0(VALU_DEP_4) | instskip(NEXT) | instid1(VALU_DEP_2)
	v_cmp_ne_u32_e32 vcc_lo, 0, v3
	v_cmp_ne_u32_e64 s0, 0, v23
	s_delay_alu instid0(VALU_DEP_4) | instskip(NEXT) | instid1(VALU_DEP_1)
	v_dual_cndmask_b32 v3, v37, v29, vcc_lo :: v_dual_cndmask_b32 v23, v36, v28, vcc_lo
	v_dual_cndmask_b32 v3, v25, v3, s0 :: v_dual_bitop2_b32 v22, s82, v22 bitop3:0x14
	s_delay_alu instid0(VALU_DEP_1) | instskip(NEXT) | instid1(VALU_DEP_2)
	v_dual_cndmask_b32 v24, v24, v23, s0 :: v_dual_mov_b32 v23, v22
	v_xor_b32_e32 v25, v3, v22
	s_delay_alu instid0(VALU_DEP_2) | instskip(NEXT) | instid1(VALU_DEP_1)
	v_xor_b32_e32 v24, v24, v22
	v_sub_nc_u64_e32 v[22:23], v[24:25], v[22:23]
.LBB31_52:                              ;   in Loop: Header=BB31_3 Depth=1
	s_and_not1_saveexec_b32 s0, s88
	s_cbranch_execz .LBB31_54
; %bb.53:                               ;   in Loop: Header=BB31_3 Depth=1
	v_cvt_f32_u32_e32 v3, s62
	s_sub_co_i32 s2, 0, s62
	s_delay_alu instid0(VALU_DEP_1) | instskip(SKIP_1) | instid1(TRANS32_DEP_1)
	v_rcp_iflag_f32_e32 v3, v3
	v_nop
	v_mul_f32_e32 v3, 0x4f7ffffe, v3
	s_delay_alu instid0(VALU_DEP_1) | instskip(NEXT) | instid1(VALU_DEP_1)
	v_cvt_u32_f32_e32 v3, v3
	v_mul_lo_u32 v22, s2, v3
	s_delay_alu instid0(VALU_DEP_1) | instskip(NEXT) | instid1(VALU_DEP_1)
	v_mul_hi_u32 v22, v3, v22
	v_add_nc_u32_e32 v3, v3, v22
	s_delay_alu instid0(VALU_DEP_1) | instskip(NEXT) | instid1(VALU_DEP_1)
	v_mul_hi_u32 v3, v0, v3
	v_mul_lo_u32 v22, v3, s62
	s_delay_alu instid0(VALU_DEP_1) | instskip(NEXT) | instid1(VALU_DEP_1)
	v_dual_add_nc_u32 v23, 1, v3 :: v_dual_sub_nc_u32 v22, v0, v22
	v_subrev_nc_u32_e32 v24, s62, v22
	v_cmp_le_u32_e32 vcc_lo, s62, v22
	s_delay_alu instid0(VALU_DEP_2) | instskip(NEXT) | instid1(VALU_DEP_1)
	v_dual_cndmask_b32 v22, v22, v24 :: v_dual_cndmask_b32 v3, v3, v23
	v_cmp_le_u32_e32 vcc_lo, s62, v22
	s_delay_alu instid0(VALU_DEP_2) | instskip(NEXT) | instid1(VALU_DEP_1)
	v_add_nc_u32_e32 v23, 1, v3
	v_dual_cndmask_b32 v22, v3, v23 :: v_dual_mov_b32 v23, v2
.LBB31_54:                              ;   in Loop: Header=BB31_3 Depth=1
	s_or_b32 exec_lo, exec_lo, s0
	s_delay_alu instid0(VALU_DEP_1) | instskip(NEXT) | instid1(VALU_DEP_1)
	v_mad_nc_u64_u32 v[24:25], s78, v22, v[0:1]
	v_mad_u32 v3, s79, v22, v25
	s_delay_alu instid0(VALU_DEP_1) | instskip(SKIP_1) | instid1(VALU_DEP_2)
	v_mad_u32 v25, s78, v23, v3
	v_mul_u64_e32 v[22:23], s[8:9], v[22:23]
	v_mul_u64_e32 v[24:25], s[10:11], v[24:25]
	s_delay_alu instid0(VALU_DEP_2) | instskip(NEXT) | instid1(VALU_DEP_1)
	v_lshl_add_u64 v[22:23], v[22:23], 1, s[42:43]
	v_lshl_add_u64 v[22:23], v[24:25], 1, v[22:23]
	global_load_u16 v3, v[22:23], off
	s_wait_loadcnt 0x0
	s_wait_xcnt 0x0
	v_lshlrev_b32_e32 v22, 16, v3
	s_and_not1_b32 vcc_lo, exec_lo, s33
	s_cbranch_vccnz .LBB31_63
.LBB31_55:                              ;   in Loop: Header=BB31_3 Depth=1
	v_or_b32_e32 v3, s65, v1
                                        ; implicit-def: $vgpr24_vgpr25
	s_mov_b32 s0, exec_lo
	s_delay_alu instid0(VALU_DEP_1)
	v_cmpx_ne_u64_e32 0, v[2:3]
	s_xor_b32 s88, exec_lo, s0
	s_cbranch_execz .LBB31_57
; %bb.56:                               ;   in Loop: Header=BB31_3 Depth=1
	s_ashr_i32 s82, s65, 31
	v_dual_mov_b32 v37, v2 :: v_dual_ashrrev_i32 v24, 31, v1
	s_mov_b32 s83, s82
	v_mov_b32_e32 v41, v2
	s_add_nc_u64 s[84:85], s[64:65], s[82:83]
	s_delay_alu instid0(VALU_DEP_2)
	v_mov_b32_e32 v25, v24
	s_xor_b64 s[84:85], s[84:85], s[82:83]
	v_mov_b32_e32 v45, v2
	s_cvt_f32_u32 s0, s84
	s_cvt_f32_u32 s2, s85
	s_sub_nc_u64 s[92:93], 0, s[84:85]
	v_add_nc_u64_e32 v[28:29], v[0:1], v[24:25]
	s_delay_alu instid0(SALU_CYCLE_1) | instskip(NEXT) | instid1(SALU_CYCLE_3)
	s_fmamk_f32 s0, s2, 0x4f800000, s0
	v_s_rcp_f32 s0, s0
	s_delay_alu instid0(VALU_DEP_1) | instskip(NEXT) | instid1(VALU_DEP_2)
	v_xor_b32_e32 v36, v28, v24
	v_xor_b32_e32 v40, v29, v24
	s_delay_alu instid0(TRANS32_DEP_1) | instskip(NEXT) | instid1(SALU_CYCLE_3)
	s_mul_f32 s0, s0, 0x5f7ffffc
	s_mul_f32 s2, s0, 0x2f800000
	s_delay_alu instid0(SALU_CYCLE_3) | instskip(NEXT) | instid1(SALU_CYCLE_3)
	s_trunc_f32 s2, s2
	s_fmamk_f32 s0, s2, 0xcf800000, s0
	s_cvt_u32_f32 s91, s2
	s_delay_alu instid0(SALU_CYCLE_2) | instskip(NEXT) | instid1(SALU_CYCLE_3)
	s_cvt_u32_f32 s90, s0
	s_mul_u64 s[94:95], s[92:93], s[90:91]
	s_delay_alu instid0(SALU_CYCLE_1)
	s_mul_hi_u32 s97, s90, s95
	s_mul_i32 s96, s90, s95
	s_mul_hi_u32 s2, s90, s94
	s_mul_i32 s83, s91, s94
	s_add_nc_u64 s[96:97], s[2:3], s[96:97]
	s_mul_hi_u32 s0, s91, s94
	s_mul_hi_u32 s89, s91, s95
	s_add_co_u32 s2, s96, s83
	s_add_co_ci_u32 s2, s97, s0
	s_mul_i32 s94, s91, s95
	s_add_co_ci_u32 s95, s89, 0
	s_delay_alu instid0(SALU_CYCLE_1) | instskip(NEXT) | instid1(SALU_CYCLE_1)
	s_add_nc_u64 s[94:95], s[2:3], s[94:95]
	s_add_co_u32 s90, s90, s94
	s_cselect_b32 s0, -1, 0
	s_delay_alu instid0(SALU_CYCLE_1) | instskip(SKIP_1) | instid1(SALU_CYCLE_1)
	s_cmp_lg_u32 s0, 0
	s_add_co_ci_u32 s91, s91, s95
	s_mul_u64 s[92:93], s[92:93], s[90:91]
	s_delay_alu instid0(SALU_CYCLE_1)
	s_mul_hi_u32 s95, s90, s93
	s_mul_i32 s94, s90, s93
	s_mul_hi_u32 s2, s90, s92
	s_mul_i32 s83, s91, s92
	s_add_nc_u64 s[94:95], s[2:3], s[94:95]
	s_mul_hi_u32 s0, s91, s92
	s_mul_hi_u32 s89, s91, s93
	s_add_co_u32 s2, s94, s83
	s_add_co_ci_u32 s2, s95, s0
	s_mul_i32 s92, s91, s93
	s_add_co_ci_u32 s93, s89, 0
	s_delay_alu instid0(SALU_CYCLE_1) | instskip(NEXT) | instid1(SALU_CYCLE_1)
	s_add_nc_u64 s[92:93], s[2:3], s[92:93]
	s_add_co_u32 s0, s90, s92
	s_cselect_b32 s2, -1, 0
	v_mul_hi_u32 v44, v36, s0
	s_cmp_lg_u32 s2, 0
	s_add_co_ci_u32 s2, s91, s93
	s_and_b64 s[90:91], s[0:1], s[76:77]
	v_mul_u64_e32 v[38:39], s[2:3], v[36:37]
	v_mul_u64_e32 v[28:29], s[90:91], v[40:41]
	;; [unrolled: 1-line block ×3, first 2 shown]
	s_delay_alu instid0(VALU_DEP_3) | instskip(NEXT) | instid1(VALU_DEP_1)
	v_add_nc_u64_e32 v[38:39], v[44:45], v[38:39]
	v_add_co_u32 v3, vcc_lo, v38, v28
	s_delay_alu instid0(VALU_DEP_2) | instskip(NEXT) | instid1(VALU_DEP_4)
	v_add_co_ci_u32_e32 v44, vcc_lo, v39, v29, vcc_lo
	v_add_co_ci_u32_e32 v43, vcc_lo, 0, v43, vcc_lo
	s_delay_alu instid0(VALU_DEP_1) | instskip(NEXT) | instid1(VALU_DEP_1)
	v_add_nc_u64_e32 v[28:29], v[44:45], v[42:43]
	v_mul_u64_e32 v[38:39], s[84:85], v[28:29]
	s_delay_alu instid0(VALU_DEP_1) | instskip(NEXT) | instid1(VALU_DEP_2)
	v_sub_nc_u32_e32 v3, v40, v39
	v_sub_co_u32 v23, vcc_lo, v36, v38
	s_delay_alu instid0(VALU_DEP_1) | instskip(NEXT) | instid1(VALU_DEP_3)
	v_sub_co_ci_u32_e64 v35, null, v40, v39, vcc_lo
	v_subrev_co_ci_u32_e64 v3, null, s85, v3, vcc_lo
	s_delay_alu instid0(VALU_DEP_3) | instskip(SKIP_1) | instid1(VALU_DEP_3)
	v_sub_co_u32 v25, s0, v23, s84
	v_add_nc_u64_e32 v[38:39], 1, v[28:29]
	v_subrev_co_ci_u32_e64 v3, null, 0, v3, s0
	s_delay_alu instid0(VALU_DEP_3) | instskip(SKIP_1) | instid1(VALU_DEP_3)
	v_cmp_le_u32_e32 vcc_lo, s84, v25
	v_cndmask_b32_e64 v25, 0, -1, vcc_lo
	v_cmp_le_u32_e32 vcc_lo, s85, v3
	v_cndmask_b32_e64 v36, 0, -1, vcc_lo
	;; [unrolled: 2-line block ×4, first 2 shown]
	v_cmp_eq_u32_e32 vcc_lo, s85, v3
	v_cndmask_b32_e32 v3, v36, v25, vcc_lo
	v_cmp_eq_u32_e32 vcc_lo, s85, v35
	v_add_nc_u64_e32 v[36:37], 2, v[28:29]
	v_cndmask_b32_e32 v23, v40, v23, vcc_lo
	s_delay_alu instid0(VALU_DEP_4) | instskip(NEXT) | instid1(VALU_DEP_3)
	v_cmp_ne_u32_e32 vcc_lo, 0, v3
	v_cndmask_b32_e32 v3, v39, v37, vcc_lo
	s_delay_alu instid0(VALU_DEP_3) | instskip(SKIP_1) | instid1(VALU_DEP_2)
	v_cmp_ne_u32_e64 s0, 0, v23
	v_cndmask_b32_e32 v23, v38, v36, vcc_lo
	v_dual_cndmask_b32 v3, v29, v3, s0 :: v_dual_bitop2_b32 v24, s82, v24 bitop3:0x14
	s_delay_alu instid0(VALU_DEP_1) | instskip(NEXT) | instid1(VALU_DEP_1)
	v_dual_cndmask_b32 v23, v28, v23, s0 :: v_dual_bitop2_b32 v29, v3, v24 bitop3:0x14
	v_dual_mov_b32 v25, v24 :: v_dual_bitop2_b32 v28, v23, v24 bitop3:0x14
	s_delay_alu instid0(VALU_DEP_1)
	v_sub_nc_u64_e32 v[24:25], v[28:29], v[24:25]
.LBB31_57:                              ;   in Loop: Header=BB31_3 Depth=1
	s_and_not1_saveexec_b32 s0, s88
	s_cbranch_execz .LBB31_59
; %bb.58:                               ;   in Loop: Header=BB31_3 Depth=1
	v_cvt_f32_u32_e32 v3, s64
	s_sub_co_i32 s2, 0, s64
	s_delay_alu instid0(VALU_DEP_1) | instskip(SKIP_1) | instid1(TRANS32_DEP_1)
	v_rcp_iflag_f32_e32 v3, v3
	v_nop
	v_mul_f32_e32 v3, 0x4f7ffffe, v3
	s_delay_alu instid0(VALU_DEP_1) | instskip(NEXT) | instid1(VALU_DEP_1)
	v_cvt_u32_f32_e32 v3, v3
	v_mul_lo_u32 v23, s2, v3
	s_delay_alu instid0(VALU_DEP_1) | instskip(NEXT) | instid1(VALU_DEP_1)
	v_mul_hi_u32 v23, v3, v23
	v_add_nc_u32_e32 v3, v3, v23
	s_delay_alu instid0(VALU_DEP_1) | instskip(NEXT) | instid1(VALU_DEP_1)
	v_mul_hi_u32 v3, v0, v3
	v_mul_lo_u32 v23, v3, s64
	s_delay_alu instid0(VALU_DEP_1) | instskip(NEXT) | instid1(VALU_DEP_1)
	v_sub_nc_u32_e32 v23, v0, v23
	v_subrev_nc_u32_e32 v25, s64, v23
	v_cmp_le_u32_e32 vcc_lo, s64, v23
	s_delay_alu instid0(VALU_DEP_2) | instskip(NEXT) | instid1(VALU_DEP_1)
	v_dual_cndmask_b32 v23, v23, v25 :: v_dual_add_nc_u32 v24, 1, v3
	v_dual_cndmask_b32 v3, v3, v24, vcc_lo :: v_dual_mov_b32 v25, v2
	s_delay_alu instid0(VALU_DEP_2) | instskip(NEXT) | instid1(VALU_DEP_2)
	v_cmp_le_u32_e32 vcc_lo, s64, v23
	v_add_nc_u32_e32 v24, 1, v3
	s_delay_alu instid0(VALU_DEP_1)
	v_cndmask_b32_e32 v24, v3, v24, vcc_lo
.LBB31_59:                              ;   in Loop: Header=BB31_3 Depth=1
	s_or_b32 exec_lo, exec_lo, s0
	s_delay_alu instid0(VALU_DEP_1) | instskip(NEXT) | instid1(VALU_DEP_1)
	v_mad_nc_u64_u32 v[28:29], s80, v24, v[0:1]
	v_mad_u32 v3, s81, v24, v29
	s_delay_alu instid0(VALU_DEP_1) | instskip(SKIP_1) | instid1(VALU_DEP_2)
	v_mad_u32 v29, s80, v25, v3
	v_mul_u64_e32 v[24:25], s[28:29], v[24:25]
	v_mul_u64_e32 v[28:29], s[30:31], v[28:29]
	s_delay_alu instid0(VALU_DEP_2) | instskip(NEXT) | instid1(VALU_DEP_1)
	v_lshl_add_u64 v[24:25], v[24:25], 1, s[44:45]
	v_lshl_add_u64 v[24:25], v[28:29], 1, v[24:25]
	global_load_u16 v3, v[24:25], off
	s_wait_loadcnt 0x0
	s_wait_xcnt 0x0
	v_lshlrev_b32_e32 v25, 16, v3
	s_branch .LBB31_64
.LBB31_60:                              ;   in Loop: Header=BB31_3 Depth=1
	s_ashr_i32 s82, s59, 31
	v_dual_mov_b32 v25, v2 :: v_dual_ashrrev_i32 v20, 31, v1
	s_mov_b32 s83, s82
	s_delay_alu instid0(SALU_CYCLE_1) | instskip(NEXT) | instid1(VALU_DEP_1)
	s_add_nc_u64 s[84:85], s[58:59], s[82:83]
	v_mov_b32_e32 v21, v20
	s_xor_b64 s[84:85], s[84:85], s[82:83]
	s_delay_alu instid0(SALU_CYCLE_1)
	s_cvt_f32_u32 s0, s84
	s_cvt_f32_u32 s2, s85
	s_sub_nc_u64 s[92:93], 0, s[84:85]
	v_add_nc_u64_e32 v[22:23], v[0:1], v[20:21]
	v_mov_b32_e32 v37, v2
	s_fmamk_f32 s0, s2, 0x4f800000, s0
	s_delay_alu instid0(SALU_CYCLE_3) | instskip(NEXT) | instid1(VALU_DEP_2)
	v_s_rcp_f32 s0, s0
	v_xor_b32_e32 v24, v22, v20
	s_delay_alu instid0(VALU_DEP_3) | instskip(NEXT) | instid1(TRANS32_DEP_1)
	v_dual_mov_b32 v41, v2 :: v_dual_bitop2_b32 v36, v23, v20 bitop3:0x14
	s_mul_f32 s0, s0, 0x5f7ffffc
	s_delay_alu instid0(SALU_CYCLE_3) | instskip(NEXT) | instid1(SALU_CYCLE_3)
	s_mul_f32 s2, s0, 0x2f800000
	s_trunc_f32 s2, s2
	s_delay_alu instid0(SALU_CYCLE_3) | instskip(SKIP_1) | instid1(SALU_CYCLE_2)
	s_fmamk_f32 s0, s2, 0xcf800000, s0
	s_cvt_u32_f32 s91, s2
	s_cvt_u32_f32 s90, s0
	s_delay_alu instid0(SALU_CYCLE_3) | instskip(NEXT) | instid1(SALU_CYCLE_1)
	s_mul_u64 s[94:95], s[92:93], s[90:91]
	s_mul_hi_u32 s97, s90, s95
	s_mul_i32 s96, s90, s95
	s_mul_hi_u32 s2, s90, s94
	s_mul_i32 s83, s91, s94
	s_add_nc_u64 s[96:97], s[2:3], s[96:97]
	s_mul_hi_u32 s0, s91, s94
	s_mul_hi_u32 s89, s91, s95
	s_add_co_u32 s2, s96, s83
	s_add_co_ci_u32 s2, s97, s0
	s_mul_i32 s94, s91, s95
	s_add_co_ci_u32 s95, s89, 0
	s_delay_alu instid0(SALU_CYCLE_1) | instskip(NEXT) | instid1(SALU_CYCLE_1)
	s_add_nc_u64 s[94:95], s[2:3], s[94:95]
	s_add_co_u32 s90, s90, s94
	s_cselect_b32 s0, -1, 0
	s_delay_alu instid0(SALU_CYCLE_1) | instskip(SKIP_1) | instid1(SALU_CYCLE_1)
	s_cmp_lg_u32 s0, 0
	s_add_co_ci_u32 s91, s91, s95
	s_mul_u64 s[92:93], s[92:93], s[90:91]
	s_delay_alu instid0(SALU_CYCLE_1)
	s_mul_hi_u32 s95, s90, s93
	s_mul_i32 s94, s90, s93
	s_mul_hi_u32 s2, s90, s92
	s_mul_i32 s83, s91, s92
	s_add_nc_u64 s[94:95], s[2:3], s[94:95]
	s_mul_hi_u32 s0, s91, s92
	s_mul_hi_u32 s89, s91, s93
	s_add_co_u32 s2, s94, s83
	s_add_co_ci_u32 s2, s95, s0
	s_mul_i32 s92, s91, s93
	s_add_co_ci_u32 s93, s89, 0
	s_delay_alu instid0(SALU_CYCLE_1) | instskip(NEXT) | instid1(SALU_CYCLE_1)
	s_add_nc_u64 s[92:93], s[2:3], s[92:93]
	s_add_co_u32 s0, s90, s92
	s_cselect_b32 s2, -1, 0
	v_mul_hi_u32 v40, v24, s0
	s_cmp_lg_u32 s2, 0
	s_add_co_ci_u32 s2, s91, s93
	s_and_b64 s[90:91], s[0:1], s[76:77]
	v_mul_u64_e32 v[28:29], s[2:3], v[24:25]
	v_mul_u64_e32 v[22:23], s[90:91], v[36:37]
	;; [unrolled: 1-line block ×3, first 2 shown]
	s_delay_alu instid0(VALU_DEP_3) | instskip(NEXT) | instid1(VALU_DEP_1)
	v_add_nc_u64_e32 v[28:29], v[40:41], v[28:29]
	v_add_co_u32 v3, vcc_lo, v28, v22
	s_delay_alu instid0(VALU_DEP_2) | instskip(NEXT) | instid1(VALU_DEP_4)
	v_add_co_ci_u32_e32 v40, vcc_lo, v29, v23, vcc_lo
	v_add_co_ci_u32_e32 v39, vcc_lo, 0, v39, vcc_lo
	s_delay_alu instid0(VALU_DEP_1) | instskip(NEXT) | instid1(VALU_DEP_1)
	v_add_nc_u64_e32 v[22:23], v[40:41], v[38:39]
	v_mul_u64_e32 v[28:29], s[84:85], v[22:23]
	s_delay_alu instid0(VALU_DEP_1) | instskip(NEXT) | instid1(VALU_DEP_2)
	v_sub_nc_u32_e32 v3, v36, v29
	v_sub_co_u32 v21, vcc_lo, v24, v28
	s_delay_alu instid0(VALU_DEP_1) | instskip(NEXT) | instid1(VALU_DEP_3)
	v_sub_co_ci_u32_e64 v35, null, v36, v29, vcc_lo
	v_subrev_co_ci_u32_e64 v3, null, s85, v3, vcc_lo
	s_delay_alu instid0(VALU_DEP_3) | instskip(SKIP_1) | instid1(VALU_DEP_3)
	v_sub_co_u32 v24, s0, v21, s84
	v_add_nc_u64_e32 v[28:29], 1, v[22:23]
	v_subrev_co_ci_u32_e64 v3, null, 0, v3, s0
	s_delay_alu instid0(VALU_DEP_3) | instskip(SKIP_1) | instid1(VALU_DEP_3)
	v_cmp_le_u32_e32 vcc_lo, s84, v24
	v_cndmask_b32_e64 v24, 0, -1, vcc_lo
	v_cmp_le_u32_e32 vcc_lo, s85, v3
	v_cndmask_b32_e64 v25, 0, -1, vcc_lo
	;; [unrolled: 2-line block ×4, first 2 shown]
	v_cmp_eq_u32_e32 vcc_lo, s85, v3
	v_cndmask_b32_e32 v3, v25, v24, vcc_lo
	v_cmp_eq_u32_e32 vcc_lo, s85, v35
	v_add_nc_u64_e32 v[24:25], 2, v[22:23]
	v_cndmask_b32_e32 v21, v36, v21, vcc_lo
	s_delay_alu instid0(VALU_DEP_4) | instskip(NEXT) | instid1(VALU_DEP_2)
	v_cmp_ne_u32_e32 vcc_lo, 0, v3
	v_cmp_ne_u32_e64 s0, 0, v21
	s_delay_alu instid0(VALU_DEP_4) | instskip(NEXT) | instid1(VALU_DEP_1)
	v_dual_cndmask_b32 v3, v29, v25, vcc_lo :: v_dual_cndmask_b32 v21, v28, v24, vcc_lo
	v_dual_cndmask_b32 v3, v23, v3, s0 :: v_dual_bitop2_b32 v20, s82, v20 bitop3:0x14
	s_delay_alu instid0(VALU_DEP_1) | instskip(NEXT) | instid1(VALU_DEP_2)
	v_dual_cndmask_b32 v22, v22, v21, s0 :: v_dual_mov_b32 v21, v20
	v_xor_b32_e32 v23, v3, v20
	s_delay_alu instid0(VALU_DEP_2) | instskip(NEXT) | instid1(VALU_DEP_1)
	v_xor_b32_e32 v22, v22, v20
	v_sub_nc_u64_e32 v[20:21], v[22:23], v[20:21]
	s_and_not1_saveexec_b32 s0, s88
	s_cbranch_execz .LBB31_49
.LBB31_61:                              ;   in Loop: Header=BB31_3 Depth=1
	v_cvt_f32_u32_e32 v3, s58
	s_sub_co_i32 s2, 0, s58
	s_delay_alu instid0(VALU_DEP_1) | instskip(SKIP_1) | instid1(TRANS32_DEP_1)
	v_rcp_iflag_f32_e32 v3, v3
	v_nop
	v_mul_f32_e32 v3, 0x4f7ffffe, v3
	s_delay_alu instid0(VALU_DEP_1) | instskip(NEXT) | instid1(VALU_DEP_1)
	v_cvt_u32_f32_e32 v3, v3
	v_mul_lo_u32 v20, s2, v3
	s_delay_alu instid0(VALU_DEP_1) | instskip(NEXT) | instid1(VALU_DEP_1)
	v_mul_hi_u32 v20, v3, v20
	v_add_nc_u32_e32 v3, v3, v20
	s_delay_alu instid0(VALU_DEP_1) | instskip(NEXT) | instid1(VALU_DEP_1)
	v_mul_hi_u32 v3, v0, v3
	v_mul_lo_u32 v20, v3, s58
	s_delay_alu instid0(VALU_DEP_1) | instskip(NEXT) | instid1(VALU_DEP_1)
	v_dual_add_nc_u32 v21, 1, v3 :: v_dual_sub_nc_u32 v20, v0, v20
	v_subrev_nc_u32_e32 v22, s58, v20
	v_cmp_le_u32_e32 vcc_lo, s58, v20
	s_delay_alu instid0(VALU_DEP_2) | instskip(NEXT) | instid1(VALU_DEP_1)
	v_dual_cndmask_b32 v20, v20, v22 :: v_dual_cndmask_b32 v3, v3, v21
	v_cmp_le_u32_e32 vcc_lo, s58, v20
	s_delay_alu instid0(VALU_DEP_2) | instskip(NEXT) | instid1(VALU_DEP_1)
	v_add_nc_u32_e32 v21, 1, v3
	v_dual_cndmask_b32 v20, v3, v21 :: v_dual_mov_b32 v21, v2
	s_or_b32 exec_lo, exec_lo, s0
	s_delay_alu instid0(SALU_CYCLE_1)
	s_and_not1_b32 vcc_lo, exec_lo, s1
	s_cbranch_vccz .LBB31_50
.LBB31_62:                              ;   in Loop: Header=BB31_3 Depth=1
	v_mov_b32_e32 v22, 0
	s_and_not1_b32 vcc_lo, exec_lo, s33
	s_cbranch_vccz .LBB31_55
.LBB31_63:                              ;   in Loop: Header=BB31_3 Depth=1
	v_mov_b32_e32 v25, 0
.LBB31_64:                              ;   in Loop: Header=BB31_3 Depth=1
	s_wait_loadcnt 0x0
	v_lshlrev_b32_e32 v3, 16, v27
                                        ; implicit-def: $vgpr23
	s_delay_alu instid0(VALU_DEP_1) | instskip(SKIP_1) | instid1(SALU_CYCLE_1)
	v_cmp_ngt_f32_e64 s0, 0x3f200000, |v3|
	s_and_saveexec_b32 s2, s0
	s_xor_b32 s0, exec_lo, s2
	s_cbranch_execz .LBB31_66
; %bb.65:                               ;   in Loop: Header=BB31_3 Depth=1
	v_add_f32_e64 v23, |v3|, |v3|
	s_delay_alu instid0(VALU_DEP_1) | instskip(SKIP_1) | instid1(VALU_DEP_2)
	v_mul_f32_e32 v24, 0x3fb8aa3b, v23
	v_cmp_ngt_f32_e32 vcc_lo, 0xc2ce8ed0, v23
	v_rndne_f32_e32 v27, v24
	v_fma_f32 v28, 0x3fb8aa3b, v23, -v24
	s_delay_alu instid0(VALU_DEP_2) | instskip(NEXT) | instid1(VALU_DEP_2)
	v_sub_f32_e32 v24, v24, v27
	v_fmac_f32_e32 v28, 0x32a5705f, v23
	v_cvt_i32_f32_e32 v27, v27
	s_delay_alu instid0(VALU_DEP_2) | instskip(NEXT) | instid1(VALU_DEP_1)
	v_add_f32_e32 v24, v24, v28
	v_exp_f32_e32 v24, v24
	v_nop
	s_delay_alu instid0(TRANS32_DEP_1) | instskip(NEXT) | instid1(VALU_DEP_1)
	v_ldexp_f32 v24, v24, v27
	v_cndmask_b32_e32 v24, 0, v24, vcc_lo
	v_cmp_nlt_f32_e32 vcc_lo, 0x42b17218, v23
	s_delay_alu instid0(VALU_DEP_2) | instskip(NEXT) | instid1(VALU_DEP_1)
	v_cndmask_b32_e32 v23, 0x7f800000, v24, vcc_lo
	v_add_f32_e32 v23, 1.0, v23
	s_delay_alu instid0(VALU_DEP_1) | instskip(SKIP_1) | instid1(TRANS32_DEP_1)
	v_rcp_f32_e32 v23, v23
	v_nop
	v_fma_f32 v23, v23, -2.0, 1.0
.LBB31_66:                              ;   in Loop: Header=BB31_3 Depth=1
	s_and_not1_saveexec_b32 s0, s0
	s_cbranch_execz .LBB31_2
; %bb.67:                               ;   in Loop: Header=BB31_3 Depth=1
	v_mul_f32_e32 v23, v3, v3
	s_delay_alu instid0(VALU_DEP_1) | instskip(NEXT) | instid1(VALU_DEP_1)
	v_fmaak_f32 v24, s86, v23, 0x3ca908c9
	v_fmaak_f32 v24, v23, v24, 0xbd5c1c4e
	s_delay_alu instid0(VALU_DEP_1) | instskip(NEXT) | instid1(VALU_DEP_1)
	v_fmaak_f32 v24, v23, v24, 0x3e088382
	v_fmaak_f32 v24, v23, v24, 0xbeaaaa99
	s_delay_alu instid0(VALU_DEP_1) | instskip(NEXT) | instid1(VALU_DEP_1)
	v_mul_f32_e64 v24, |v3|, v24
	v_fma_f32 v23, v23, v24, |v3|
	s_branch .LBB31_2
.LBB31_68:
	s_endpgm
	.section	.rodata,"a",@progbits
	.p2align	6, 0x0
	.amdhsa_kernel _ZN2at6native12_GLOBAL__N_16kernel18lstm_cell_backwardIN3c108BFloat16EflLi2EEEvNS_4cuda6detail10TensorInfoIT_T1_EESB_SB_SB_SB_SB_SB_SA_SA_
		.amdhsa_group_segment_fixed_size 0
		.amdhsa_private_segment_fixed_size 0
		.amdhsa_kernarg_size 3184
		.amdhsa_user_sgpr_count 2
		.amdhsa_user_sgpr_dispatch_ptr 0
		.amdhsa_user_sgpr_queue_ptr 0
		.amdhsa_user_sgpr_kernarg_segment_ptr 1
		.amdhsa_user_sgpr_dispatch_id 0
		.amdhsa_user_sgpr_kernarg_preload_length 0
		.amdhsa_user_sgpr_kernarg_preload_offset 0
		.amdhsa_user_sgpr_private_segment_size 0
		.amdhsa_wavefront_size32 1
		.amdhsa_uses_dynamic_stack 0
		.amdhsa_enable_private_segment 0
		.amdhsa_system_sgpr_workgroup_id_x 1
		.amdhsa_system_sgpr_workgroup_id_y 0
		.amdhsa_system_sgpr_workgroup_id_z 0
		.amdhsa_system_sgpr_workgroup_info 0
		.amdhsa_system_vgpr_workitem_id 0
		.amdhsa_next_free_vgpr 46
		.amdhsa_next_free_sgpr 98
		.amdhsa_named_barrier_count 0
		.amdhsa_reserve_vcc 1
		.amdhsa_float_round_mode_32 0
		.amdhsa_float_round_mode_16_64 0
		.amdhsa_float_denorm_mode_32 3
		.amdhsa_float_denorm_mode_16_64 3
		.amdhsa_fp16_overflow 0
		.amdhsa_memory_ordered 1
		.amdhsa_forward_progress 1
		.amdhsa_inst_pref_size 97
		.amdhsa_round_robin_scheduling 0
		.amdhsa_exception_fp_ieee_invalid_op 0
		.amdhsa_exception_fp_denorm_src 0
		.amdhsa_exception_fp_ieee_div_zero 0
		.amdhsa_exception_fp_ieee_overflow 0
		.amdhsa_exception_fp_ieee_underflow 0
		.amdhsa_exception_fp_ieee_inexact 0
		.amdhsa_exception_int_div_zero 0
	.end_amdhsa_kernel
	.section	.text._ZN2at6native12_GLOBAL__N_16kernel18lstm_cell_backwardIN3c108BFloat16EflLi2EEEvNS_4cuda6detail10TensorInfoIT_T1_EESB_SB_SB_SB_SB_SB_SA_SA_,"axG",@progbits,_ZN2at6native12_GLOBAL__N_16kernel18lstm_cell_backwardIN3c108BFloat16EflLi2EEEvNS_4cuda6detail10TensorInfoIT_T1_EESB_SB_SB_SB_SB_SB_SA_SA_,comdat
.Lfunc_end31:
	.size	_ZN2at6native12_GLOBAL__N_16kernel18lstm_cell_backwardIN3c108BFloat16EflLi2EEEvNS_4cuda6detail10TensorInfoIT_T1_EESB_SB_SB_SB_SB_SB_SA_SA_, .Lfunc_end31-_ZN2at6native12_GLOBAL__N_16kernel18lstm_cell_backwardIN3c108BFloat16EflLi2EEEvNS_4cuda6detail10TensorInfoIT_T1_EESB_SB_SB_SB_SB_SB_SA_SA_
                                        ; -- End function
	.set _ZN2at6native12_GLOBAL__N_16kernel18lstm_cell_backwardIN3c108BFloat16EflLi2EEEvNS_4cuda6detail10TensorInfoIT_T1_EESB_SB_SB_SB_SB_SB_SA_SA_.num_vgpr, 46
	.set _ZN2at6native12_GLOBAL__N_16kernel18lstm_cell_backwardIN3c108BFloat16EflLi2EEEvNS_4cuda6detail10TensorInfoIT_T1_EESB_SB_SB_SB_SB_SB_SA_SA_.num_agpr, 0
	.set _ZN2at6native12_GLOBAL__N_16kernel18lstm_cell_backwardIN3c108BFloat16EflLi2EEEvNS_4cuda6detail10TensorInfoIT_T1_EESB_SB_SB_SB_SB_SB_SA_SA_.numbered_sgpr, 98
	.set _ZN2at6native12_GLOBAL__N_16kernel18lstm_cell_backwardIN3c108BFloat16EflLi2EEEvNS_4cuda6detail10TensorInfoIT_T1_EESB_SB_SB_SB_SB_SB_SA_SA_.num_named_barrier, 0
	.set _ZN2at6native12_GLOBAL__N_16kernel18lstm_cell_backwardIN3c108BFloat16EflLi2EEEvNS_4cuda6detail10TensorInfoIT_T1_EESB_SB_SB_SB_SB_SB_SA_SA_.private_seg_size, 0
	.set _ZN2at6native12_GLOBAL__N_16kernel18lstm_cell_backwardIN3c108BFloat16EflLi2EEEvNS_4cuda6detail10TensorInfoIT_T1_EESB_SB_SB_SB_SB_SB_SA_SA_.uses_vcc, 1
	.set _ZN2at6native12_GLOBAL__N_16kernel18lstm_cell_backwardIN3c108BFloat16EflLi2EEEvNS_4cuda6detail10TensorInfoIT_T1_EESB_SB_SB_SB_SB_SB_SA_SA_.uses_flat_scratch, 0
	.set _ZN2at6native12_GLOBAL__N_16kernel18lstm_cell_backwardIN3c108BFloat16EflLi2EEEvNS_4cuda6detail10TensorInfoIT_T1_EESB_SB_SB_SB_SB_SB_SA_SA_.has_dyn_sized_stack, 0
	.set _ZN2at6native12_GLOBAL__N_16kernel18lstm_cell_backwardIN3c108BFloat16EflLi2EEEvNS_4cuda6detail10TensorInfoIT_T1_EESB_SB_SB_SB_SB_SB_SA_SA_.has_recursion, 0
	.set _ZN2at6native12_GLOBAL__N_16kernel18lstm_cell_backwardIN3c108BFloat16EflLi2EEEvNS_4cuda6detail10TensorInfoIT_T1_EESB_SB_SB_SB_SB_SB_SA_SA_.has_indirect_call, 0
	.section	.AMDGPU.csdata,"",@progbits
; Kernel info:
; codeLenInByte = 12328
; TotalNumSgprs: 100
; NumVgprs: 46
; ScratchSize: 0
; MemoryBound: 0
; FloatMode: 240
; IeeeMode: 1
; LDSByteSize: 0 bytes/workgroup (compile time only)
; SGPRBlocks: 0
; VGPRBlocks: 2
; NumSGPRsForWavesPerEU: 100
; NumVGPRsForWavesPerEU: 46
; NamedBarCnt: 0
; Occupancy: 16
; WaveLimiterHint : 1
; COMPUTE_PGM_RSRC2:SCRATCH_EN: 0
; COMPUTE_PGM_RSRC2:USER_SGPR: 2
; COMPUTE_PGM_RSRC2:TRAP_HANDLER: 0
; COMPUTE_PGM_RSRC2:TGID_X_EN: 1
; COMPUTE_PGM_RSRC2:TGID_Y_EN: 0
; COMPUTE_PGM_RSRC2:TGID_Z_EN: 0
; COMPUTE_PGM_RSRC2:TIDIG_COMP_CNT: 0
	.section	.text._ZN2at6native12_GLOBAL__N_16kernel16gru_cell_forwardIddiLi1EEEvNS_4cuda6detail10TensorInfoIT_T1_EES9_S9_S9_S9_S9_S9_S8_S8_,"axG",@progbits,_ZN2at6native12_GLOBAL__N_16kernel16gru_cell_forwardIddiLi1EEEvNS_4cuda6detail10TensorInfoIT_T1_EES9_S9_S9_S9_S9_S9_S8_S8_,comdat
	.globl	_ZN2at6native12_GLOBAL__N_16kernel16gru_cell_forwardIddiLi1EEEvNS_4cuda6detail10TensorInfoIT_T1_EES9_S9_S9_S9_S9_S9_S8_S8_ ; -- Begin function _ZN2at6native12_GLOBAL__N_16kernel16gru_cell_forwardIddiLi1EEEvNS_4cuda6detail10TensorInfoIT_T1_EES9_S9_S9_S9_S9_S9_S8_S8_
	.p2align	8
	.type	_ZN2at6native12_GLOBAL__N_16kernel16gru_cell_forwardIddiLi1EEEvNS_4cuda6detail10TensorInfoIT_T1_EES9_S9_S9_S9_S9_S9_S8_S8_,@function
_ZN2at6native12_GLOBAL__N_16kernel16gru_cell_forwardIddiLi1EEEvNS_4cuda6detail10TensorInfoIT_T1_EES9_S9_S9_S9_S9_S9_S8_S8_: ; @_ZN2at6native12_GLOBAL__N_16kernel16gru_cell_forwardIddiLi1EEEvNS_4cuda6detail10TensorInfoIT_T1_EES9_S9_S9_S9_S9_S9_S8_S8_
; %bb.0:
	s_clause 0x1
	s_load_b32 s4, s[0:1], 0x5fc
	s_load_b64 s[2:3], s[0:1], 0x5e8
	s_bfe_u32 s5, ttmp6, 0x4000c
	s_and_b32 s6, ttmp6, 15
	s_add_co_i32 s5, s5, 1
	s_getreg_b32 s7, hwreg(HW_REG_IB_STS2, 6, 4)
	s_mul_i32 s5, ttmp9, s5
	s_delay_alu instid0(SALU_CYCLE_1)
	s_add_co_i32 s6, s6, s5
	s_wait_kmcnt 0x0
	s_and_b32 s4, s4, 0xffff
	s_cmp_eq_u32 s7, 0
	s_cselect_b32 s5, ttmp9, s6
	s_mov_b32 s6, exec_lo
	v_mad_u32 v30, s5, s4, v0
	s_mov_b32 s5, 0
	s_delay_alu instid0(VALU_DEP_1)
	v_cmpx_gt_i32_e64 s3, v30
	s_cbranch_execz .LBB32_6
; %bb.1:
	s_clause 0x7
	s_load_b64 s[6:7], s[0:1], 0x1b0
	s_load_b32 s26, s[0:1], 0x21c
	s_load_b64 s[8:9], s[0:1], 0x288
	s_load_b32 s27, s[0:1], 0x2f4
	;; [unrolled: 2-line block ×4, first 2 shown]
	s_add_nc_u64 s[14:15], s[0:1], 0x5f0
	v_mov_b64_e32 v[2:3], 0x3e928af3fca7ab0c
	s_load_b32 s34, s[14:15], 0x0
	s_wait_xcnt 0x0
	s_clause 0x5
	s_load_b64 s[14:15], s[0:1], 0x0
	s_load_b32 s30, s[0:1], 0x6c
	s_load_b64 s[16:17], s[0:1], 0xd8
	s_load_b32 s31, s[0:1], 0x144
	;; [unrolled: 2-line block ×3, first 2 shown]
	v_mov_b32_e32 v1, 0
	s_mov_b64 s[22:23], 0x3ff71547652b82fe
	s_mov_b64 s[24:25], 0xbfe62e42fefa3000
	s_mov_b32 s40, s5
                                        ; implicit-def: $vgpr4_vgpr5
                                        ; implicit-def: $vgpr4_vgpr5
	;; [unrolled: 1-line block ×8, first 2 shown]
	s_wait_kmcnt 0x0
	v_mul_lo_u32 v31, v30, s38
	s_cmp_lg_u64 s[6:7], 0
	v_mul_lo_u32 v32, v30, s39
	s_cselect_b32 s28, -1, 0
	s_abs_i32 s29, s2
	s_mul_i32 s1, s34, s4
	s_cvt_f32_u32 s20, s29
	s_sub_co_i32 s4, 0, s29
	s_ashr_i32 s34, s2, 31
	s_lshl_b32 s35, s2, 1
	v_rcp_iflag_f32_e32 v0, s20
	s_mov_b64 s[20:21], 0xbfe62e42fefa39ef
	s_lshl_b32 s36, s2, 2
	s_sub_co_i32 s37, 0, s2
	s_mul_i32 s38, s1, s38
	s_mul_i32 s39, s1, s39
	v_nop
	v_readfirstlane_b32 s0, v0
	s_mul_f32 s0, s0, 0x4f7ffffe
	s_delay_alu instid0(SALU_CYCLE_3) | instskip(NEXT) | instid1(SALU_CYCLE_3)
	s_cvt_u32_f32 s0, s0
	s_mul_i32 s4, s4, s0
	s_delay_alu instid0(SALU_CYCLE_1) | instskip(NEXT) | instid1(SALU_CYCLE_1)
	s_mul_hi_u32 s4, s0, s4
	s_add_co_i32 s4, s0, s4
	s_branch .LBB32_4
.LBB32_2:                               ;   in Loop: Header=BB32_4 Depth=1
	s_wait_xcnt 0x6
	v_sub_nc_u32_e32 v14, v0, v33
	s_wait_xcnt 0x4
	v_mad_u32 v16, s37, v34, v30
	s_delay_alu instid0(VALU_DEP_2) | instskip(SKIP_1) | instid1(VALU_DEP_1)
	v_mul_lo_u32 v15, s2, v14
	v_add_nc_u32_e32 v14, 2, v14
	v_mad_u32 v14, s2, v14, v30
	s_delay_alu instid0(VALU_DEP_4) | instskip(SKIP_2) | instid1(VALU_DEP_1)
	v_mul_lo_u32 v35, v16, s26
	v_mul_lo_u32 v38, v16, s27
	v_add3_u32 v15, v15, s2, v30
	v_mul_lo_u32 v36, v15, s26
	v_mul_lo_u32 v37, v14, s26
	v_mul_lo_u32 v39, v15, s27
	v_mul_lo_u32 v40, v14, s27
	s_clause 0x2
	global_load_b64 v[28:29], v35, s[6:7] scale_offset
	global_load_b64 v[14:15], v36, s[6:7] scale_offset
	global_load_b64 v[18:19], v37, s[6:7] scale_offset
	s_clause 0x2
	global_load_b64 v[26:27], v38, s[8:9] scale_offset
	global_load_b64 v[16:17], v39, s[8:9] scale_offset
	;; [unrolled: 1-line block ×3, first 2 shown]
.LBB32_3:                               ;   in Loop: Header=BB32_4 Depth=1
	s_wait_loadcnt 0x3
	v_add_f64_e32 v[22:23], v[22:23], v[24:25]
	s_wait_loadcnt 0x2
	s_wait_xcnt 0x0
	v_dual_add_f64 v[6:7], v[6:7], v[8:9] :: v_dual_add_nc_u32 v31, s38, v31
	v_lshlrev_b32_e32 v0, 2, v0
	s_delay_alu instid0(VALU_DEP_3) | instskip(NEXT) | instid1(VALU_DEP_3)
	v_add_f64_e32 v[22:23], v[22:23], v[28:29]
	v_add_f64_e32 v[6:7], v[6:7], v[14:15]
	s_delay_alu instid0(VALU_DEP_2) | instskip(SKIP_1) | instid1(VALU_DEP_2)
	v_add_f64_e32 v[22:23], v[26:27], v[22:23]
	s_wait_loadcnt 0x1
	v_add_f64_e32 v[6:7], v[6:7], v[16:17]
	s_delay_alu instid0(VALU_DEP_2) | instskip(NEXT) | instid1(VALU_DEP_2)
	v_mul_f64_e32 v[24:25], 0xbff71547652b82fe, v[22:23]
	v_mul_f64_e32 v[16:17], 0xbff71547652b82fe, v[6:7]
	s_delay_alu instid0(VALU_DEP_2) | instskip(NEXT) | instid1(VALU_DEP_2)
	v_rndne_f64_e32 v[24:25], v[24:25]
	v_rndne_f64_e32 v[16:17], v[16:17]
	s_delay_alu instid0(VALU_DEP_2) | instskip(SKIP_1) | instid1(VALU_DEP_2)
	v_fma_f64 v[26:27], v[24:25], s[20:21], -v[22:23]
	v_cvt_i32_f64_e32 v35, v[24:25]
	v_fmac_f64_e32 v[26:27], 0xbc7abc9e3b39803f, v[24:25]
	s_delay_alu instid0(VALU_DEP_1) | instskip(NEXT) | instid1(VALU_DEP_1)
	v_fmamk_f64 v[28:29], v[26:27], 0x3e5ade156a5dcb37, v[2:3]
	v_fmaak_f64 v[28:29], v[26:27], v[28:29], 0x3ec71dee623fde64
	s_delay_alu instid0(VALU_DEP_1) | instskip(NEXT) | instid1(VALU_DEP_1)
	v_fmaak_f64 v[28:29], v[26:27], v[28:29], 0x3efa01997c89e6b0
	v_fmaak_f64 v[28:29], v[26:27], v[28:29], 0x3f2a01a014761f6e
	s_delay_alu instid0(VALU_DEP_1) | instskip(NEXT) | instid1(VALU_DEP_1)
	v_fmaak_f64 v[28:29], v[26:27], v[28:29], 0x3f56c16c1852b7b0
	;; [unrolled: 3-line block ×4, first 2 shown]
	v_fma_f64 v[28:29], v[26:27], v[28:29], 1.0
	s_delay_alu instid0(VALU_DEP_1) | instskip(NEXT) | instid1(VALU_DEP_1)
	v_fma_f64 v[24:25], v[26:27], v[28:29], 1.0
	v_ldexp_f64 v[24:25], v[24:25], v35
	s_delay_alu instid0(VALU_DEP_1) | instskip(NEXT) | instid1(VALU_DEP_1)
	v_add_f64_e32 v[24:25], 1.0, v[24:25]
	v_div_scale_f64 v[26:27], null, v[24:25], v[24:25], 1.0
	v_div_scale_f64 v[38:39], vcc_lo, 1.0, v[24:25], 1.0
	s_delay_alu instid0(VALU_DEP_2) | instskip(SKIP_1) | instid1(TRANS32_DEP_1)
	v_rcp_f64_e32 v[28:29], v[26:27]
	v_nop
	v_fma_f64 v[36:37], -v[26:27], v[28:29], 1.0
	s_delay_alu instid0(VALU_DEP_1) | instskip(NEXT) | instid1(VALU_DEP_1)
	v_fmac_f64_e32 v[28:29], v[28:29], v[36:37]
	v_fma_f64 v[36:37], -v[26:27], v[28:29], 1.0
	s_delay_alu instid0(VALU_DEP_1) | instskip(NEXT) | instid1(VALU_DEP_1)
	v_fmac_f64_e32 v[28:29], v[28:29], v[36:37]
	v_mul_f64_e32 v[36:37], v[38:39], v[28:29]
	s_delay_alu instid0(VALU_DEP_1) | instskip(NEXT) | instid1(VALU_DEP_1)
	v_fma_f64 v[26:27], -v[26:27], v[36:37], v[38:39]
	v_div_fmas_f64 v[26:27], v[26:27], v[28:29], v[36:37]
	v_cmp_ngt_f64_e32 vcc_lo, 0xc0900000, v[22:23]
	s_delay_alu instid0(VALU_DEP_2) | instskip(NEXT) | instid1(VALU_DEP_1)
	v_div_fixup_f64 v[24:25], v[26:27], v[24:25], 1.0
	v_cndmask_b32_e32 v25, 0, v25, vcc_lo
	v_cmp_nlt_f64_e64 s0, 0x4090cc00, v[22:23]
	s_and_b32 vcc_lo, s0, vcc_lo
	v_add_f64_e32 v[18:19], v[10:11], v[18:19]
	s_wait_loadcnt 0x0
	v_add_f64_e32 v[10:11], v[12:13], v[20:21]
	v_cndmask_b32_e64 v13, 0x3ff00000, v25, s0
	v_cndmask_b32_e32 v12, 0, v24, vcc_lo
	s_delay_alu instid0(VALU_DEP_1) | instskip(NEXT) | instid1(VALU_DEP_1)
	v_fmac_f64_e32 v[18:19], v[10:11], v[12:13]
	v_mul_f64_e64 v[20:21], |v[18:19]|, s[22:23]
	v_cmp_nlt_f64_e64 s0, 0x40331000, |v[18:19]|
	s_delay_alu instid0(VALU_DEP_2) | instskip(NEXT) | instid1(VALU_DEP_1)
	v_rndne_f64_e32 v[20:21], v[20:21]
	v_fma_f64 v[22:23], v[20:21], s[24:25], |v[18:19]|
	v_mul_f64_e32 v[24:25], 0xbd53de6af278e000, v[20:21]
	v_cvt_i32_f64_e32 v35, v[20:21]
	s_delay_alu instid0(VALU_DEP_3) | instskip(NEXT) | instid1(VALU_DEP_1)
	v_add_f64_e32 v[26:27], 0, v[22:23]
	v_add_f64_e32 v[28:29], v[26:27], v[24:25]
	v_add_f64_e64 v[22:23], v[22:23], -v[26:27]
	s_delay_alu instid0(VALU_DEP_2) | instskip(NEXT) | instid1(VALU_DEP_2)
	v_add_f64_e64 v[26:27], v[26:27], -v[28:29]
	v_add_f64_e32 v[22:23], 0, v[22:23]
	s_delay_alu instid0(VALU_DEP_2) | instskip(NEXT) | instid1(VALU_DEP_1)
	v_add_f64_e32 v[24:25], v[26:27], v[24:25]
	v_add_f64_e32 v[22:23], v[22:23], v[24:25]
	v_mul_f64_e32 v[24:25], 0xbac9cc01f97b57a0, v[20:21]
	s_delay_alu instid0(VALU_DEP_2) | instskip(NEXT) | instid1(VALU_DEP_1)
	v_add_f64_e32 v[26:27], v[28:29], v[22:23]
	v_add_f64_e32 v[36:37], v[26:27], v[24:25]
	v_add_f64_e64 v[28:29], v[28:29], -v[26:27]
	s_delay_alu instid0(VALU_DEP_2) | instskip(NEXT) | instid1(VALU_DEP_2)
	v_add_f64_e64 v[26:27], v[26:27], -v[36:37]
	v_add_f64_e32 v[22:23], v[22:23], v[28:29]
	s_delay_alu instid0(VALU_DEP_2) | instskip(NEXT) | instid1(VALU_DEP_1)
	v_add_f64_e32 v[24:25], v[26:27], v[24:25]
	v_add_f64_e32 v[22:23], v[22:23], v[24:25]
	s_delay_alu instid0(VALU_DEP_1) | instskip(NEXT) | instid1(VALU_DEP_1)
	v_add_f64_e32 v[24:25], v[36:37], v[22:23]
	v_add_f64_e64 v[26:27], v[36:37], -v[24:25]
	v_mul_f64_e32 v[28:29], v[24:25], v[24:25]
	s_delay_alu instid0(VALU_DEP_2) | instskip(NEXT) | instid1(VALU_DEP_2)
	v_add_f64_e32 v[22:23], v[22:23], v[26:27]
	v_fma_f64 v[26:27], v[24:25], v[24:25], -v[28:29]
	s_delay_alu instid0(VALU_DEP_2) | instskip(NEXT) | instid1(VALU_DEP_1)
	v_add_f64_e32 v[36:37], v[22:23], v[22:23]
	v_fmac_f64_e32 v[26:27], v[24:25], v[36:37]
	v_fmamk_f64 v[36:37], v[24:25], 0x3e5ade156a5dcb37, v[2:3]
	s_delay_alu instid0(VALU_DEP_1) | instskip(NEXT) | instid1(VALU_DEP_1)
	v_fmaak_f64 v[36:37], v[24:25], v[36:37], 0x3ec71dee623fde64
	v_fmaak_f64 v[36:37], v[24:25], v[36:37], 0x3efa01997c89e6b0
	s_delay_alu instid0(VALU_DEP_1) | instskip(NEXT) | instid1(VALU_DEP_1)
	v_fmaak_f64 v[36:37], v[24:25], v[36:37], 0x3f2a01a014761f6e
	v_fmaak_f64 v[36:37], v[24:25], v[36:37], 0x3f56c16c1852b7b0
	v_add_f64_e32 v[38:39], v[28:29], v[26:27]
	s_delay_alu instid0(VALU_DEP_2) | instskip(NEXT) | instid1(VALU_DEP_1)
	v_fmaak_f64 v[36:37], v[24:25], v[36:37], 0x3f81111111122322
	v_fmaak_f64 v[36:37], v[24:25], v[36:37], 0x3fa55555555502a1
	s_delay_alu instid0(VALU_DEP_1) | instskip(NEXT) | instid1(VALU_DEP_1)
	v_fmaak_f64 v[36:37], v[24:25], v[36:37], 0x3fc5555555555511
	v_fmaak_f64 v[36:37], v[24:25], v[36:37], 0x3fe000000000000b
	v_add_f64_e64 v[28:29], v[38:39], -v[28:29]
	s_delay_alu instid0(VALU_DEP_2) | instskip(NEXT) | instid1(VALU_DEP_2)
	v_mul_f64_e32 v[40:41], v[38:39], v[36:37]
	v_add_f64_e64 v[26:27], v[26:27], -v[28:29]
	s_delay_alu instid0(VALU_DEP_2) | instskip(NEXT) | instid1(VALU_DEP_1)
	v_fma_f64 v[28:29], v[38:39], v[36:37], -v[40:41]
	v_fmac_f64_e32 v[28:29], v[26:27], v[36:37]
	s_delay_alu instid0(VALU_DEP_1) | instskip(NEXT) | instid1(VALU_DEP_1)
	v_add_f64_e32 v[26:27], v[40:41], v[28:29]
	v_add_f64_e32 v[36:37], v[24:25], v[26:27]
	v_add_f64_e64 v[38:39], v[26:27], -v[40:41]
	s_delay_alu instid0(VALU_DEP_2) | instskip(NEXT) | instid1(VALU_DEP_2)
	v_add_f64_e64 v[24:25], v[36:37], -v[24:25]
	v_add_f64_e64 v[28:29], v[28:29], -v[38:39]
	s_delay_alu instid0(VALU_DEP_2) | instskip(NEXT) | instid1(VALU_DEP_2)
	v_add_f64_e64 v[24:25], v[26:27], -v[24:25]
	v_add_f64_e32 v[22:23], v[22:23], v[28:29]
	s_delay_alu instid0(VALU_DEP_1) | instskip(NEXT) | instid1(VALU_DEP_1)
	v_add_f64_e32 v[22:23], v[22:23], v[24:25]
	v_add_f64_e32 v[24:25], v[36:37], v[22:23]
	s_delay_alu instid0(VALU_DEP_1) | instskip(SKIP_1) | instid1(VALU_DEP_2)
	v_add_f64_e32 v[26:27], 1.0, v[24:25]
	v_add_f64_e64 v[28:29], v[24:25], -v[36:37]
	v_add_f64_e32 v[36:37], -1.0, v[26:27]
	s_delay_alu instid0(VALU_DEP_2) | instskip(NEXT) | instid1(VALU_DEP_2)
	v_add_f64_e64 v[22:23], v[22:23], -v[28:29]
	v_add_f64_e64 v[24:25], v[24:25], -v[36:37]
	s_delay_alu instid0(VALU_DEP_1) | instskip(NEXT) | instid1(VALU_DEP_1)
	v_add_f64_e32 v[22:23], v[22:23], v[24:25]
	v_add_f64_e32 v[20:21], v[26:27], v[22:23]
	s_delay_alu instid0(VALU_DEP_1) | instskip(SKIP_1) | instid1(VALU_DEP_2)
	v_ldexp_f64 v[24:25], v[20:21], v35
	v_add_f64_e64 v[20:21], v[20:21], -v[26:27]
	v_rcp_f64_e32 v[28:29], v[24:25]
	s_delay_alu instid0(VALU_DEP_1) | instskip(NEXT) | instid1(VALU_DEP_1)
	v_add_f64_e64 v[20:21], v[22:23], -v[20:21]
	v_ldexp_f64 v[20:21], v[20:21], v35
	v_cvt_i32_f64_e32 v35, v[16:17]
	s_delay_alu instid0(TRANS32_DEP_1) | instskip(NEXT) | instid1(VALU_DEP_1)
	v_fma_f64 v[36:37], -v[24:25], v[28:29], 1.0
	v_fmac_f64_e32 v[28:29], v[36:37], v[28:29]
	s_delay_alu instid0(VALU_DEP_1) | instskip(NEXT) | instid1(VALU_DEP_1)
	v_fma_f64 v[36:37], -v[24:25], v[28:29], 1.0
	v_fmac_f64_e32 v[28:29], v[36:37], v[28:29]
	s_delay_alu instid0(VALU_DEP_1) | instskip(NEXT) | instid1(VALU_DEP_1)
	v_mul_f64_e32 v[22:23], v[24:25], v[28:29]
	v_fma_f64 v[26:27], v[28:29], v[24:25], -v[22:23]
	s_delay_alu instid0(VALU_DEP_1) | instskip(NEXT) | instid1(VALU_DEP_1)
	v_fmac_f64_e32 v[26:27], v[28:29], v[20:21]
	v_add_f64_e32 v[36:37], v[22:23], v[26:27]
	s_delay_alu instid0(VALU_DEP_1) | instskip(SKIP_1) | instid1(VALU_DEP_2)
	v_add_f64_e64 v[38:39], -v[36:37], 1.0
	v_add_f64_e64 v[22:23], v[36:37], -v[22:23]
	v_add_f64_e64 v[40:41], -v[38:39], 1.0
	s_delay_alu instid0(VALU_DEP_2) | instskip(NEXT) | instid1(VALU_DEP_2)
	v_add_f64_e64 v[22:23], v[22:23], -v[26:27]
	v_add_f64_e64 v[26:27], v[40:41], -v[36:37]
	s_delay_alu instid0(VALU_DEP_1) | instskip(NEXT) | instid1(VALU_DEP_1)
	v_add_f64_e32 v[22:23], v[22:23], v[26:27]
	v_add_f64_e32 v[26:27], v[38:39], v[22:23]
	s_delay_alu instid0(VALU_DEP_1) | instskip(SKIP_1) | instid1(VALU_DEP_2)
	v_mul_f64_e32 v[36:37], v[28:29], v[26:27]
	v_add_f64_e64 v[38:39], v[38:39], -v[26:27]
	v_mul_f64_e32 v[40:41], v[24:25], v[36:37]
	s_delay_alu instid0(VALU_DEP_2) | instskip(NEXT) | instid1(VALU_DEP_2)
	v_add_f64_e32 v[22:23], v[22:23], v[38:39]
	v_fma_f64 v[42:43], v[36:37], v[24:25], -v[40:41]
	s_delay_alu instid0(VALU_DEP_1) | instskip(NEXT) | instid1(VALU_DEP_1)
	v_fmac_f64_e32 v[42:43], v[36:37], v[20:21]
	v_add_f64_e32 v[44:45], v[40:41], v[42:43]
	s_delay_alu instid0(VALU_DEP_1) | instskip(SKIP_2) | instid1(VALU_DEP_3)
	v_add_f64_e64 v[46:47], v[26:27], -v[44:45]
	v_add_f64_e64 v[38:39], v[44:45], -v[40:41]
	v_fma_f64 v[40:41], v[16:17], s[20:21], -v[6:7]
	v_add_f64_e64 v[26:27], v[26:27], -v[46:47]
	s_delay_alu instid0(VALU_DEP_3) | instskip(NEXT) | instid1(VALU_DEP_3)
	v_add_f64_e64 v[38:39], v[38:39], -v[42:43]
	v_fmac_f64_e32 v[40:41], 0xbc7abc9e3b39803f, v[16:17]
	s_delay_alu instid0(VALU_DEP_3) | instskip(NEXT) | instid1(VALU_DEP_1)
	v_add_f64_e64 v[26:27], v[26:27], -v[44:45]
	v_add_f64_e32 v[22:23], v[22:23], v[26:27]
	v_add_f64_e32 v[26:27], v[28:29], v[36:37]
	s_delay_alu instid0(VALU_DEP_2) | instskip(NEXT) | instid1(VALU_DEP_2)
	v_add_f64_e32 v[22:23], v[38:39], v[22:23]
	v_add_f64_e64 v[38:39], v[26:27], -v[28:29]
	s_delay_alu instid0(VALU_DEP_2) | instskip(NEXT) | instid1(VALU_DEP_2)
	v_add_f64_e32 v[22:23], v[46:47], v[22:23]
	v_add_f64_e64 v[36:37], v[36:37], -v[38:39]
	s_delay_alu instid0(VALU_DEP_2) | instskip(NEXT) | instid1(VALU_DEP_1)
	v_mul_f64_e32 v[22:23], v[28:29], v[22:23]
	v_add_f64_e32 v[22:23], v[36:37], v[22:23]
	s_delay_alu instid0(VALU_DEP_1) | instskip(NEXT) | instid1(VALU_DEP_1)
	v_add_f64_e32 v[28:29], v[26:27], v[22:23]
	v_add_f64_e32 v[36:37], v[24:25], v[28:29]
	v_add_f64_e64 v[26:27], v[28:29], -v[26:27]
	s_delay_alu instid0(VALU_DEP_2) | instskip(NEXT) | instid1(VALU_DEP_2)
	v_add_f64_e64 v[38:39], v[36:37], -v[24:25]
	v_add_f64_e64 v[22:23], v[22:23], -v[26:27]
	s_delay_alu instid0(VALU_DEP_2) | instskip(NEXT) | instid1(VALU_DEP_2)
	v_add_f64_e64 v[8:9], v[28:29], -v[38:39]
	v_add_f64_e32 v[26:27], v[20:21], v[22:23]
	s_delay_alu instid0(VALU_DEP_1) | instskip(SKIP_1) | instid1(VALU_DEP_2)
	v_add_f64_e32 v[8:9], v[26:27], v[8:9]
	v_add_f64_e64 v[26:27], v[24:25], -v[28:29]
	v_add_f64_e32 v[14:15], v[36:37], v[8:9]
	s_delay_alu instid0(VALU_DEP_2) | instskip(NEXT) | instid1(VALU_DEP_2)
	v_add_f64_e64 v[24:25], v[24:25], -v[26:27]
	v_rcp_f64_e32 v[38:39], v[14:15]
	s_delay_alu instid0(VALU_DEP_1) | instskip(NEXT) | instid1(VALU_DEP_1)
	v_add_f64_e64 v[24:25], v[24:25], -v[28:29]
	v_add_f64_e32 v[20:21], v[20:21], v[24:25]
	v_fmamk_f64 v[24:25], v[40:41], 0x3e5ade156a5dcb37, v[2:3]
	s_delay_alu instid0(TRANS32_DEP_1) | instskip(NEXT) | instid1(VALU_DEP_2)
	v_fma_f64 v[28:29], -v[14:15], v[38:39], 1.0
	v_fmaak_f64 v[24:25], v[40:41], v[24:25], 0x3ec71dee623fde64
	s_delay_alu instid0(VALU_DEP_1) | instskip(NEXT) | instid1(VALU_DEP_1)
	v_fmaak_f64 v[24:25], v[40:41], v[24:25], 0x3efa01997c89e6b0
	v_fmaak_f64 v[24:25], v[40:41], v[24:25], 0x3f2a01a014761f6e
	s_delay_alu instid0(VALU_DEP_1) | instskip(SKIP_2) | instid1(VALU_DEP_2)
	v_fmaak_f64 v[24:25], v[40:41], v[24:25], 0x3f56c16c1852b7b0
	v_add_f64_e64 v[20:21], v[20:21], -v[22:23]
	v_fmac_f64_e32 v[38:39], v[28:29], v[38:39]
	v_add_f64_e32 v[28:29], v[26:27], v[20:21]
	s_delay_alu instid0(VALU_DEP_2) | instskip(NEXT) | instid1(VALU_DEP_2)
	v_fma_f64 v[22:23], -v[14:15], v[38:39], 1.0
	v_add_f64_e64 v[26:27], v[28:29], -v[26:27]
	s_delay_alu instid0(VALU_DEP_2) | instskip(SKIP_1) | instid1(VALU_DEP_1)
	v_fmac_f64_e32 v[38:39], v[22:23], v[38:39]
	v_fmaak_f64 v[22:23], v[40:41], v[24:25], 0x3f81111111122322
	v_fmaak_f64 v[22:23], v[40:41], v[22:23], 0x3fa55555555502a1
	s_delay_alu instid0(VALU_DEP_1) | instskip(NEXT) | instid1(VALU_DEP_1)
	v_fmaak_f64 v[22:23], v[40:41], v[22:23], 0x3fc5555555555511
	v_fmaak_f64 v[22:23], v[40:41], v[22:23], 0x3fe000000000000b
	v_add_f64_e64 v[20:21], v[20:21], -v[26:27]
	s_delay_alu instid0(VALU_DEP_2) | instskip(SKIP_1) | instid1(VALU_DEP_2)
	v_fma_f64 v[22:23], v[40:41], v[22:23], 1.0
	v_mul_f64_e32 v[24:25], v[28:29], v[38:39]
	v_fma_f64 v[16:17], v[40:41], v[22:23], 1.0
	v_add_f64_e64 v[22:23], v[14:15], -v[36:37]
	s_delay_alu instid0(VALU_DEP_3) | instskip(NEXT) | instid1(VALU_DEP_3)
	v_mul_f64_e32 v[36:37], v[14:15], v[24:25]
	v_ldexp_f64 v[16:17], v[16:17], v35
	s_delay_alu instid0(VALU_DEP_3) | instskip(NEXT) | instid1(VALU_DEP_3)
	v_add_f64_e64 v[8:9], v[8:9], -v[22:23]
	v_fma_f64 v[14:15], v[24:25], v[14:15], -v[36:37]
	s_delay_alu instid0(VALU_DEP_3) | instskip(NEXT) | instid1(VALU_DEP_2)
	v_add_f64_e32 v[16:17], 1.0, v[16:17]
	v_fmac_f64_e32 v[14:15], v[24:25], v[8:9]
	s_delay_alu instid0(VALU_DEP_2) | instskip(NEXT) | instid1(VALU_DEP_2)
	v_div_scale_f64 v[8:9], null, v[16:17], v[16:17], 1.0
	v_add_f64_e32 v[22:23], v[36:37], v[14:15]
	s_delay_alu instid0(VALU_DEP_2) | instskip(NEXT) | instid1(VALU_DEP_1)
	v_rcp_f64_e32 v[40:41], v[8:9]
	v_add_f64_e64 v[42:43], v[28:29], -v[22:23]
	v_add_f64_e64 v[36:37], v[22:23], -v[36:37]
	s_delay_alu instid0(VALU_DEP_2) | instskip(NEXT) | instid1(VALU_DEP_2)
	v_add_f64_e64 v[44:45], v[28:29], -v[42:43]
	v_add_f64_e64 v[14:15], v[14:15], -v[36:37]
	s_delay_alu instid0(TRANS32_DEP_1) | instskip(NEXT) | instid1(VALU_DEP_3)
	v_fma_f64 v[46:47], -v[8:9], v[40:41], 1.0
	v_add_f64_e64 v[22:23], v[44:45], -v[22:23]
	s_delay_alu instid0(VALU_DEP_2) | instskip(NEXT) | instid1(VALU_DEP_2)
	v_fmac_f64_e32 v[40:41], v[40:41], v[46:47]
	v_add_f64_e64 v[14:15], v[22:23], -v[14:15]
	s_delay_alu instid0(VALU_DEP_2) | instskip(NEXT) | instid1(VALU_DEP_2)
	v_fma_f64 v[22:23], -v[8:9], v[40:41], 1.0
	v_add_f64_e32 v[14:15], v[20:21], v[14:15]
	v_div_scale_f64 v[20:21], vcc_lo, 1.0, v[16:17], 1.0
	s_delay_alu instid0(VALU_DEP_3) | instskip(NEXT) | instid1(VALU_DEP_3)
	v_fmac_f64_e32 v[40:41], v[40:41], v[22:23]
	v_add_f64_e32 v[14:15], v[42:43], v[14:15]
	s_delay_alu instid0(VALU_DEP_2) | instskip(NEXT) | instid1(VALU_DEP_2)
	v_mul_f64_e32 v[22:23], v[20:21], v[40:41]
	v_mul_f64_e32 v[14:15], v[38:39], v[14:15]
	s_delay_alu instid0(VALU_DEP_2) | instskip(NEXT) | instid1(VALU_DEP_2)
	v_fma_f64 v[8:9], -v[8:9], v[22:23], v[20:21]
	v_add_f64_e32 v[14:15], v[24:25], v[14:15]
	s_delay_alu instid0(VALU_DEP_2) | instskip(SKIP_1) | instid1(VALU_DEP_3)
	v_div_fmas_f64 v[8:9], v[8:9], v[40:41], v[22:23]
	v_cmp_gt_f64_e64 vcc_lo, 0x3e400000, |v[18:19]|
	v_cndmask_b32_e64 v15, 0x3ff00000, v15, s0
	s_delay_alu instid0(VALU_DEP_4) | instskip(SKIP_4) | instid1(VALU_DEP_2)
	v_cndmask_b32_e64 v14, 0, v14, s0
	v_cmp_nlt_f64_e64 s0, 0x4090cc00, v[6:7]
	v_div_fixup_f64 v[8:9], v[8:9], v[16:17], 1.0
	v_and_b32_e32 v16, 0x7fffffff, v19
	v_mad_u32 v17, s36, v34, v30
	v_dual_cndmask_b32 v14, v14, v18 :: v_dual_cndmask_b32 v15, v15, v16
	v_cmp_ngt_f64_e32 vcc_lo, 0xc0900000, v[6:7]
	v_lshlrev_b32_e32 v16, 2, v33
	s_delay_alu instid0(VALU_DEP_3) | instskip(NEXT) | instid1(VALU_DEP_2)
	v_bfi_b32 v15, 0x7fffffff, v15, v19
	v_sub_nc_u32_e32 v0, v16, v0
	v_mul_lo_u32 v17, v17, s33
	s_delay_alu instid0(VALU_DEP_2) | instskip(SKIP_2) | instid1(VALU_DEP_3)
	v_dual_add_f64 v[6:7], v[4:5], -v[14:15] :: v_dual_bitop2_b32 v16, 1, v0 bitop3:0x54
	v_or_b32_e32 v18, 2, v0
	v_dual_add_nc_u32 v0, 4, v0 :: v_dual_bitop2_b32 v19, 3, v0 bitop3:0x54
	v_mad_u32 v16, s2, v16, v30
	s_delay_alu instid0(VALU_DEP_3) | instskip(NEXT) | instid1(VALU_DEP_3)
	v_mad_u32 v18, s2, v18, v30
	v_mad_u32 v19, s2, v19, v30
	s_delay_alu instid0(VALU_DEP_4)
	v_mad_u32 v0, s2, v0, v30
	v_add_nc_u32_e32 v30, s1, v30
	v_mul_lo_u32 v16, v16, s33
	v_mul_lo_u32 v18, v18, s33
	;; [unrolled: 1-line block ×4, first 2 shown]
	v_cndmask_b32_e32 v9, 0, v9, vcc_lo
	s_and_b32 vcc_lo, s0, vcc_lo
	v_cndmask_b32_e32 v8, 0, v8, vcc_lo
	v_cmp_le_i32_e32 vcc_lo, s3, v30
	s_delay_alu instid0(VALU_DEP_3) | instskip(SKIP_1) | instid1(VALU_DEP_1)
	v_cndmask_b32_e64 v9, 0x3ff00000, v9, s0
	s_or_b32 s40, vcc_lo, s40
	v_fma_f64 v[6:7], v[8:9], v[6:7], v[14:15]
	global_store_b64 v32, v[6:7], s[12:13] scale_offset
	s_clause 0x1
	global_store_b64 v17, v[12:13], s[18:19] scale_offset
	global_store_b64 v16, v[8:9], s[18:19] scale_offset
	s_wait_xcnt 0x2
	v_add_nc_u32_e32 v32, s39, v32
	s_clause 0x2
	global_store_b64 v18, v[14:15], s[18:19] scale_offset
	global_store_b64 v19, v[4:5], s[18:19] scale_offset
	;; [unrolled: 1-line block ×3, first 2 shown]
	s_wait_xcnt 0x0
	s_and_not1_b32 exec_lo, exec_lo, s40
	s_cbranch_execz .LBB32_6
.LBB32_4:                               ; =>This Inner Loop Header: Depth=1
	v_sub_nc_u32_e32 v0, 0, v30
	s_delay_alu instid0(VALU_DEP_1) | instskip(NEXT) | instid1(VALU_DEP_1)
	v_max_i32_e32 v0, v30, v0
	v_mul_u64_e32 v[4:5], s[4:5], v[0:1]
	s_delay_alu instid0(VALU_DEP_1) | instskip(NEXT) | instid1(VALU_DEP_1)
	v_mul_lo_u32 v4, v5, s29
	v_dual_sub_nc_u32 v0, v0, v4 :: v_dual_add_nc_u32 v4, 1, v5
	s_delay_alu instid0(VALU_DEP_1) | instskip(NEXT) | instid1(VALU_DEP_2)
	v_cmp_le_u32_e32 vcc_lo, s29, v0
	v_cndmask_b32_e32 v4, v5, v4, vcc_lo
	v_subrev_nc_u32_e32 v6, s29, v0
	s_delay_alu instid0(VALU_DEP_2) | instskip(NEXT) | instid1(VALU_DEP_2)
	v_dual_ashrrev_i32 v5, 31, v30 :: v_dual_add_nc_u32 v7, 1, v4
	v_cndmask_b32_e32 v6, v0, v6, vcc_lo
	s_delay_alu instid0(VALU_DEP_1) | instskip(NEXT) | instid1(VALU_DEP_3)
	v_cmp_le_u32_e32 vcc_lo, s29, v6
	v_dual_cndmask_b32 v4, v4, v7, vcc_lo :: v_dual_bitop2_b32 v0, s34, v5 bitop3:0x14
	s_and_not1_b32 vcc_lo, exec_lo, s28
	s_delay_alu instid0(VALU_DEP_1) | instskip(NEXT) | instid1(VALU_DEP_1)
	v_dual_lshlrev_b32 v4, 1, v0 :: v_dual_bitop2_b32 v33, v4, v0 bitop3:0x14
	v_dual_lshlrev_b32 v5, 1, v33 :: v_dual_sub_nc_u32 v34, v33, v0
	s_delay_alu instid0(VALU_DEP_1) | instskip(NEXT) | instid1(VALU_DEP_2)
	v_sub_nc_u32_e32 v4, v5, v4
	v_mad_u32 v6, s35, v34, v30
	s_delay_alu instid0(VALU_DEP_2) | instskip(NEXT) | instid1(VALU_DEP_1)
	v_dual_add_nc_u32 v4, 2, v4 :: v_dual_bitop2_b32 v5, 1, v4 bitop3:0x54
	v_mad_u32 v5, s2, v5, v30
	s_delay_alu instid0(VALU_DEP_2) | instskip(NEXT) | instid1(VALU_DEP_4)
	v_mad_u32 v4, s2, v4, v30
	v_mul_lo_u32 v14, v6, s30
	v_mul_lo_u32 v17, v6, s31
	s_delay_alu instid0(VALU_DEP_4) | instskip(NEXT) | instid1(VALU_DEP_4)
	v_mul_lo_u32 v15, v5, s30
	v_mul_lo_u32 v16, v4, s30
	;; [unrolled: 1-line block ×4, first 2 shown]
	s_clause 0x2
	global_load_b64 v[22:23], v14, s[14:15] scale_offset
	global_load_b64 v[6:7], v15, s[14:15] scale_offset
	;; [unrolled: 1-line block ×3, first 2 shown]
	s_clause 0x2
	global_load_b64 v[24:25], v17, s[16:17] scale_offset
	global_load_b64 v[8:9], v18, s[16:17] scale_offset
	;; [unrolled: 1-line block ×4, first 2 shown]
	s_cbranch_vccz .LBB32_2
; %bb.5:                                ;   in Loop: Header=BB32_4 Depth=1
	s_wait_xcnt 0x5
	v_mov_b64_e32 v[14:15], 0
	s_wait_xcnt 0x1
	v_mov_b64_e32 v[18:19], 0
	v_mov_b64_e32 v[26:27], 0
	;; [unrolled: 1-line block ×5, first 2 shown]
	s_branch .LBB32_3
.LBB32_6:
	s_endpgm
	.section	.rodata,"a",@progbits
	.p2align	6, 0x0
	.amdhsa_kernel _ZN2at6native12_GLOBAL__N_16kernel16gru_cell_forwardIddiLi1EEEvNS_4cuda6detail10TensorInfoIT_T1_EES9_S9_S9_S9_S9_S9_S8_S8_
		.amdhsa_group_segment_fixed_size 0
		.amdhsa_private_segment_fixed_size 0
		.amdhsa_kernarg_size 1776
		.amdhsa_user_sgpr_count 2
		.amdhsa_user_sgpr_dispatch_ptr 0
		.amdhsa_user_sgpr_queue_ptr 0
		.amdhsa_user_sgpr_kernarg_segment_ptr 1
		.amdhsa_user_sgpr_dispatch_id 0
		.amdhsa_user_sgpr_kernarg_preload_length 0
		.amdhsa_user_sgpr_kernarg_preload_offset 0
		.amdhsa_user_sgpr_private_segment_size 0
		.amdhsa_wavefront_size32 1
		.amdhsa_uses_dynamic_stack 0
		.amdhsa_enable_private_segment 0
		.amdhsa_system_sgpr_workgroup_id_x 1
		.amdhsa_system_sgpr_workgroup_id_y 0
		.amdhsa_system_sgpr_workgroup_id_z 0
		.amdhsa_system_sgpr_workgroup_info 0
		.amdhsa_system_vgpr_workitem_id 0
		.amdhsa_next_free_vgpr 48
		.amdhsa_next_free_sgpr 41
		.amdhsa_named_barrier_count 0
		.amdhsa_reserve_vcc 1
		.amdhsa_float_round_mode_32 0
		.amdhsa_float_round_mode_16_64 0
		.amdhsa_float_denorm_mode_32 3
		.amdhsa_float_denorm_mode_16_64 3
		.amdhsa_fp16_overflow 0
		.amdhsa_memory_ordered 1
		.amdhsa_forward_progress 1
		.amdhsa_inst_pref_size 25
		.amdhsa_round_robin_scheduling 0
		.amdhsa_exception_fp_ieee_invalid_op 0
		.amdhsa_exception_fp_denorm_src 0
		.amdhsa_exception_fp_ieee_div_zero 0
		.amdhsa_exception_fp_ieee_overflow 0
		.amdhsa_exception_fp_ieee_underflow 0
		.amdhsa_exception_fp_ieee_inexact 0
		.amdhsa_exception_int_div_zero 0
	.end_amdhsa_kernel
	.section	.text._ZN2at6native12_GLOBAL__N_16kernel16gru_cell_forwardIddiLi1EEEvNS_4cuda6detail10TensorInfoIT_T1_EES9_S9_S9_S9_S9_S9_S8_S8_,"axG",@progbits,_ZN2at6native12_GLOBAL__N_16kernel16gru_cell_forwardIddiLi1EEEvNS_4cuda6detail10TensorInfoIT_T1_EES9_S9_S9_S9_S9_S9_S8_S8_,comdat
.Lfunc_end32:
	.size	_ZN2at6native12_GLOBAL__N_16kernel16gru_cell_forwardIddiLi1EEEvNS_4cuda6detail10TensorInfoIT_T1_EES9_S9_S9_S9_S9_S9_S8_S8_, .Lfunc_end32-_ZN2at6native12_GLOBAL__N_16kernel16gru_cell_forwardIddiLi1EEEvNS_4cuda6detail10TensorInfoIT_T1_EES9_S9_S9_S9_S9_S9_S8_S8_
                                        ; -- End function
	.set _ZN2at6native12_GLOBAL__N_16kernel16gru_cell_forwardIddiLi1EEEvNS_4cuda6detail10TensorInfoIT_T1_EES9_S9_S9_S9_S9_S9_S8_S8_.num_vgpr, 48
	.set _ZN2at6native12_GLOBAL__N_16kernel16gru_cell_forwardIddiLi1EEEvNS_4cuda6detail10TensorInfoIT_T1_EES9_S9_S9_S9_S9_S9_S8_S8_.num_agpr, 0
	.set _ZN2at6native12_GLOBAL__N_16kernel16gru_cell_forwardIddiLi1EEEvNS_4cuda6detail10TensorInfoIT_T1_EES9_S9_S9_S9_S9_S9_S8_S8_.numbered_sgpr, 41
	.set _ZN2at6native12_GLOBAL__N_16kernel16gru_cell_forwardIddiLi1EEEvNS_4cuda6detail10TensorInfoIT_T1_EES9_S9_S9_S9_S9_S9_S8_S8_.num_named_barrier, 0
	.set _ZN2at6native12_GLOBAL__N_16kernel16gru_cell_forwardIddiLi1EEEvNS_4cuda6detail10TensorInfoIT_T1_EES9_S9_S9_S9_S9_S9_S8_S8_.private_seg_size, 0
	.set _ZN2at6native12_GLOBAL__N_16kernel16gru_cell_forwardIddiLi1EEEvNS_4cuda6detail10TensorInfoIT_T1_EES9_S9_S9_S9_S9_S9_S8_S8_.uses_vcc, 1
	.set _ZN2at6native12_GLOBAL__N_16kernel16gru_cell_forwardIddiLi1EEEvNS_4cuda6detail10TensorInfoIT_T1_EES9_S9_S9_S9_S9_S9_S8_S8_.uses_flat_scratch, 0
	.set _ZN2at6native12_GLOBAL__N_16kernel16gru_cell_forwardIddiLi1EEEvNS_4cuda6detail10TensorInfoIT_T1_EES9_S9_S9_S9_S9_S9_S8_S8_.has_dyn_sized_stack, 0
	.set _ZN2at6native12_GLOBAL__N_16kernel16gru_cell_forwardIddiLi1EEEvNS_4cuda6detail10TensorInfoIT_T1_EES9_S9_S9_S9_S9_S9_S8_S8_.has_recursion, 0
	.set _ZN2at6native12_GLOBAL__N_16kernel16gru_cell_forwardIddiLi1EEEvNS_4cuda6detail10TensorInfoIT_T1_EES9_S9_S9_S9_S9_S9_S8_S8_.has_indirect_call, 0
	.section	.AMDGPU.csdata,"",@progbits
; Kernel info:
; codeLenInByte = 3172
; TotalNumSgprs: 43
; NumVgprs: 48
; ScratchSize: 0
; MemoryBound: 0
; FloatMode: 240
; IeeeMode: 1
; LDSByteSize: 0 bytes/workgroup (compile time only)
; SGPRBlocks: 0
; VGPRBlocks: 2
; NumSGPRsForWavesPerEU: 43
; NumVGPRsForWavesPerEU: 48
; NamedBarCnt: 0
; Occupancy: 16
; WaveLimiterHint : 1
; COMPUTE_PGM_RSRC2:SCRATCH_EN: 0
; COMPUTE_PGM_RSRC2:USER_SGPR: 2
; COMPUTE_PGM_RSRC2:TRAP_HANDLER: 0
; COMPUTE_PGM_RSRC2:TGID_X_EN: 1
; COMPUTE_PGM_RSRC2:TGID_Y_EN: 0
; COMPUTE_PGM_RSRC2:TGID_Z_EN: 0
; COMPUTE_PGM_RSRC2:TIDIG_COMP_CNT: 0
	.section	.text._ZN2at6native12_GLOBAL__N_16kernel16gru_cell_forwardIddiLi2EEEvNS_4cuda6detail10TensorInfoIT_T1_EES9_S9_S9_S9_S9_S9_S8_S8_,"axG",@progbits,_ZN2at6native12_GLOBAL__N_16kernel16gru_cell_forwardIddiLi2EEEvNS_4cuda6detail10TensorInfoIT_T1_EES9_S9_S9_S9_S9_S9_S8_S8_,comdat
	.globl	_ZN2at6native12_GLOBAL__N_16kernel16gru_cell_forwardIddiLi2EEEvNS_4cuda6detail10TensorInfoIT_T1_EES9_S9_S9_S9_S9_S9_S8_S8_ ; -- Begin function _ZN2at6native12_GLOBAL__N_16kernel16gru_cell_forwardIddiLi2EEEvNS_4cuda6detail10TensorInfoIT_T1_EES9_S9_S9_S9_S9_S9_S8_S8_
	.p2align	8
	.type	_ZN2at6native12_GLOBAL__N_16kernel16gru_cell_forwardIddiLi2EEEvNS_4cuda6detail10TensorInfoIT_T1_EES9_S9_S9_S9_S9_S9_S8_S8_,@function
_ZN2at6native12_GLOBAL__N_16kernel16gru_cell_forwardIddiLi2EEEvNS_4cuda6detail10TensorInfoIT_T1_EES9_S9_S9_S9_S9_S9_S8_S8_: ; @_ZN2at6native12_GLOBAL__N_16kernel16gru_cell_forwardIddiLi2EEEvNS_4cuda6detail10TensorInfoIT_T1_EES9_S9_S9_S9_S9_S9_S8_S8_
; %bb.0:
	s_clause 0x1
	s_load_b32 s2, s[0:1], 0x5fc
	s_load_b64 s[4:5], s[0:1], 0x5e8
	s_bfe_u32 s3, ttmp6, 0x4000c
	s_and_b32 s6, ttmp6, 15
	s_add_co_i32 s3, s3, 1
	s_getreg_b32 s7, hwreg(HW_REG_IB_STS2, 6, 4)
	s_mul_i32 s3, ttmp9, s3
	s_delay_alu instid0(SALU_CYCLE_1)
	s_add_co_i32 s6, s6, s3
	s_wait_kmcnt 0x0
	s_and_b32 s2, s2, 0xffff
	s_cmp_eq_u32 s7, 0
	s_mov_b32 s7, 0
	s_cselect_b32 s3, ttmp9, s6
	s_delay_alu instid0(SALU_CYCLE_1) | instskip(SKIP_1) | instid1(VALU_DEP_1)
	v_mad_u32 v30, s3, s2, v0
	s_mov_b32 s3, exec_lo
	v_cmpx_gt_i32_e64 s5, v30
	s_cbranch_execz .LBB33_6
; %bb.1:
	s_clause 0x1
	s_load_b64 s[8:9], s[0:1], 0x1b0
	s_load_b32 s3, s[0:1], 0xc
	s_add_nc_u64 s[22:23], s[0:1], 0x5f0
	s_clause 0x5
	s_load_b64 s[10:11], s[0:1], 0x0
	s_load_b64 s[12:13], s[0:1], 0x6c
	;; [unrolled: 1-line block ×3, first 2 shown]
	s_load_b32 s33, s[0:1], 0xe4
	s_load_b64 s[16:17], s[0:1], 0x144
	s_load_b32 s50, s[0:1], 0x21c
	s_load_b32 s56, s[22:23], 0x0
	s_clause 0x3
	s_load_b64 s[18:19], s[0:1], 0x288
	s_load_b32 s51, s[0:1], 0x2f4
	s_load_b64 s[20:21], s[0:1], 0x360
	s_load_b32 s70, s[0:1], 0x36c
	s_wait_xcnt 0x0
	s_clause 0x6
	s_load_b64 s[22:23], s[0:1], 0x3cc
	s_load_b64 s[24:25], s[0:1], 0x438
	s_load_b32 s71, s[0:1], 0x444
	s_load_b64 s[26:27], s[0:1], 0x4a4
	s_load_b64 s[28:29], s[0:1], 0x510
	s_load_b32 s55, s[0:1], 0x51c
	s_load_b64 s[30:31], s[0:1], 0x57c
	v_mov_b32_e32 v3, 0
	s_mov_b32 s35, s7
	s_mov_b32 s39, s7
	;; [unrolled: 1-line block ×3, first 2 shown]
	s_mov_b64 s[44:45], 0xbfe62e42fefa39ef
	s_mov_b64 s[46:47], 0x3ff71547652b82fe
	;; [unrolled: 1-line block ×3, first 2 shown]
	s_mov_b32 s72, s7
                                        ; implicit-def: $vgpr4_vgpr5
                                        ; implicit-def: $vgpr4_vgpr5
                                        ; implicit-def: $vgpr4_vgpr5
                                        ; implicit-def: $vgpr4_vgpr5
                                        ; implicit-def: $vgpr4_vgpr5
                                        ; implicit-def: $vgpr4_vgpr5
                                        ; implicit-def: $vgpr4_vgpr5
                                        ; implicit-def: $vgpr4_vgpr5
	s_wait_kmcnt 0x0
	s_mul_i32 s56, s56, s2
	s_cmp_lg_u64 s[8:9], 0
	s_cselect_b32 s52, -1, 0
	s_abs_i32 s53, s4
	s_abs_i32 s54, s3
	s_cvt_f32_u32 s6, s53
	s_cvt_f32_u32 s34, s54
	s_abs_i32 s58, s33
	s_abs_i32 s60, s70
	v_rcp_iflag_f32_e32 v0, s6
	v_rcp_iflag_f32_e32 v1, s34
	s_cvt_f32_u32 s0, s58
	s_sub_co_i32 s6, 0, s53
	s_sub_co_i32 s34, 0, s54
	s_abs_i32 s61, s71
	s_abs_i32 s63, s55
	v_readfirstlane_b32 s1, v0
	v_readfirstlane_b32 s2, v1
	v_rcp_iflag_f32_e32 v0, s0
	s_sub_co_i32 s36, 0, s58
	s_sub_co_i32 s37, 0, s60
	s_mul_f32 s0, s1, 0x4f7ffffe
	s_mul_f32 s1, s2, 0x4f7ffffe
	s_cvt_f32_u32 s2, s60
	s_sub_co_i32 s41, 0, s63
	s_cvt_u32_f32 s0, s0
	s_cvt_u32_f32 s1, s1
	v_rcp_iflag_f32_e32 v1, s2
	v_nop
	v_readfirstlane_b32 s2, v0
	s_mul_i32 s6, s6, s0
	s_mul_i32 s34, s34, s1
	s_mul_hi_u32 s6, s0, s6
	s_mul_hi_u32 s34, s1, s34
	s_add_co_i32 s6, s0, s6
	s_mul_f32 s0, s2, 0x4f7ffffe
	s_cvt_f32_u32 s2, s61
	s_add_co_i32 s34, s1, s34
	v_readfirstlane_b32 s1, v1
	s_cvt_u32_f32 s0, s0
	v_rcp_iflag_f32_e32 v0, s2
	s_cvt_f32_u32 s2, s63
	s_ashr_i32 s57, s4, 31
	s_mul_f32 s1, s1, 0x4f7ffffe
	s_mul_i32 s36, s36, s0
	v_rcp_iflag_f32_e32 v1, s2
	s_mul_hi_u32 s36, s0, s36
	v_nop
	v_readfirstlane_b32 s2, v0
	s_cvt_u32_f32 s1, s1
	s_add_co_i32 s36, s0, s36
	s_ashr_i32 s59, s3, 31
	s_ashr_i32 s62, s33, 31
	v_readfirstlane_b32 s40, v1
	s_mul_i32 s0, s37, s1
	s_mul_f32 s2, s2, 0x4f7ffffe
	s_mul_hi_u32 s0, s1, s0
	v_mov_b64_e32 v[0:1], 0x3e928af3fca7ab0c
	s_add_co_i32 s38, s1, s0
	s_cvt_u32_f32 s0, s2
	s_mul_f32 s1, s40, 0x4f7ffffe
	s_sub_co_i32 s2, 0, s61
	s_mov_b32 s37, s7
	s_mul_i32 s2, s2, s0
	s_cvt_u32_f32 s1, s1
	s_mul_hi_u32 s2, s0, s2
	s_ashr_i32 s64, s70, 31
	s_add_co_i32 s40, s0, s2
	s_mul_i32 s0, s41, s1
	s_ashr_i32 s65, s71, 31
	s_mul_hi_u32 s0, s1, s0
	s_mov_b32 s41, s7
	s_ashr_i32 s66, s55, 31
	s_add_co_i32 s42, s1, s0
	s_lshl_b32 s67, s4, 1
	s_lshl_b32 s68, s4, 2
	s_sub_co_i32 s69, 0, s4
	s_sub_co_i32 s70, 0, s70
	s_sub_co_i32 s71, 0, s71
	s_branch .LBB33_4
.LBB33_2:                               ;   in Loop: Header=BB33_4 Depth=1
	v_sub_nc_u32_e32 v10, v32, v33
	v_mad_u32 v16, s69, v34, v30
	s_delay_alu instid0(VALU_DEP_2) | instskip(SKIP_1) | instid1(VALU_DEP_1)
	v_mul_lo_u32 v11, s4, v10
	v_add_nc_u32_e32 v10, 2, v10
	v_mad_u32 v10, s4, v10, v30
	s_delay_alu instid0(VALU_DEP_4) | instskip(SKIP_2) | instid1(VALU_DEP_1)
	v_mul_lo_u32 v17, v16, s50
	v_mul_lo_u32 v20, v16, s51
	v_add3_u32 v11, v11, s4, v30
	v_mul_lo_u32 v18, v11, s50
	v_mul_lo_u32 v19, v10, s50
	;; [unrolled: 1-line block ×4, first 2 shown]
	s_clause 0x2
	global_load_b64 v[28:29], v17, s[8:9] scale_offset
	global_load_b64 v[16:17], v18, s[8:9] scale_offset
	;; [unrolled: 1-line block ×3, first 2 shown]
	s_clause 0x2
	global_load_b64 v[26:27], v20, s[18:19] scale_offset
	global_load_b64 v[18:19], v21, s[18:19] scale_offset
	;; [unrolled: 1-line block ×3, first 2 shown]
.LBB33_3:                               ;   in Loop: Header=BB33_4 Depth=1
	s_wait_loadcnt 0x3
	v_add_f64_e32 v[22:23], v[22:23], v[24:25]
	s_wait_loadcnt 0x2
	v_dual_add_f64 v[12:13], v[12:13], v[14:15] :: v_dual_lshlrev_b32 v33, 2, v33
	v_lshlrev_b32_e32 v32, 2, v32
	s_delay_alu instid0(VALU_DEP_1) | instskip(NEXT) | instid1(VALU_DEP_1)
	v_sub_nc_u32_e32 v32, v33, v32
	v_or_b32_e32 v33, 1, v32
	s_delay_alu instid0(VALU_DEP_1) | instskip(SKIP_2) | instid1(VALU_DEP_2)
	v_mul_lo_u32 v33, s4, v33
	v_add_f64_e32 v[22:23], v[22:23], v[28:29]
	v_add_f64_e32 v[12:13], v[12:13], v[16:17]
	v_add_f64_e32 v[22:23], v[26:27], v[22:23]
	s_wait_loadcnt 0x1
	s_delay_alu instid0(VALU_DEP_2) | instskip(NEXT) | instid1(VALU_DEP_2)
	v_add_f64_e32 v[12:13], v[12:13], v[18:19]
	v_mul_f64_e32 v[24:25], 0xbff71547652b82fe, v[22:23]
	s_delay_alu instid0(VALU_DEP_2) | instskip(NEXT) | instid1(VALU_DEP_2)
	v_mul_f64_e32 v[18:19], 0xbff71547652b82fe, v[12:13]
	v_rndne_f64_e32 v[24:25], v[24:25]
	s_delay_alu instid0(VALU_DEP_2) | instskip(NEXT) | instid1(VALU_DEP_2)
	v_rndne_f64_e32 v[18:19], v[18:19]
	v_fma_f64 v[26:27], v[24:25], s[44:45], -v[22:23]
	s_wait_xcnt 0x0
	v_cvt_i32_f64_e32 v35, v[24:25]
	s_delay_alu instid0(VALU_DEP_2) | instskip(NEXT) | instid1(VALU_DEP_1)
	v_fmac_f64_e32 v[26:27], 0xbc7abc9e3b39803f, v[24:25]
	v_fmamk_f64 v[28:29], v[26:27], 0x3e5ade156a5dcb37, v[0:1]
	s_delay_alu instid0(VALU_DEP_1) | instskip(NEXT) | instid1(VALU_DEP_1)
	v_fmaak_f64 v[28:29], v[26:27], v[28:29], 0x3ec71dee623fde64
	v_fmaak_f64 v[28:29], v[26:27], v[28:29], 0x3efa01997c89e6b0
	s_delay_alu instid0(VALU_DEP_1) | instskip(NEXT) | instid1(VALU_DEP_1)
	v_fmaak_f64 v[28:29], v[26:27], v[28:29], 0x3f2a01a014761f6e
	v_fmaak_f64 v[28:29], v[26:27], v[28:29], 0x3f56c16c1852b7b0
	;; [unrolled: 3-line block ×4, first 2 shown]
	s_delay_alu instid0(VALU_DEP_1) | instskip(NEXT) | instid1(VALU_DEP_1)
	v_fma_f64 v[28:29], v[26:27], v[28:29], 1.0
	v_fma_f64 v[24:25], v[26:27], v[28:29], 1.0
	s_delay_alu instid0(VALU_DEP_1) | instskip(NEXT) | instid1(VALU_DEP_1)
	v_ldexp_f64 v[24:25], v[24:25], v35
	v_add_f64_e32 v[24:25], 1.0, v[24:25]
	s_delay_alu instid0(VALU_DEP_1) | instskip(SKIP_1) | instid1(VALU_DEP_2)
	v_div_scale_f64 v[26:27], null, v[24:25], v[24:25], 1.0
	v_div_scale_f64 v[38:39], vcc_lo, 1.0, v[24:25], 1.0
	v_rcp_f64_e32 v[28:29], v[26:27]
	v_nop
	s_delay_alu instid0(TRANS32_DEP_1) | instskip(NEXT) | instid1(VALU_DEP_1)
	v_fma_f64 v[36:37], -v[26:27], v[28:29], 1.0
	v_fmac_f64_e32 v[28:29], v[28:29], v[36:37]
	s_delay_alu instid0(VALU_DEP_1) | instskip(NEXT) | instid1(VALU_DEP_1)
	v_fma_f64 v[36:37], -v[26:27], v[28:29], 1.0
	v_fmac_f64_e32 v[28:29], v[28:29], v[36:37]
	s_delay_alu instid0(VALU_DEP_1) | instskip(NEXT) | instid1(VALU_DEP_1)
	v_mul_f64_e32 v[36:37], v[38:39], v[28:29]
	v_fma_f64 v[26:27], -v[26:27], v[36:37], v[38:39]
	s_delay_alu instid0(VALU_DEP_1) | instskip(SKIP_1) | instid1(VALU_DEP_2)
	v_div_fmas_f64 v[26:27], v[26:27], v[28:29], v[36:37]
	v_cmp_ngt_f64_e32 vcc_lo, 0xc0900000, v[22:23]
	v_div_fixup_f64 v[24:25], v[26:27], v[24:25], 1.0
	s_delay_alu instid0(VALU_DEP_1)
	v_cndmask_b32_e32 v25, 0, v25, vcc_lo
	v_cmp_nlt_f64_e64 s0, 0x4090cc00, v[22:23]
	s_and_b32 vcc_lo, s0, vcc_lo
	v_add_f64_e32 v[10:11], v[6:7], v[10:11]
	s_wait_loadcnt 0x0
	v_add_f64_e32 v[6:7], v[8:9], v[20:21]
	v_cndmask_b32_e64 v9, 0x3ff00000, v25, s0
	v_cndmask_b32_e32 v8, 0, v24, vcc_lo
	s_delay_alu instid0(VALU_DEP_1) | instskip(NEXT) | instid1(VALU_DEP_1)
	v_fmac_f64_e32 v[10:11], v[6:7], v[8:9]
	v_mul_f64_e64 v[20:21], |v[10:11]|, s[46:47]
	v_cmp_nlt_f64_e64 s0, 0x40331000, |v[10:11]|
	s_delay_alu instid0(VALU_DEP_2) | instskip(NEXT) | instid1(VALU_DEP_1)
	v_rndne_f64_e32 v[20:21], v[20:21]
	v_fma_f64 v[22:23], v[20:21], s[48:49], |v[10:11]|
	v_mul_f64_e32 v[24:25], 0xbd53de6af278e000, v[20:21]
	v_cvt_i32_f64_e32 v35, v[20:21]
	s_delay_alu instid0(VALU_DEP_3) | instskip(NEXT) | instid1(VALU_DEP_1)
	v_add_f64_e32 v[26:27], 0, v[22:23]
	v_add_f64_e32 v[28:29], v[26:27], v[24:25]
	v_add_f64_e64 v[22:23], v[22:23], -v[26:27]
	s_delay_alu instid0(VALU_DEP_2) | instskip(NEXT) | instid1(VALU_DEP_2)
	v_add_f64_e64 v[26:27], v[26:27], -v[28:29]
	v_add_f64_e32 v[22:23], 0, v[22:23]
	s_delay_alu instid0(VALU_DEP_2) | instskip(NEXT) | instid1(VALU_DEP_1)
	v_add_f64_e32 v[24:25], v[26:27], v[24:25]
	v_add_f64_e32 v[22:23], v[22:23], v[24:25]
	v_mul_f64_e32 v[24:25], 0xbac9cc01f97b57a0, v[20:21]
	s_delay_alu instid0(VALU_DEP_2) | instskip(NEXT) | instid1(VALU_DEP_1)
	v_add_f64_e32 v[26:27], v[28:29], v[22:23]
	v_add_f64_e32 v[36:37], v[26:27], v[24:25]
	v_add_f64_e64 v[28:29], v[28:29], -v[26:27]
	s_delay_alu instid0(VALU_DEP_2) | instskip(NEXT) | instid1(VALU_DEP_2)
	v_add_f64_e64 v[26:27], v[26:27], -v[36:37]
	v_add_f64_e32 v[22:23], v[22:23], v[28:29]
	s_delay_alu instid0(VALU_DEP_2) | instskip(NEXT) | instid1(VALU_DEP_1)
	v_add_f64_e32 v[24:25], v[26:27], v[24:25]
	v_add_f64_e32 v[22:23], v[22:23], v[24:25]
	s_delay_alu instid0(VALU_DEP_1) | instskip(NEXT) | instid1(VALU_DEP_1)
	v_add_f64_e32 v[24:25], v[36:37], v[22:23]
	v_add_f64_e64 v[26:27], v[36:37], -v[24:25]
	v_mul_f64_e32 v[28:29], v[24:25], v[24:25]
	s_delay_alu instid0(VALU_DEP_2) | instskip(NEXT) | instid1(VALU_DEP_2)
	v_add_f64_e32 v[22:23], v[22:23], v[26:27]
	v_fma_f64 v[26:27], v[24:25], v[24:25], -v[28:29]
	s_delay_alu instid0(VALU_DEP_2) | instskip(NEXT) | instid1(VALU_DEP_1)
	v_add_f64_e32 v[36:37], v[22:23], v[22:23]
	v_fmac_f64_e32 v[26:27], v[24:25], v[36:37]
	v_fmamk_f64 v[36:37], v[24:25], 0x3e5ade156a5dcb37, v[0:1]
	s_delay_alu instid0(VALU_DEP_1) | instskip(NEXT) | instid1(VALU_DEP_1)
	v_fmaak_f64 v[36:37], v[24:25], v[36:37], 0x3ec71dee623fde64
	v_fmaak_f64 v[36:37], v[24:25], v[36:37], 0x3efa01997c89e6b0
	s_delay_alu instid0(VALU_DEP_1) | instskip(NEXT) | instid1(VALU_DEP_1)
	v_fmaak_f64 v[36:37], v[24:25], v[36:37], 0x3f2a01a014761f6e
	v_fmaak_f64 v[36:37], v[24:25], v[36:37], 0x3f56c16c1852b7b0
	v_add_f64_e32 v[38:39], v[28:29], v[26:27]
	s_delay_alu instid0(VALU_DEP_2) | instskip(NEXT) | instid1(VALU_DEP_1)
	v_fmaak_f64 v[36:37], v[24:25], v[36:37], 0x3f81111111122322
	v_fmaak_f64 v[36:37], v[24:25], v[36:37], 0x3fa55555555502a1
	s_delay_alu instid0(VALU_DEP_1) | instskip(NEXT) | instid1(VALU_DEP_1)
	v_fmaak_f64 v[36:37], v[24:25], v[36:37], 0x3fc5555555555511
	v_fmaak_f64 v[36:37], v[24:25], v[36:37], 0x3fe000000000000b
	v_add_f64_e64 v[28:29], v[38:39], -v[28:29]
	s_delay_alu instid0(VALU_DEP_2) | instskip(NEXT) | instid1(VALU_DEP_2)
	v_mul_f64_e32 v[40:41], v[38:39], v[36:37]
	v_add_f64_e64 v[26:27], v[26:27], -v[28:29]
	s_delay_alu instid0(VALU_DEP_2) | instskip(NEXT) | instid1(VALU_DEP_1)
	v_fma_f64 v[28:29], v[38:39], v[36:37], -v[40:41]
	v_fmac_f64_e32 v[28:29], v[26:27], v[36:37]
	s_delay_alu instid0(VALU_DEP_1) | instskip(NEXT) | instid1(VALU_DEP_1)
	v_add_f64_e32 v[26:27], v[40:41], v[28:29]
	v_add_f64_e32 v[36:37], v[24:25], v[26:27]
	v_add_f64_e64 v[38:39], v[26:27], -v[40:41]
	s_delay_alu instid0(VALU_DEP_2) | instskip(NEXT) | instid1(VALU_DEP_2)
	v_add_f64_e64 v[24:25], v[36:37], -v[24:25]
	v_add_f64_e64 v[28:29], v[28:29], -v[38:39]
	s_delay_alu instid0(VALU_DEP_2) | instskip(NEXT) | instid1(VALU_DEP_2)
	v_add_f64_e64 v[24:25], v[26:27], -v[24:25]
	v_add_f64_e32 v[22:23], v[22:23], v[28:29]
	s_delay_alu instid0(VALU_DEP_1) | instskip(NEXT) | instid1(VALU_DEP_1)
	v_add_f64_e32 v[22:23], v[22:23], v[24:25]
	v_add_f64_e32 v[24:25], v[36:37], v[22:23]
	s_delay_alu instid0(VALU_DEP_1) | instskip(SKIP_1) | instid1(VALU_DEP_2)
	v_add_f64_e32 v[26:27], 1.0, v[24:25]
	v_add_f64_e64 v[28:29], v[24:25], -v[36:37]
	v_add_f64_e32 v[36:37], -1.0, v[26:27]
	s_delay_alu instid0(VALU_DEP_2) | instskip(NEXT) | instid1(VALU_DEP_2)
	v_add_f64_e64 v[22:23], v[22:23], -v[28:29]
	v_add_f64_e64 v[24:25], v[24:25], -v[36:37]
	s_delay_alu instid0(VALU_DEP_1) | instskip(NEXT) | instid1(VALU_DEP_1)
	v_add_f64_e32 v[22:23], v[22:23], v[24:25]
	v_add_f64_e32 v[20:21], v[26:27], v[22:23]
	s_delay_alu instid0(VALU_DEP_1) | instskip(SKIP_1) | instid1(VALU_DEP_2)
	v_ldexp_f64 v[24:25], v[20:21], v35
	v_add_f64_e64 v[20:21], v[20:21], -v[26:27]
	v_rcp_f64_e32 v[28:29], v[24:25]
	s_delay_alu instid0(VALU_DEP_1) | instskip(NEXT) | instid1(VALU_DEP_1)
	v_add_f64_e64 v[20:21], v[22:23], -v[20:21]
	v_ldexp_f64 v[20:21], v[20:21], v35
	v_cvt_i32_f64_e32 v35, v[18:19]
	s_delay_alu instid0(TRANS32_DEP_1) | instskip(NEXT) | instid1(VALU_DEP_1)
	v_fma_f64 v[36:37], -v[24:25], v[28:29], 1.0
	v_fmac_f64_e32 v[28:29], v[36:37], v[28:29]
	s_delay_alu instid0(VALU_DEP_1) | instskip(NEXT) | instid1(VALU_DEP_1)
	v_fma_f64 v[36:37], -v[24:25], v[28:29], 1.0
	v_fmac_f64_e32 v[28:29], v[36:37], v[28:29]
	s_delay_alu instid0(VALU_DEP_1) | instskip(NEXT) | instid1(VALU_DEP_1)
	v_mul_f64_e32 v[22:23], v[24:25], v[28:29]
	v_fma_f64 v[26:27], v[28:29], v[24:25], -v[22:23]
	s_delay_alu instid0(VALU_DEP_1) | instskip(NEXT) | instid1(VALU_DEP_1)
	v_fmac_f64_e32 v[26:27], v[28:29], v[20:21]
	v_add_f64_e32 v[36:37], v[22:23], v[26:27]
	s_delay_alu instid0(VALU_DEP_1) | instskip(SKIP_1) | instid1(VALU_DEP_2)
	v_add_f64_e64 v[38:39], -v[36:37], 1.0
	v_add_f64_e64 v[22:23], v[36:37], -v[22:23]
	v_add_f64_e64 v[40:41], -v[38:39], 1.0
	s_delay_alu instid0(VALU_DEP_2) | instskip(NEXT) | instid1(VALU_DEP_2)
	v_add_f64_e64 v[22:23], v[22:23], -v[26:27]
	v_add_f64_e64 v[26:27], v[40:41], -v[36:37]
	s_delay_alu instid0(VALU_DEP_1) | instskip(NEXT) | instid1(VALU_DEP_1)
	v_add_f64_e32 v[22:23], v[22:23], v[26:27]
	v_add_f64_e32 v[26:27], v[38:39], v[22:23]
	s_delay_alu instid0(VALU_DEP_1) | instskip(SKIP_1) | instid1(VALU_DEP_2)
	v_mul_f64_e32 v[36:37], v[28:29], v[26:27]
	v_add_f64_e64 v[38:39], v[38:39], -v[26:27]
	v_mul_f64_e32 v[40:41], v[24:25], v[36:37]
	s_delay_alu instid0(VALU_DEP_2) | instskip(NEXT) | instid1(VALU_DEP_2)
	v_add_f64_e32 v[22:23], v[22:23], v[38:39]
	v_fma_f64 v[42:43], v[36:37], v[24:25], -v[40:41]
	s_delay_alu instid0(VALU_DEP_1) | instskip(NEXT) | instid1(VALU_DEP_1)
	v_fmac_f64_e32 v[42:43], v[36:37], v[20:21]
	v_add_f64_e32 v[44:45], v[40:41], v[42:43]
	s_delay_alu instid0(VALU_DEP_1) | instskip(SKIP_2) | instid1(VALU_DEP_3)
	v_add_f64_e64 v[46:47], v[26:27], -v[44:45]
	v_add_f64_e64 v[38:39], v[44:45], -v[40:41]
	v_fma_f64 v[40:41], v[18:19], s[44:45], -v[12:13]
	v_add_f64_e64 v[26:27], v[26:27], -v[46:47]
	s_delay_alu instid0(VALU_DEP_3) | instskip(NEXT) | instid1(VALU_DEP_3)
	v_add_f64_e64 v[38:39], v[38:39], -v[42:43]
	v_fmac_f64_e32 v[40:41], 0xbc7abc9e3b39803f, v[18:19]
	s_delay_alu instid0(VALU_DEP_3) | instskip(NEXT) | instid1(VALU_DEP_1)
	v_add_f64_e64 v[26:27], v[26:27], -v[44:45]
	v_add_f64_e32 v[22:23], v[22:23], v[26:27]
	v_add_f64_e32 v[26:27], v[28:29], v[36:37]
	s_delay_alu instid0(VALU_DEP_2) | instskip(NEXT) | instid1(VALU_DEP_2)
	v_add_f64_e32 v[22:23], v[38:39], v[22:23]
	v_add_f64_e64 v[38:39], v[26:27], -v[28:29]
	s_delay_alu instid0(VALU_DEP_2) | instskip(NEXT) | instid1(VALU_DEP_2)
	v_add_f64_e32 v[22:23], v[46:47], v[22:23]
	v_add_f64_e64 v[36:37], v[36:37], -v[38:39]
	s_delay_alu instid0(VALU_DEP_2) | instskip(NEXT) | instid1(VALU_DEP_1)
	v_mul_f64_e32 v[22:23], v[28:29], v[22:23]
	v_add_f64_e32 v[22:23], v[36:37], v[22:23]
	s_delay_alu instid0(VALU_DEP_1) | instskip(NEXT) | instid1(VALU_DEP_1)
	v_add_f64_e32 v[28:29], v[26:27], v[22:23]
	v_add_f64_e32 v[36:37], v[24:25], v[28:29]
	v_add_f64_e64 v[26:27], v[28:29], -v[26:27]
	s_delay_alu instid0(VALU_DEP_2) | instskip(NEXT) | instid1(VALU_DEP_2)
	v_add_f64_e64 v[38:39], v[36:37], -v[24:25]
	v_add_f64_e64 v[22:23], v[22:23], -v[26:27]
	s_delay_alu instid0(VALU_DEP_2) | instskip(NEXT) | instid1(VALU_DEP_2)
	v_add_f64_e64 v[14:15], v[28:29], -v[38:39]
	v_add_f64_e32 v[26:27], v[20:21], v[22:23]
	s_delay_alu instid0(VALU_DEP_1) | instskip(SKIP_1) | instid1(VALU_DEP_2)
	v_add_f64_e32 v[14:15], v[26:27], v[14:15]
	v_add_f64_e64 v[26:27], v[24:25], -v[28:29]
	v_add_f64_e32 v[16:17], v[36:37], v[14:15]
	s_delay_alu instid0(VALU_DEP_2) | instskip(NEXT) | instid1(VALU_DEP_2)
	v_add_f64_e64 v[24:25], v[24:25], -v[26:27]
	v_rcp_f64_e32 v[38:39], v[16:17]
	s_delay_alu instid0(VALU_DEP_1) | instskip(NEXT) | instid1(VALU_DEP_1)
	v_add_f64_e64 v[24:25], v[24:25], -v[28:29]
	v_add_f64_e32 v[20:21], v[20:21], v[24:25]
	v_fmamk_f64 v[24:25], v[40:41], 0x3e5ade156a5dcb37, v[0:1]
	s_delay_alu instid0(TRANS32_DEP_1) | instskip(NEXT) | instid1(VALU_DEP_2)
	v_fma_f64 v[28:29], -v[16:17], v[38:39], 1.0
	v_fmaak_f64 v[24:25], v[40:41], v[24:25], 0x3ec71dee623fde64
	s_delay_alu instid0(VALU_DEP_1) | instskip(NEXT) | instid1(VALU_DEP_1)
	v_fmaak_f64 v[24:25], v[40:41], v[24:25], 0x3efa01997c89e6b0
	v_fmaak_f64 v[24:25], v[40:41], v[24:25], 0x3f2a01a014761f6e
	s_delay_alu instid0(VALU_DEP_1) | instskip(SKIP_2) | instid1(VALU_DEP_2)
	v_fmaak_f64 v[24:25], v[40:41], v[24:25], 0x3f56c16c1852b7b0
	v_add_f64_e64 v[20:21], v[20:21], -v[22:23]
	v_fmac_f64_e32 v[38:39], v[28:29], v[38:39]
	v_add_f64_e32 v[28:29], v[26:27], v[20:21]
	s_delay_alu instid0(VALU_DEP_2) | instskip(NEXT) | instid1(VALU_DEP_2)
	v_fma_f64 v[22:23], -v[16:17], v[38:39], 1.0
	v_add_f64_e64 v[26:27], v[28:29], -v[26:27]
	s_delay_alu instid0(VALU_DEP_2) | instskip(SKIP_1) | instid1(VALU_DEP_1)
	v_fmac_f64_e32 v[38:39], v[22:23], v[38:39]
	v_fmaak_f64 v[22:23], v[40:41], v[24:25], 0x3f81111111122322
	v_fmaak_f64 v[22:23], v[40:41], v[22:23], 0x3fa55555555502a1
	s_delay_alu instid0(VALU_DEP_1) | instskip(NEXT) | instid1(VALU_DEP_1)
	v_fmaak_f64 v[22:23], v[40:41], v[22:23], 0x3fc5555555555511
	v_fmaak_f64 v[22:23], v[40:41], v[22:23], 0x3fe000000000000b
	v_add_f64_e64 v[20:21], v[20:21], -v[26:27]
	s_delay_alu instid0(VALU_DEP_2) | instskip(SKIP_1) | instid1(VALU_DEP_2)
	v_fma_f64 v[22:23], v[40:41], v[22:23], 1.0
	v_mul_f64_e32 v[24:25], v[28:29], v[38:39]
	v_fma_f64 v[18:19], v[40:41], v[22:23], 1.0
	v_add_f64_e64 v[22:23], v[16:17], -v[36:37]
	v_mul_u64_e32 v[40:41], s[40:41], v[2:3]
	s_delay_alu instid0(VALU_DEP_4) | instskip(SKIP_1) | instid1(VALU_DEP_1)
	v_mul_f64_e32 v[36:37], v[16:17], v[24:25]
	v_mul_lo_u32 v40, s68, v34
	v_add_nc_u32_e32 v46, v30, v40
	s_delay_alu instid0(VALU_DEP_1) | instskip(NEXT) | instid1(VALU_DEP_1)
	v_ashrrev_i32_e32 v50, 31, v46
	v_add3_u32 v49, v50, v40, v30
	v_ldexp_f64 v[18:19], v[18:19], v35
	v_add_f64_e64 v[14:15], v[14:15], -v[22:23]
	v_mul_lo_u32 v48, v41, s61
	v_fma_f64 v[16:17], v[24:25], v[16:17], -v[36:37]
	s_delay_alu instid0(VALU_DEP_2) | instskip(NEXT) | instid1(VALU_DEP_1)
	v_dual_sub_nc_u32 v51, v2, v48 :: v_dual_bitop2_b32 v2, v49, v50 bitop3:0x14
	v_cmp_le_u32_e64 s1, s61, v51
	s_delay_alu instid0(VALU_DEP_2) | instskip(SKIP_2) | instid1(VALU_DEP_2)
	v_mul_u64_e32 v[48:49], s[42:43], v[2:3]
	v_add_f64_e32 v[18:19], 1.0, v[18:19]
	v_fmac_f64_e32 v[16:17], v[24:25], v[14:15]
	v_div_scale_f64 v[14:15], null, v[18:19], v[18:19], 1.0
	s_delay_alu instid0(VALU_DEP_2) | instskip(NEXT) | instid1(VALU_DEP_2)
	v_add_f64_e32 v[22:23], v[36:37], v[16:17]
	v_rcp_f64_e32 v[42:43], v[14:15]
	s_delay_alu instid0(VALU_DEP_1) | instskip(SKIP_1) | instid1(VALU_DEP_2)
	v_add_f64_e64 v[44:45], v[28:29], -v[22:23]
	v_add_f64_e64 v[34:35], v[22:23], -v[36:37]
	;; [unrolled: 1-line block ×3, first 2 shown]
	s_delay_alu instid0(VALU_DEP_2) | instskip(NEXT) | instid1(TRANS32_DEP_1)
	v_dual_add_f64 v[16:17], v[16:17], -v[34:35] :: v_dual_add_nc_u32 v28, v30, v33
	v_fma_f64 v[46:47], -v[14:15], v[42:43], 1.0
	v_mul_lo_u32 v29, v49, s63
	s_delay_alu instid0(VALU_DEP_3) | instskip(NEXT) | instid1(VALU_DEP_1)
	v_ashrrev_i32_e32 v34, 31, v28
	v_add3_u32 v28, v34, v33, v30
	s_delay_alu instid0(VALU_DEP_1) | instskip(SKIP_3) | instid1(VALU_DEP_2)
	v_dual_sub_nc_u32 v35, v2, v29 :: v_dual_bitop2_b32 v2, v28, v34 bitop3:0x14
	v_xor_b32_e32 v34, s66, v34
	v_add_f64_e64 v[22:23], v[36:37], -v[22:23]
	v_fmac_f64_e32 v[42:43], v[42:43], v[46:47]
	v_add_f64_e64 v[16:17], v[22:23], -v[16:17]
	v_mul_u64_e32 v[22:23], s[42:43], v[2:3]
	v_or_b32_e32 v22, 2, v32
	s_delay_alu instid0(VALU_DEP_4) | instskip(NEXT) | instid1(VALU_DEP_2)
	v_fma_f64 v[26:27], -v[14:15], v[42:43], 1.0
	v_mul_lo_u32 v22, s4, v22
	s_delay_alu instid0(VALU_DEP_1) | instskip(NEXT) | instid1(VALU_DEP_1)
	v_add_nc_u32_e32 v28, v30, v22
	v_ashrrev_i32_e32 v36, 31, v28
	v_add_f64_e32 v[16:17], v[20:21], v[16:17]
	v_mul_lo_u32 v29, v23, s63
	v_div_scale_f64 v[20:21], vcc_lo, 1.0, v[18:19], 1.0
	v_fmac_f64_e32 v[42:43], v[42:43], v[26:27]
	v_add3_u32 v26, v36, v22, v30
	s_delay_alu instid0(VALU_DEP_4) | instskip(NEXT) | instid1(VALU_DEP_2)
	v_sub_nc_u32_e32 v37, v2, v29
	v_xor_b32_e32 v2, v26, v36
	v_xor_b32_e32 v36, s66, v36
	s_delay_alu instid0(VALU_DEP_2) | instskip(SKIP_1) | instid1(VALU_DEP_1)
	v_mul_u64_e32 v[26:27], s[42:43], v[2:3]
	v_or_b32_e32 v26, 3, v32
	v_mul_lo_u32 v26, s4, v26
	s_delay_alu instid0(VALU_DEP_1) | instskip(NEXT) | instid1(VALU_DEP_1)
	v_dual_add_f64 v[16:17], v[44:45], v[16:17] :: v_dual_add_nc_u32 v44, v30, v26
	v_dual_mul_f64 v[28:29], v[20:21], v[42:43] :: v_dual_ashrrev_i32 v44, 31, v44
	s_delay_alu instid0(VALU_DEP_1) | instskip(SKIP_1) | instid1(VALU_DEP_4)
	v_add3_u32 v46, v44, v26, v30
	v_mul_lo_u32 v45, v27, s63
	v_mul_f64_e32 v[16:17], v[38:39], v[16:17]
	s_delay_alu instid0(VALU_DEP_2) | instskip(NEXT) | instid1(VALU_DEP_4)
	v_sub_nc_u32_e32 v38, v2, v45
	v_dual_add_nc_u32 v39, 1, v49 :: v_dual_bitop2_b32 v2, v46, v44 bitop3:0x14
	v_fma_f64 v[14:15], -v[14:15], v[28:29], v[20:21]
	v_subrev_nc_u32_e32 v45, s61, v51
	s_delay_alu instid0(VALU_DEP_3) | instskip(SKIP_1) | instid1(VALU_DEP_1)
	v_mul_u64_e32 v[20:21], s[42:43], v[2:3]
	v_dual_add_nc_u32 v20, 4, v32 :: v_dual_add_nc_u32 v32, 1, v41
	v_mul_lo_u32 v20, s4, v20
	s_delay_alu instid0(VALU_DEP_2) | instskip(SKIP_1) | instid1(VALU_DEP_3)
	v_dual_cndmask_b32 v32, v41, v32, s1 :: v_dual_cndmask_b32 v41, v51, v45, s1
	v_add_f64_e32 v[16:17], v[24:25], v[16:17]
	v_add_nc_u32_e32 v24, v30, v20
	v_div_fmas_f64 v[14:15], v[14:15], v[42:43], v[28:29]
	v_subrev_nc_u32_e32 v42, s63, v35
	s_delay_alu instid0(VALU_DEP_3)
	v_ashrrev_i32_e32 v28, 31, v24
	v_mul_lo_u32 v25, v21, s63
	v_cmp_le_u32_e32 vcc_lo, s63, v35
	v_xor_b32_e32 v29, s65, v31
	v_xor_b32_e32 v31, s66, v50
	v_add3_u32 v24, v28, v20, v30
	v_dual_cndmask_b32 v39, v49, v39, vcc_lo :: v_dual_sub_nc_u32 v43, v2, v25
	s_delay_alu instid0(VALU_DEP_2) | instskip(NEXT) | instid1(VALU_DEP_1)
	v_xor_b32_e32 v2, v24, v28
	v_mul_u64_e32 v[24:25], s[42:43], v[2:3]
	s_delay_alu instid0(VALU_DEP_3) | instskip(SKIP_1) | instid1(VALU_DEP_2)
	v_dual_cndmask_b32 v24, v35, v42 :: v_dual_add_nc_u32 v35, 1, v39
	v_xor_b32_e32 v42, s66, v44
	v_cmp_le_u32_e32 vcc_lo, s63, v24
	v_cndmask_b32_e64 v17, 0x3ff00000, v17, s0
	v_cndmask_b32_e64 v16, 0, v16, s0
	v_cmp_le_u32_e64 s0, s61, v41
	v_dual_cndmask_b32 v24, v39, v35 :: v_dual_add_nc_u32 v35, 1, v32
	v_cmp_gt_f64_e64 vcc_lo, 0x3e400000, |v[10:11]|
	v_div_fixup_f64 v[14:15], v[14:15], v[18:19], 1.0
	v_xor_b32_e32 v18, s66, v28
	s_delay_alu instid0(VALU_DEP_4) | instskip(SKIP_3) | instid1(VALU_DEP_4)
	v_xor_b32_e32 v24, v24, v31
	v_cndmask_b32_e64 v28, v32, v35, s0
	v_cmp_le_u32_e64 s0, s63, v37
	v_add_nc_u32_e32 v19, 1, v23
	v_sub_nc_u32_e32 v24, v24, v31
	v_subrev_nc_u32_e32 v31, s63, v37
	s_delay_alu instid0(VALU_DEP_3) | instskip(SKIP_1) | instid1(VALU_DEP_3)
	v_dual_cndmask_b32 v19, v23, v19, s0 :: v_dual_bitop2_b32 v23, v28, v29 bitop3:0x14
	v_add_nc_u32_e32 v28, 1, v27
	v_cndmask_b32_e64 v31, v37, v31, s0
	v_cmp_le_u32_e64 s0, s63, v38
	s_delay_alu instid0(VALU_DEP_4) | instskip(SKIP_1) | instid1(VALU_DEP_4)
	v_add_nc_u32_e32 v35, 1, v19
	v_mul_lo_u32 v32, v24, s55
	v_cmp_le_u32_e64 s1, s63, v31
	v_mul_lo_u32 v31, v25, s63
	v_cndmask_b32_e64 v27, v27, v28, s0
	v_subrev_nc_u32_e32 v28, s63, v38
	s_delay_alu instid0(VALU_DEP_4) | instskip(NEXT) | instid1(VALU_DEP_3)
	v_dual_add_nc_u32 v39, 1, v25 :: v_dual_cndmask_b32 v19, v19, v35, s1
	v_dual_add_nc_u32 v35, 1, v21 :: v_dual_add_nc_u32 v37, 1, v27
	s_delay_alu instid0(VALU_DEP_3) | instskip(SKIP_3) | instid1(VALU_DEP_3)
	v_cndmask_b32_e64 v28, v38, v28, s0
	v_cmp_le_u32_e64 s0, s63, v43
	v_and_b32_e32 v38, 0x7fffffff, v11
	v_dual_sub_nc_u32 v2, v2, v31 :: v_dual_cndmask_b32 v10, v16, v10, vcc_lo
	v_cndmask_b32_e64 v21, v21, v35, s0
	v_subrev_nc_u32_e32 v35, s63, v43
	s_delay_alu instid0(VALU_DEP_4) | instskip(NEXT) | instid1(VALU_DEP_4)
	v_cndmask_b32_e32 v16, v17, v38, vcc_lo
	v_cmp_le_u32_e64 s2, s63, v2
	s_delay_alu instid0(VALU_DEP_4) | instskip(NEXT) | instid1(VALU_DEP_3)
	v_add_nc_u32_e32 v31, 1, v21
	v_bfi_b32 v11, 0x7fffffff, v16, v11
	s_delay_alu instid0(VALU_DEP_3) | instskip(SKIP_3) | instid1(VALU_DEP_2)
	v_cndmask_b32_e64 v17, v25, v39, s2
	v_cndmask_b32_e64 v25, v43, v35, s0
	v_cmp_le_u32_e64 s0, s63, v28
	v_subrev_nc_u32_e32 v16, s63, v2
	v_cndmask_b32_e64 v27, v27, v37, s0
	v_cmp_ngt_f64_e32 vcc_lo, 0xc0900000, v[12:13]
	v_cmp_nlt_f64_e64 s1, 0x4090cc00, v[12:13]
	s_delay_alu instid0(VALU_DEP_4) | instskip(SKIP_1) | instid1(VALU_DEP_1)
	v_dual_add_f64 v[12:13], v[4:5], -v[10:11] :: v_dual_cndmask_b32 v2, v2, v16, s2
	v_cmp_le_u32_e64 s0, s63, v25
	v_dual_add_nc_u32 v16, 1, v17 :: v_dual_cndmask_b32 v21, v21, v31, s0
	s_delay_alu instid0(VALU_DEP_3) | instskip(NEXT) | instid1(VALU_DEP_2)
	v_cmp_le_u32_e64 s0, s63, v2
	v_xor_b32_e32 v21, v21, v42
	s_delay_alu instid0(VALU_DEP_2) | instskip(SKIP_1) | instid1(VALU_DEP_3)
	v_dual_cndmask_b32 v2, v17, v16, s0 :: v_dual_bitop2_b32 v17, v19, v34 bitop3:0x14
	v_xor_b32_e32 v19, v27, v36
	v_dual_sub_nc_u32 v16, v23, v29 :: v_dual_sub_nc_u32 v21, v21, v42
	s_delay_alu instid0(VALU_DEP_3) | instskip(NEXT) | instid1(VALU_DEP_3)
	v_xor_b32_e32 v2, v2, v18
	v_dual_sub_nc_u32 v17, v17, v34 :: v_dual_sub_nc_u32 v19, v19, v36
	s_delay_alu instid0(VALU_DEP_3) | instskip(NEXT) | instid1(VALU_DEP_4)
	v_mad_u32 v23, s71, v16, v30
	v_mul_lo_u32 v28, v21, s55
	s_delay_alu instid0(VALU_DEP_4) | instskip(NEXT) | instid1(VALU_DEP_4)
	v_sub_nc_u32_e32 v2, v2, v18
	v_mul_lo_u32 v25, v17, s55
	v_mul_lo_u32 v27, v19, s55
	v_sub_nc_u32_e32 v18, v40, v32
	s_delay_alu instid0(VALU_DEP_4) | instskip(SKIP_2) | instid1(VALU_DEP_3)
	v_mul_lo_u32 v29, v2, s55
	v_cndmask_b32_e32 v15, 0, v15, vcc_lo
	s_and_b32 vcc_lo, s1, vcc_lo
	v_add_nc_u32_e32 v18, v30, v18
	v_dual_cndmask_b32 v14, 0, v14, vcc_lo :: v_dual_sub_nc_u32 v26, v26, v28
	s_delay_alu instid0(VALU_DEP_3) | instskip(SKIP_3) | instid1(VALU_DEP_4)
	v_cndmask_b32_e64 v15, 0x3ff00000, v15, s1
	v_dual_sub_nc_u32 v25, v33, v25 :: v_dual_sub_nc_u32 v22, v22, v27
	v_mul_lo_u32 v23, v23, s27
	v_sub_nc_u32_e32 v20, v20, v29
	v_fma_f64 v[12:13], v[14:15], v[12:13], v[10:11]
	s_delay_alu instid0(VALU_DEP_4) | instskip(NEXT) | instid1(VALU_DEP_3)
	v_dual_add_nc_u32 v25, v30, v25 :: v_dual_add_nc_u32 v22, v30, v22
	v_dual_add_nc_u32 v26, v30, v26 :: v_dual_add_nc_u32 v20, v30, v20
	v_mul_lo_u32 v18, v18, s31
	s_delay_alu instid0(VALU_DEP_3) | instskip(NEXT) | instid1(VALU_DEP_4)
	v_mul_lo_u32 v25, v25, s31
	v_mul_lo_u32 v22, v22, s31
	s_delay_alu instid0(VALU_DEP_4) | instskip(SKIP_3) | instid1(VALU_DEP_2)
	v_mul_lo_u32 v26, v26, s31
	v_mul_lo_u32 v20, v20, s31
	v_add_nc_u32_e32 v30, s56, v30
	v_mad_u32 v16, v16, s26, v23
	v_cmp_le_i32_e32 vcc_lo, s5, v30
	v_mad_u32 v18, v24, s30, v18
	v_mad_u32 v17, v17, s30, v25
	;; [unrolled: 1-line block ×5, first 2 shown]
	s_or_b32 s72, vcc_lo, s72
	global_store_b64 v16, v[12:13], s[24:25] scale_offset
	s_clause 0x4
	global_store_b64 v18, v[8:9], s[28:29] scale_offset
	global_store_b64 v17, v[14:15], s[28:29] scale_offset
	;; [unrolled: 1-line block ×5, first 2 shown]
	s_wait_xcnt 0x0
	s_and_not1_b32 exec_lo, exec_lo, s72
	s_cbranch_execz .LBB33_6
.LBB33_4:                               ; =>This Inner Loop Header: Depth=1
	v_dual_mov_b32 v9, v3 :: v_dual_sub_nc_u32 v2, 0, v30
	s_delay_alu instid0(VALU_DEP_1) | instskip(NEXT) | instid1(VALU_DEP_1)
	v_max_i32_e32 v2, v30, v2
	v_mul_u64_e32 v[4:5], s[6:7], v[2:3]
	s_delay_alu instid0(VALU_DEP_1) | instskip(NEXT) | instid1(VALU_DEP_1)
	v_mul_lo_u32 v4, v5, s53
	v_dual_add_nc_u32 v6, 1, v5 :: v_dual_sub_nc_u32 v4, v2, v4
	s_delay_alu instid0(VALU_DEP_1) | instskip(NEXT) | instid1(VALU_DEP_2)
	v_cmp_le_u32_e32 vcc_lo, s53, v4
	v_cndmask_b32_e32 v5, v5, v6, vcc_lo
	v_subrev_nc_u32_e32 v7, s53, v4
	s_delay_alu instid0(VALU_DEP_2) | instskip(NEXT) | instid1(VALU_DEP_2)
	v_dual_ashrrev_i32 v31, 31, v30 :: v_dual_add_nc_u32 v6, 1, v5
	v_dual_cndmask_b32 v4, v4, v7 :: v_dual_mov_b32 v7, v3
	s_delay_alu instid0(VALU_DEP_1) | instskip(NEXT) | instid1(VALU_DEP_3)
	v_cmp_le_u32_e32 vcc_lo, s53, v4
	v_dual_cndmask_b32 v4, v5, v6, vcc_lo :: v_dual_bitop2_b32 v32, s57, v31 bitop3:0x14
	s_delay_alu instid0(VALU_DEP_1) | instskip(SKIP_1) | instid1(VALU_DEP_2)
	v_dual_lshlrev_b32 v6, 1, v32 :: v_dual_bitop2_b32 v33, v4, v32 bitop3:0x14
	v_mul_u64_e32 v[4:5], s[38:39], v[2:3]
	v_dual_lshlrev_b32 v4, 1, v33 :: v_dual_sub_nc_u32 v34, v33, v32
	s_delay_alu instid0(VALU_DEP_1) | instskip(NEXT) | instid1(VALU_DEP_2)
	v_sub_nc_u32_e32 v4, v4, v6
	v_mul_lo_u32 v22, s67, v34
	s_delay_alu instid0(VALU_DEP_2) | instskip(NEXT) | instid1(VALU_DEP_1)
	v_dual_add_nc_u32 v4, 2, v4 :: v_dual_bitop2_b32 v6, 1, v4 bitop3:0x54
	v_mul_lo_u32 v23, s4, v6
	s_delay_alu instid0(VALU_DEP_2) | instskip(NEXT) | instid1(VALU_DEP_4)
	v_mul_lo_u32 v24, s4, v4
	v_add_nc_u32_e32 v4, v30, v22
	s_delay_alu instid0(VALU_DEP_1) | instskip(NEXT) | instid1(VALU_DEP_3)
	v_dual_ashrrev_i32 v25, 31, v4 :: v_dual_add_nc_u32 v4, v30, v23
	v_add_nc_u32_e32 v6, v30, v24
	s_delay_alu instid0(VALU_DEP_2) | instskip(NEXT) | instid1(VALU_DEP_2)
	v_add3_u32 v8, v25, v22, v30
	v_dual_ashrrev_i32 v26, 31, v4 :: v_dual_ashrrev_i32 v27, 31, v6
	s_delay_alu instid0(VALU_DEP_2) | instskip(SKIP_1) | instid1(VALU_DEP_3)
	v_xor_b32_e32 v6, v8, v25
	v_mul_lo_u32 v4, v5, s60
	v_add3_u32 v8, v26, v23, v30
	s_delay_alu instid0(VALU_DEP_4) | instskip(NEXT) | instid1(VALU_DEP_4)
	v_add3_u32 v10, v27, v24, v30
	v_mul_u64_e32 v[12:13], s[34:35], v[6:7]
	v_mul_u64_e32 v[14:15], s[36:37], v[6:7]
	s_delay_alu instid0(VALU_DEP_4) | instskip(NEXT) | instid1(VALU_DEP_4)
	v_dual_mov_b32 v11, v3 :: v_dual_bitop2_b32 v8, v8, v26 bitop3:0x14
	v_xor_b32_e32 v10, v10, v27
	v_dual_sub_nc_u32 v7, v2, v4 :: v_dual_add_nc_u32 v4, 1, v5
	s_delay_alu instid0(VALU_DEP_3) | instskip(NEXT) | instid1(VALU_DEP_3)
	v_mul_u64_e32 v[16:17], s[34:35], v[8:9]
	v_mul_u64_e32 v[18:19], s[34:35], v[10:11]
	;; [unrolled: 1-line block ×3, first 2 shown]
	s_delay_alu instid0(VALU_DEP_4) | instskip(SKIP_3) | instid1(VALU_DEP_2)
	v_cmp_le_u32_e32 vcc_lo, s60, v7
	v_dual_cndmask_b32 v9, v5, v4, vcc_lo :: v_dual_bitop2_b32 v18, s62, v26 bitop3:0x14
	v_subrev_nc_u32_e32 v12, s60, v7
	v_mul_u64_e32 v[4:5], s[36:37], v[10:11]
	v_dual_cndmask_b32 v4, v7, v12, vcc_lo :: v_dual_bitop2_b32 v11, s64, v31 bitop3:0x14
	s_delay_alu instid0(VALU_DEP_4) | instskip(NEXT) | instid1(VALU_DEP_2)
	v_dual_add_nc_u32 v7, 1, v9 :: v_dual_bitop2_b32 v12, s59, v26 bitop3:0x14
	v_cmp_le_u32_e32 vcc_lo, s60, v4
	v_mul_lo_u32 v16, v13, s54
	s_delay_alu instid0(VALU_DEP_3)
	v_dual_cndmask_b32 v4, v9, v7, vcc_lo :: v_dual_bitop2_b32 v7, s59, v25 bitop3:0x14
	v_xor_b32_e32 v9, s62, v25
	v_mul_lo_u32 v25, v15, s58
	v_xor_b32_e32 v14, s59, v27
	v_dual_add_nc_u32 v26, 1, v13 :: v_dual_bitop2_b32 v20, s62, v27 bitop3:0x14
	v_add_nc_u32_e32 v27, 1, v15
	v_mul_lo_u32 v28, v17, s54
	v_mul_lo_u32 v35, v19, s54
	v_sub_nc_u32_e32 v16, v6, v16
	v_mul_lo_u32 v37, v21, s58
	v_dual_add_nc_u32 v29, 1, v17 :: v_dual_bitop2_b32 v4, v4, v11 bitop3:0x14
	v_sub_nc_u32_e32 v6, v6, v25
	s_delay_alu instid0(VALU_DEP_4)
	v_subrev_nc_u32_e32 v40, s54, v16
	v_cmp_le_u32_e32 vcc_lo, s54, v16
	v_add_nc_u32_e32 v36, 1, v19
	v_mul_lo_u32 v39, v5, s58
	v_cmp_le_u32_e64 s0, s58, v6
	v_dual_add_nc_u32 v25, 1, v5 :: v_dual_cndmask_b32 v13, v13, v26, vcc_lo
	v_subrev_nc_u32_e32 v26, s58, v6
	s_delay_alu instid0(VALU_DEP_3) | instskip(NEXT) | instid1(VALU_DEP_3)
	v_dual_cndmask_b32 v16, v16, v40, vcc_lo :: v_dual_cndmask_b32 v15, v15, v27, s0
	v_dual_sub_nc_u32 v28, v8, v28 :: v_dual_add_nc_u32 v27, 1, v13
	v_dual_sub_nc_u32 v35, v10, v35 :: v_dual_sub_nc_u32 v8, v8, v37
	s_delay_alu instid0(VALU_DEP_3) | instskip(NEXT) | instid1(VALU_DEP_4)
	v_dual_cndmask_b32 v6, v6, v26, s0 :: v_dual_add_nc_u32 v26, 1, v15
	v_cmp_le_u32_e32 vcc_lo, s54, v16
	s_delay_alu instid0(VALU_DEP_3) | instskip(SKIP_1) | instid1(VALU_DEP_4)
	v_cmp_le_u32_e64 s0, s54, v35
	v_add_nc_u32_e32 v38, 1, v21
	v_cmp_le_u32_e64 s1, s58, v6
	v_sub_nc_u32_e32 v4, v4, v11
	s_delay_alu instid0(VALU_DEP_4)
	v_dual_cndmask_b32 v13, v13, v27, vcc_lo :: v_dual_cndmask_b32 v19, v19, v36, s0
	v_cmp_le_u32_e32 vcc_lo, s54, v28
	v_sub_nc_u32_e32 v10, v10, v39
	v_subrev_nc_u32_e32 v27, s54, v35
	v_cndmask_b32_e32 v16, v17, v29, vcc_lo
	v_subrev_nc_u32_e32 v17, s54, v28
	s_delay_alu instid0(VALU_DEP_4)
	v_cmp_le_u32_e64 s2, s58, v10
	v_cndmask_b32_e64 v6, v15, v26, s1
	v_cmp_le_u32_e64 s1, s58, v8
	v_dual_add_nc_u32 v26, 1, v16 :: v_dual_bitop2_b32 v13, v13, v7 bitop3:0x14
	v_cndmask_b32_e32 v17, v28, v17, vcc_lo
	v_cndmask_b32_e64 v5, v5, v25, s2
	s_delay_alu instid0(VALU_DEP_4) | instskip(SKIP_4) | instid1(VALU_DEP_4)
	v_cndmask_b32_e64 v15, v21, v38, s1
	v_subrev_nc_u32_e32 v21, s58, v8
	v_subrev_nc_u32_e32 v25, s58, v10
	v_dual_cndmask_b32 v27, v35, v27, s0 :: v_dual_bitop2_b32 v6, v6, v9 bitop3:0x14
	v_cmp_le_u32_e32 vcc_lo, s54, v17
	v_dual_add_nc_u32 v28, 1, v19 :: v_dual_cndmask_b32 v8, v8, v21, s1
	s_delay_alu instid0(VALU_DEP_4)
	v_dual_add_nc_u32 v21, 1, v15 :: v_dual_cndmask_b32 v10, v10, v25, s2
	v_dual_add_nc_u32 v25, 1, v5 :: v_dual_sub_nc_u32 v7, v13, v7
	v_cndmask_b32_e32 v13, v16, v26, vcc_lo
	v_cmp_le_u32_e32 vcc_lo, s54, v27
	v_mad_u32 v17, s70, v4, v30
	v_cndmask_b32_e32 v16, v19, v28, vcc_lo
	v_cmp_le_u32_e32 vcc_lo, s58, v8
	v_dual_sub_nc_u32 v6, v6, v9 :: v_dual_bitop2_b32 v9, v13, v12 bitop3:0x14
	v_mul_lo_u32 v13, v7, s3
	v_cndmask_b32_e32 v8, v15, v21, vcc_lo
	v_cmp_le_u32_e32 vcc_lo, s58, v10
	v_xor_b32_e32 v10, v16, v14
	v_mul_lo_u32 v17, v17, s23
	s_delay_alu instid0(VALU_DEP_4) | instskip(NEXT) | instid1(VALU_DEP_3)
	v_dual_cndmask_b32 v5, v5, v25, vcc_lo :: v_dual_bitop2_b32 v8, v8, v18 bitop3:0x14
	v_dual_sub_nc_u32 v9, v9, v12 :: v_dual_sub_nc_u32 v10, v10, v14
	v_mul_lo_u32 v12, v6, s33
	s_delay_alu instid0(VALU_DEP_3) | instskip(NEXT) | instid1(VALU_DEP_3)
	v_dual_sub_nc_u32 v8, v8, v18 :: v_dual_bitop2_b32 v5, v5, v20 bitop3:0x14
	v_mul_lo_u32 v14, v9, s3
	s_delay_alu instid0(VALU_DEP_4) | instskip(SKIP_1) | instid1(VALU_DEP_4)
	v_mul_lo_u32 v15, v10, s3
	v_sub_nc_u32_e32 v13, v22, v13
	v_mul_lo_u32 v11, v8, s33
	v_sub_nc_u32_e32 v5, v5, v20
	s_and_not1_b32 vcc_lo, exec_lo, s52
	v_mad_u32 v4, v4, s22, v17
	v_sub_nc_u32_e32 v12, v22, v12
	s_delay_alu instid0(VALU_DEP_3) | instskip(SKIP_1) | instid1(VALU_DEP_3)
	v_mul_lo_u32 v16, v5, s33
	v_dual_add_nc_u32 v13, v30, v13 :: v_dual_sub_nc_u32 v14, v23, v14
	v_dual_sub_nc_u32 v15, v24, v15 :: v_dual_add_nc_u32 v12, v30, v12
	v_sub_nc_u32_e32 v11, v23, v11
	s_delay_alu instid0(VALU_DEP_3) | instskip(NEXT) | instid1(VALU_DEP_3)
	v_mul_lo_u32 v13, v13, s13
	v_dual_add_nc_u32 v14, v30, v14 :: v_dual_add_nc_u32 v15, v30, v15
	s_delay_alu instid0(VALU_DEP_4) | instskip(NEXT) | instid1(VALU_DEP_4)
	v_mul_lo_u32 v12, v12, s17
	v_dual_sub_nc_u32 v16, v24, v16 :: v_dual_add_nc_u32 v11, v30, v11
	s_delay_alu instid0(VALU_DEP_3) | instskip(NEXT) | instid1(VALU_DEP_4)
	v_mul_lo_u32 v14, v14, s13
	v_mul_lo_u32 v15, v15, s13
	s_delay_alu instid0(VALU_DEP_3) | instskip(NEXT) | instid1(VALU_DEP_4)
	v_add_nc_u32_e32 v16, v30, v16
	v_mul_lo_u32 v11, v11, s17
	v_mad_u32 v7, v7, s12, v13
	s_delay_alu instid0(VALU_DEP_3)
	v_mul_lo_u32 v16, v16, s17
	v_mad_u32 v9, v9, s12, v14
	v_mad_u32 v10, v10, s12, v15
	;; [unrolled: 1-line block ×5, first 2 shown]
	s_clause 0x2
	global_load_b64 v[22:23], v7, s[10:11] scale_offset
	global_load_b64 v[12:13], v9, s[10:11] scale_offset
	;; [unrolled: 1-line block ×3, first 2 shown]
	s_clause 0x2
	global_load_b64 v[24:25], v14, s[14:15] scale_offset
	global_load_b64 v[14:15], v8, s[14:15] scale_offset
	;; [unrolled: 1-line block ×4, first 2 shown]
	s_cbranch_vccz .LBB33_2
; %bb.5:                                ;   in Loop: Header=BB33_4 Depth=1
	v_mov_b64_e32 v[16:17], 0
	v_mov_b64_e32 v[10:11], 0
	;; [unrolled: 1-line block ×6, first 2 shown]
	s_branch .LBB33_3
.LBB33_6:
	s_endpgm
	.section	.rodata,"a",@progbits
	.p2align	6, 0x0
	.amdhsa_kernel _ZN2at6native12_GLOBAL__N_16kernel16gru_cell_forwardIddiLi2EEEvNS_4cuda6detail10TensorInfoIT_T1_EES9_S9_S9_S9_S9_S9_S8_S8_
		.amdhsa_group_segment_fixed_size 0
		.amdhsa_private_segment_fixed_size 0
		.amdhsa_kernarg_size 1776
		.amdhsa_user_sgpr_count 2
		.amdhsa_user_sgpr_dispatch_ptr 0
		.amdhsa_user_sgpr_queue_ptr 0
		.amdhsa_user_sgpr_kernarg_segment_ptr 1
		.amdhsa_user_sgpr_dispatch_id 0
		.amdhsa_user_sgpr_kernarg_preload_length 0
		.amdhsa_user_sgpr_kernarg_preload_offset 0
		.amdhsa_user_sgpr_private_segment_size 0
		.amdhsa_wavefront_size32 1
		.amdhsa_uses_dynamic_stack 0
		.amdhsa_enable_private_segment 0
		.amdhsa_system_sgpr_workgroup_id_x 1
		.amdhsa_system_sgpr_workgroup_id_y 0
		.amdhsa_system_sgpr_workgroup_id_z 0
		.amdhsa_system_sgpr_workgroup_info 0
		.amdhsa_system_vgpr_workitem_id 0
		.amdhsa_next_free_vgpr 52
		.amdhsa_next_free_sgpr 73
		.amdhsa_named_barrier_count 0
		.amdhsa_reserve_vcc 1
		.amdhsa_float_round_mode_32 0
		.amdhsa_float_round_mode_16_64 0
		.amdhsa_float_denorm_mode_32 3
		.amdhsa_float_denorm_mode_16_64 3
		.amdhsa_fp16_overflow 0
		.amdhsa_memory_ordered 1
		.amdhsa_forward_progress 1
		.amdhsa_inst_pref_size 41
		.amdhsa_round_robin_scheduling 0
		.amdhsa_exception_fp_ieee_invalid_op 0
		.amdhsa_exception_fp_denorm_src 0
		.amdhsa_exception_fp_ieee_div_zero 0
		.amdhsa_exception_fp_ieee_overflow 0
		.amdhsa_exception_fp_ieee_underflow 0
		.amdhsa_exception_fp_ieee_inexact 0
		.amdhsa_exception_int_div_zero 0
	.end_amdhsa_kernel
	.section	.text._ZN2at6native12_GLOBAL__N_16kernel16gru_cell_forwardIddiLi2EEEvNS_4cuda6detail10TensorInfoIT_T1_EES9_S9_S9_S9_S9_S9_S8_S8_,"axG",@progbits,_ZN2at6native12_GLOBAL__N_16kernel16gru_cell_forwardIddiLi2EEEvNS_4cuda6detail10TensorInfoIT_T1_EES9_S9_S9_S9_S9_S9_S8_S8_,comdat
.Lfunc_end33:
	.size	_ZN2at6native12_GLOBAL__N_16kernel16gru_cell_forwardIddiLi2EEEvNS_4cuda6detail10TensorInfoIT_T1_EES9_S9_S9_S9_S9_S9_S8_S8_, .Lfunc_end33-_ZN2at6native12_GLOBAL__N_16kernel16gru_cell_forwardIddiLi2EEEvNS_4cuda6detail10TensorInfoIT_T1_EES9_S9_S9_S9_S9_S9_S8_S8_
                                        ; -- End function
	.set _ZN2at6native12_GLOBAL__N_16kernel16gru_cell_forwardIddiLi2EEEvNS_4cuda6detail10TensorInfoIT_T1_EES9_S9_S9_S9_S9_S9_S8_S8_.num_vgpr, 52
	.set _ZN2at6native12_GLOBAL__N_16kernel16gru_cell_forwardIddiLi2EEEvNS_4cuda6detail10TensorInfoIT_T1_EES9_S9_S9_S9_S9_S9_S8_S8_.num_agpr, 0
	.set _ZN2at6native12_GLOBAL__N_16kernel16gru_cell_forwardIddiLi2EEEvNS_4cuda6detail10TensorInfoIT_T1_EES9_S9_S9_S9_S9_S9_S8_S8_.numbered_sgpr, 73
	.set _ZN2at6native12_GLOBAL__N_16kernel16gru_cell_forwardIddiLi2EEEvNS_4cuda6detail10TensorInfoIT_T1_EES9_S9_S9_S9_S9_S9_S8_S8_.num_named_barrier, 0
	.set _ZN2at6native12_GLOBAL__N_16kernel16gru_cell_forwardIddiLi2EEEvNS_4cuda6detail10TensorInfoIT_T1_EES9_S9_S9_S9_S9_S9_S8_S8_.private_seg_size, 0
	.set _ZN2at6native12_GLOBAL__N_16kernel16gru_cell_forwardIddiLi2EEEvNS_4cuda6detail10TensorInfoIT_T1_EES9_S9_S9_S9_S9_S9_S8_S8_.uses_vcc, 1
	.set _ZN2at6native12_GLOBAL__N_16kernel16gru_cell_forwardIddiLi2EEEvNS_4cuda6detail10TensorInfoIT_T1_EES9_S9_S9_S9_S9_S9_S8_S8_.uses_flat_scratch, 0
	.set _ZN2at6native12_GLOBAL__N_16kernel16gru_cell_forwardIddiLi2EEEvNS_4cuda6detail10TensorInfoIT_T1_EES9_S9_S9_S9_S9_S9_S8_S8_.has_dyn_sized_stack, 0
	.set _ZN2at6native12_GLOBAL__N_16kernel16gru_cell_forwardIddiLi2EEEvNS_4cuda6detail10TensorInfoIT_T1_EES9_S9_S9_S9_S9_S9_S8_S8_.has_recursion, 0
	.set _ZN2at6native12_GLOBAL__N_16kernel16gru_cell_forwardIddiLi2EEEvNS_4cuda6detail10TensorInfoIT_T1_EES9_S9_S9_S9_S9_S9_S8_S8_.has_indirect_call, 0
	.section	.AMDGPU.csdata,"",@progbits
; Kernel info:
; codeLenInByte = 5176
; TotalNumSgprs: 75
; NumVgprs: 52
; ScratchSize: 0
; MemoryBound: 0
; FloatMode: 240
; IeeeMode: 1
; LDSByteSize: 0 bytes/workgroup (compile time only)
; SGPRBlocks: 0
; VGPRBlocks: 3
; NumSGPRsForWavesPerEU: 75
; NumVGPRsForWavesPerEU: 52
; NamedBarCnt: 0
; Occupancy: 16
; WaveLimiterHint : 1
; COMPUTE_PGM_RSRC2:SCRATCH_EN: 0
; COMPUTE_PGM_RSRC2:USER_SGPR: 2
; COMPUTE_PGM_RSRC2:TRAP_HANDLER: 0
; COMPUTE_PGM_RSRC2:TGID_X_EN: 1
; COMPUTE_PGM_RSRC2:TGID_Y_EN: 0
; COMPUTE_PGM_RSRC2:TGID_Z_EN: 0
; COMPUTE_PGM_RSRC2:TIDIG_COMP_CNT: 0
	.section	.text._ZN2at6native12_GLOBAL__N_16kernel16gru_cell_forwardIddlLi1EEEvNS_4cuda6detail10TensorInfoIT_T1_EES9_S9_S9_S9_S9_S9_S8_S8_,"axG",@progbits,_ZN2at6native12_GLOBAL__N_16kernel16gru_cell_forwardIddlLi1EEEvNS_4cuda6detail10TensorInfoIT_T1_EES9_S9_S9_S9_S9_S9_S8_S8_,comdat
	.globl	_ZN2at6native12_GLOBAL__N_16kernel16gru_cell_forwardIddlLi1EEEvNS_4cuda6detail10TensorInfoIT_T1_EES9_S9_S9_S9_S9_S9_S8_S8_ ; -- Begin function _ZN2at6native12_GLOBAL__N_16kernel16gru_cell_forwardIddlLi1EEEvNS_4cuda6detail10TensorInfoIT_T1_EES9_S9_S9_S9_S9_S9_S8_S8_
	.p2align	8
	.type	_ZN2at6native12_GLOBAL__N_16kernel16gru_cell_forwardIddlLi1EEEvNS_4cuda6detail10TensorInfoIT_T1_EES9_S9_S9_S9_S9_S9_S8_S8_,@function
_ZN2at6native12_GLOBAL__N_16kernel16gru_cell_forwardIddlLi1EEEvNS_4cuda6detail10TensorInfoIT_T1_EES9_S9_S9_S9_S9_S9_S8_S8_: ; @_ZN2at6native12_GLOBAL__N_16kernel16gru_cell_forwardIddlLi1EEEvNS_4cuda6detail10TensorInfoIT_T1_EES9_S9_S9_S9_S9_S9_S8_S8_
; %bb.0:
	s_clause 0x1
	s_load_b32 s2, s[0:1], 0xb7c
	s_load_b128 s[4:7], s[0:1], 0xb60
	s_bfe_u32 s3, ttmp6, 0x4000c
	s_and_b32 s8, ttmp6, 15
	s_add_co_i32 s3, s3, 1
	s_getreg_b32 s9, hwreg(HW_REG_IB_STS2, 6, 4)
	s_mul_i32 s3, ttmp9, s3
	v_mov_b32_e32 v2, 0
	s_add_co_i32 s8, s8, s3
	s_delay_alu instid0(VALU_DEP_1)
	v_mov_b32_e32 v1, v2
	s_wait_kmcnt 0x0
	s_and_b32 s2, s2, 0xffff
	s_cmp_eq_u32 s9, 0
	s_cselect_b32 s3, ttmp9, s8
	s_mov_b32 s8, exec_lo
	v_mad_u32 v0, s3, s2, v0
	s_mov_b32 s3, 0
	s_delay_alu instid0(VALU_DEP_1)
	v_cmpx_gt_i64_e64 s[6:7], v[0:1]
	s_cbranch_execz .LBB34_10
; %bb.1:
	s_clause 0x3
	s_load_b64 s[46:47], s[0:1], 0x750
	s_load_b64 s[48:49], s[0:1], 0x8f0
	;; [unrolled: 1-line block ×4, first 2 shown]
	s_add_nc_u64 s[28:29], s[0:1], 0xb70
	s_load_b64 s[8:9], s[0:1], 0x340
	s_load_b32 s33, s[28:29], 0x0
	s_clause 0x8
	s_load_b64 s[10:11], s[0:1], 0x0
	s_load_b64 s[12:13], s[0:1], 0xd0
	;; [unrolled: 1-line block ×9, first 2 shown]
	v_mov_b64_e32 v[4:5], 0x3e928af3fca7ab0c
	s_wait_xcnt 0x0
	s_mov_b32 s29, s3
	s_sub_nc_u64 s[30:31], 0, s[4:5]
	s_mov_b64 s[34:35], 0xffffffff
	s_mov_b64 s[36:37], 0xbfe62e42fefa39ef
	;; [unrolled: 1-line block ×4, first 2 shown]
                                        ; implicit-def: $vgpr10_vgpr11
                                        ; implicit-def: $vgpr10_vgpr11
	;; [unrolled: 1-line block ×8, first 2 shown]
	s_wait_kmcnt 0x0
	s_cmp_lg_u64 s[8:9], 0
	s_mul_i32 s28, s33, s2
	s_cselect_b32 s1, -1, 0
	s_lshl_b64 s[42:43], s[4:5], 1
	s_lshl_b64 s[44:45], s[4:5], 2
	v_mul_u64_e32 v[6:7], s[46:47], v[0:1]
	v_mul_u64_e32 v[8:9], s[48:49], v[0:1]
	s_mul_u64 s[46:47], s[28:29], s[46:47]
	s_mul_u64 s[48:49], s[28:29], s[48:49]
	s_lshl_b64 s[46:47], s[46:47], 3
	s_lshl_b64 s[48:49], s[48:49], 3
	s_mov_b32 s33, 0
	s_delay_alu instid0(VALU_DEP_2) | instskip(NEXT) | instid1(VALU_DEP_2)
	v_lshl_add_u64 v[6:7], v[6:7], 3, s[50:51]
	v_lshl_add_u64 v[8:9], v[8:9], 3, s[52:53]
	s_ashr_i32 s50, s5, 31
	s_branch .LBB34_5
.LBB34_2:                               ;   in Loop: Header=BB34_5 Depth=1
	s_or_b32 exec_lo, exec_lo, s0
	s_delay_alu instid0(VALU_DEP_1) | instskip(SKIP_2) | instid1(VALU_DEP_2)
	v_lshlrev_b64_e32 v[12:13], 1, v[10:11]
	v_mad_nc_u64_u32 v[16:17], s42, v10, v[0:1]
	s_and_not1_b32 vcc_lo, exec_lo, s1
	v_add_nc_u64_e32 v[14:15], 2, v[12:13]
	v_or_b32_e32 v3, 1, v12
	s_delay_alu instid0(VALU_DEP_3) | instskip(NEXT) | instid1(VALU_DEP_2)
	v_mad_u32 v12, s43, v10, v17
	v_mad_nc_u64_u32 v[18:19], s4, v3, v[0:1]
	s_delay_alu instid0(VALU_DEP_4) | instskip(NEXT) | instid1(VALU_DEP_3)
	v_mad_nc_u64_u32 v[20:21], s4, v14, v[0:1]
	v_mad_u32 v17, s42, v11, v12
	s_delay_alu instid0(VALU_DEP_3) | instskip(NEXT) | instid1(VALU_DEP_3)
	v_mad_u32 v3, s5, v3, v19
	v_mad_u32 v14, s5, v14, v21
	s_delay_alu instid0(VALU_DEP_2) | instskip(NEXT) | instid1(VALU_DEP_2)
	v_mad_u32 v19, s4, v13, v3
	v_mad_u32 v21, s4, v15, v14
	v_mul_u64_e32 v[12:13], s[12:13], v[16:17]
	v_mul_u64_e32 v[14:15], s[16:17], v[16:17]
	s_delay_alu instid0(VALU_DEP_4) | instskip(NEXT) | instid1(VALU_DEP_4)
	v_mul_u64_e32 v[16:17], s[12:13], v[18:19]
	v_mul_u64_e32 v[22:23], s[12:13], v[20:21]
	;; [unrolled: 1-line block ×4, first 2 shown]
	v_lshl_add_u64 v[24:25], v[12:13], 3, s[10:11]
	v_lshl_add_u64 v[26:27], v[14:15], 3, s[14:15]
	v_lshl_add_u64 v[28:29], v[16:17], 3, s[10:11]
	v_lshl_add_u64 v[22:23], v[22:23], 3, s[10:11]
	v_lshl_add_u64 v[34:35], v[18:19], 3, s[14:15]
	v_lshl_add_u64 v[36:37], v[20:21], 3, s[14:15]
	s_clause 0x2
	global_load_b64 v[30:31], v[24:25], off
	global_load_b64 v[14:15], v[28:29], off
	;; [unrolled: 1-line block ×3, first 2 shown]
	s_clause 0x2
	global_load_b64 v[32:33], v[26:27], off
	global_load_b64 v[16:17], v[34:35], off
	;; [unrolled: 1-line block ×4, first 2 shown]
	s_cbranch_vccnz .LBB34_9
; %bb.3:                                ;   in Loop: Header=BB34_5 Depth=1
	s_wait_xcnt 0x4
	v_sub_nc_u64_e32 v[22:23], 1, v[10:11]
	v_sub_nc_u64_e32 v[24:25], 2, v[10:11]
	s_wait_xcnt 0x3
	v_mad_nc_u64_u32 v[26:27], s30, v10, v[0:1]
	s_delay_alu instid0(VALU_DEP_3) | instskip(SKIP_1) | instid1(VALU_DEP_3)
	v_mad_nc_u64_u32 v[28:29], s4, v22, v[0:1]
	s_wait_xcnt 0x2
	v_mad_nc_u64_u32 v[34:35], s4, v24, v[0:1]
	s_delay_alu instid0(VALU_DEP_3) | instskip(NEXT) | instid1(VALU_DEP_3)
	v_mad_u32 v3, s31, v10, v27
	v_mad_u32 v22, s5, v22, v29
	s_delay_alu instid0(VALU_DEP_3) | instskip(NEXT) | instid1(VALU_DEP_3)
	v_mad_u32 v24, s5, v24, v35
	v_mad_u32 v27, s30, v11, v3
	;; [unrolled: 3-line block ×3, first 2 shown]
	s_delay_alu instid0(VALU_DEP_3) | instskip(SKIP_1) | instid1(VALU_DEP_4)
	v_mul_u64_e32 v[22:23], s[18:19], v[26:27]
	v_mul_u64_e32 v[24:25], s[22:23], v[26:27]
	;; [unrolled: 1-line block ×3, first 2 shown]
	s_wait_xcnt 0x1
	s_delay_alu instid0(VALU_DEP_4)
	v_mul_u64_e32 v[36:37], s[18:19], v[34:35]
	v_mul_u64_e32 v[28:29], s[22:23], v[28:29]
	;; [unrolled: 1-line block ×3, first 2 shown]
	v_lshl_add_u64 v[38:39], v[22:23], 3, s[8:9]
	v_lshl_add_u64 v[40:41], v[24:25], 3, s[20:21]
	;; [unrolled: 1-line block ×6, first 2 shown]
	s_clause 0x2
	global_load_b64 v[36:37], v[38:39], off
	global_load_b64 v[22:23], v[42:43], off
	;; [unrolled: 1-line block ×3, first 2 shown]
	s_clause 0x2
	global_load_b64 v[34:35], v[40:41], off
	global_load_b64 v[26:27], v[46:47], off
	;; [unrolled: 1-line block ×3, first 2 shown]
.LBB34_4:                               ;   in Loop: Header=BB34_5 Depth=1
	s_wait_loadcnt 0x3
	v_add_f64_e32 v[30:31], v[30:31], v[32:33]
	v_add_f64_e32 v[24:25], v[18:19], v[24:25]
	s_wait_loadcnt 0x0
	v_add_f64_e32 v[18:19], v[20:21], v[28:29]
	v_add_f64_e32 v[14:15], v[14:15], v[16:17]
	s_wait_xcnt 0x0
	v_add_nc_u64_e32 v[6:7], s[46:47], v[6:7]
	v_add_f64_e32 v[30:31], v[30:31], v[36:37]
	s_delay_alu instid0(VALU_DEP_3) | instskip(NEXT) | instid1(VALU_DEP_2)
	v_add_f64_e32 v[14:15], v[14:15], v[22:23]
	v_add_f64_e32 v[30:31], v[34:35], v[30:31]
	s_delay_alu instid0(VALU_DEP_2) | instskip(NEXT) | instid1(VALU_DEP_2)
	v_add_f64_e32 v[14:15], v[14:15], v[26:27]
	v_mul_f64_e32 v[32:33], 0xbff71547652b82fe, v[30:31]
	s_delay_alu instid0(VALU_DEP_2) | instskip(NEXT) | instid1(VALU_DEP_2)
	v_mul_f64_e32 v[26:27], 0xbff71547652b82fe, v[14:15]
	v_rndne_f64_e32 v[32:33], v[32:33]
	s_delay_alu instid0(VALU_DEP_2) | instskip(NEXT) | instid1(VALU_DEP_2)
	v_rndne_f64_e32 v[26:27], v[26:27]
	v_fma_f64 v[34:35], v[32:33], s[36:37], -v[30:31]
	v_cvt_i32_f64_e32 v3, v[32:33]
	s_delay_alu instid0(VALU_DEP_2) | instskip(NEXT) | instid1(VALU_DEP_1)
	v_fmac_f64_e32 v[34:35], 0xbc7abc9e3b39803f, v[32:33]
	v_fmamk_f64 v[36:37], v[34:35], 0x3e5ade156a5dcb37, v[4:5]
	s_delay_alu instid0(VALU_DEP_1) | instskip(NEXT) | instid1(VALU_DEP_1)
	v_fmaak_f64 v[36:37], v[34:35], v[36:37], 0x3ec71dee623fde64
	v_fmaak_f64 v[36:37], v[34:35], v[36:37], 0x3efa01997c89e6b0
	s_delay_alu instid0(VALU_DEP_1) | instskip(NEXT) | instid1(VALU_DEP_1)
	v_fmaak_f64 v[36:37], v[34:35], v[36:37], 0x3f2a01a014761f6e
	v_fmaak_f64 v[36:37], v[34:35], v[36:37], 0x3f56c16c1852b7b0
	;; [unrolled: 3-line block ×4, first 2 shown]
	s_delay_alu instid0(VALU_DEP_1) | instskip(NEXT) | instid1(VALU_DEP_1)
	v_fma_f64 v[36:37], v[34:35], v[36:37], 1.0
	v_fma_f64 v[32:33], v[34:35], v[36:37], 1.0
	s_delay_alu instid0(VALU_DEP_1) | instskip(NEXT) | instid1(VALU_DEP_1)
	v_ldexp_f64 v[32:33], v[32:33], v3
	v_add_f64_e32 v[32:33], 1.0, v[32:33]
	s_delay_alu instid0(VALU_DEP_1) | instskip(SKIP_1) | instid1(VALU_DEP_2)
	v_div_scale_f64 v[34:35], null, v[32:33], v[32:33], 1.0
	v_div_scale_f64 v[40:41], vcc_lo, 1.0, v[32:33], 1.0
	v_rcp_f64_e32 v[36:37], v[34:35]
	v_nop
	s_delay_alu instid0(TRANS32_DEP_1) | instskip(NEXT) | instid1(VALU_DEP_1)
	v_fma_f64 v[38:39], -v[34:35], v[36:37], 1.0
	v_fmac_f64_e32 v[36:37], v[36:37], v[38:39]
	s_delay_alu instid0(VALU_DEP_1) | instskip(NEXT) | instid1(VALU_DEP_1)
	v_fma_f64 v[38:39], -v[34:35], v[36:37], 1.0
	v_fmac_f64_e32 v[36:37], v[36:37], v[38:39]
	s_delay_alu instid0(VALU_DEP_1) | instskip(NEXT) | instid1(VALU_DEP_1)
	v_mul_f64_e32 v[38:39], v[40:41], v[36:37]
	v_fma_f64 v[34:35], -v[34:35], v[38:39], v[40:41]
	s_delay_alu instid0(VALU_DEP_1) | instskip(SKIP_1) | instid1(VALU_DEP_2)
	v_div_fmas_f64 v[34:35], v[34:35], v[36:37], v[38:39]
	v_cmp_ngt_f64_e32 vcc_lo, 0xc0900000, v[30:31]
	v_div_fixup_f64 v[32:33], v[34:35], v[32:33], 1.0
	s_delay_alu instid0(VALU_DEP_1) | instskip(SKIP_4) | instid1(VALU_DEP_1)
	v_cndmask_b32_e32 v3, 0, v33, vcc_lo
	v_cmp_nlt_f64_e64 s0, 0x4090cc00, v[30:31]
	s_and_b32 vcc_lo, s0, vcc_lo
	v_cndmask_b32_e64 v21, 0x3ff00000, v3, s0
	v_cndmask_b32_e32 v20, 0, v32, vcc_lo
	v_fmac_f64_e32 v[24:25], v[18:19], v[20:21]
	s_delay_alu instid0(VALU_DEP_1) | instskip(SKIP_1) | instid1(VALU_DEP_2)
	v_mul_f64_e64 v[28:29], |v[24:25]|, s[38:39]
	v_cmp_nlt_f64_e64 s0, 0x40331000, |v[24:25]|
	v_rndne_f64_e32 v[28:29], v[28:29]
	s_delay_alu instid0(VALU_DEP_1) | instskip(SKIP_2) | instid1(VALU_DEP_3)
	v_fma_f64 v[30:31], v[28:29], s[40:41], |v[24:25]|
	v_mul_f64_e32 v[32:33], 0xbd53de6af278e000, v[28:29]
	v_cvt_i32_f64_e32 v3, v[28:29]
	v_add_f64_e32 v[34:35], 0, v[30:31]
	s_delay_alu instid0(VALU_DEP_1) | instskip(SKIP_1) | instid1(VALU_DEP_2)
	v_add_f64_e32 v[36:37], v[34:35], v[32:33]
	v_add_f64_e64 v[30:31], v[30:31], -v[34:35]
	v_add_f64_e64 v[34:35], v[34:35], -v[36:37]
	s_delay_alu instid0(VALU_DEP_2) | instskip(NEXT) | instid1(VALU_DEP_2)
	v_add_f64_e32 v[30:31], 0, v[30:31]
	v_add_f64_e32 v[32:33], v[34:35], v[32:33]
	s_delay_alu instid0(VALU_DEP_1) | instskip(SKIP_1) | instid1(VALU_DEP_2)
	v_add_f64_e32 v[30:31], v[30:31], v[32:33]
	v_mul_f64_e32 v[32:33], 0xbac9cc01f97b57a0, v[28:29]
	v_add_f64_e32 v[34:35], v[36:37], v[30:31]
	s_delay_alu instid0(VALU_DEP_1) | instskip(SKIP_1) | instid1(VALU_DEP_2)
	v_add_f64_e32 v[38:39], v[34:35], v[32:33]
	v_add_f64_e64 v[36:37], v[36:37], -v[34:35]
	v_add_f64_e64 v[34:35], v[34:35], -v[38:39]
	s_delay_alu instid0(VALU_DEP_2) | instskip(NEXT) | instid1(VALU_DEP_2)
	v_add_f64_e32 v[30:31], v[30:31], v[36:37]
	v_add_f64_e32 v[32:33], v[34:35], v[32:33]
	s_delay_alu instid0(VALU_DEP_1) | instskip(NEXT) | instid1(VALU_DEP_1)
	v_add_f64_e32 v[30:31], v[30:31], v[32:33]
	v_add_f64_e32 v[32:33], v[38:39], v[30:31]
	s_delay_alu instid0(VALU_DEP_1) | instskip(SKIP_1) | instid1(VALU_DEP_2)
	v_add_f64_e64 v[34:35], v[38:39], -v[32:33]
	v_mul_f64_e32 v[36:37], v[32:33], v[32:33]
	v_add_f64_e32 v[30:31], v[30:31], v[34:35]
	s_delay_alu instid0(VALU_DEP_2) | instskip(NEXT) | instid1(VALU_DEP_2)
	v_fma_f64 v[34:35], v[32:33], v[32:33], -v[36:37]
	v_add_f64_e32 v[38:39], v[30:31], v[30:31]
	s_delay_alu instid0(VALU_DEP_1) | instskip(SKIP_1) | instid1(VALU_DEP_1)
	v_fmac_f64_e32 v[34:35], v[32:33], v[38:39]
	v_fmamk_f64 v[38:39], v[32:33], 0x3e5ade156a5dcb37, v[4:5]
	v_fmaak_f64 v[38:39], v[32:33], v[38:39], 0x3ec71dee623fde64
	s_delay_alu instid0(VALU_DEP_1) | instskip(NEXT) | instid1(VALU_DEP_1)
	v_fmaak_f64 v[38:39], v[32:33], v[38:39], 0x3efa01997c89e6b0
	v_fmaak_f64 v[38:39], v[32:33], v[38:39], 0x3f2a01a014761f6e
	s_delay_alu instid0(VALU_DEP_1) | instskip(SKIP_1) | instid1(VALU_DEP_2)
	v_fmaak_f64 v[38:39], v[32:33], v[38:39], 0x3f56c16c1852b7b0
	v_add_f64_e32 v[40:41], v[36:37], v[34:35]
	v_fmaak_f64 v[38:39], v[32:33], v[38:39], 0x3f81111111122322
	s_delay_alu instid0(VALU_DEP_1) | instskip(NEXT) | instid1(VALU_DEP_1)
	v_fmaak_f64 v[38:39], v[32:33], v[38:39], 0x3fa55555555502a1
	v_fmaak_f64 v[38:39], v[32:33], v[38:39], 0x3fc5555555555511
	s_delay_alu instid0(VALU_DEP_1) | instskip(SKIP_1) | instid1(VALU_DEP_2)
	v_fmaak_f64 v[38:39], v[32:33], v[38:39], 0x3fe000000000000b
	v_add_f64_e64 v[36:37], v[40:41], -v[36:37]
	v_mul_f64_e32 v[42:43], v[40:41], v[38:39]
	s_delay_alu instid0(VALU_DEP_2) | instskip(NEXT) | instid1(VALU_DEP_2)
	v_add_f64_e64 v[34:35], v[34:35], -v[36:37]
	v_fma_f64 v[36:37], v[40:41], v[38:39], -v[42:43]
	s_delay_alu instid0(VALU_DEP_1) | instskip(NEXT) | instid1(VALU_DEP_1)
	v_fmac_f64_e32 v[36:37], v[34:35], v[38:39]
	v_add_f64_e32 v[34:35], v[42:43], v[36:37]
	s_delay_alu instid0(VALU_DEP_1) | instskip(SKIP_1) | instid1(VALU_DEP_2)
	v_add_f64_e32 v[38:39], v[32:33], v[34:35]
	v_add_f64_e64 v[40:41], v[34:35], -v[42:43]
	v_add_f64_e64 v[32:33], v[38:39], -v[32:33]
	s_delay_alu instid0(VALU_DEP_2) | instskip(NEXT) | instid1(VALU_DEP_2)
	v_add_f64_e64 v[36:37], v[36:37], -v[40:41]
	v_add_f64_e64 v[32:33], v[34:35], -v[32:33]
	s_delay_alu instid0(VALU_DEP_2) | instskip(NEXT) | instid1(VALU_DEP_1)
	v_add_f64_e32 v[30:31], v[30:31], v[36:37]
	v_add_f64_e32 v[30:31], v[30:31], v[32:33]
	s_delay_alu instid0(VALU_DEP_1) | instskip(NEXT) | instid1(VALU_DEP_1)
	v_add_f64_e32 v[32:33], v[38:39], v[30:31]
	v_add_f64_e32 v[34:35], 1.0, v[32:33]
	v_add_f64_e64 v[36:37], v[32:33], -v[38:39]
	s_delay_alu instid0(VALU_DEP_2) | instskip(NEXT) | instid1(VALU_DEP_2)
	v_add_f64_e32 v[38:39], -1.0, v[34:35]
	v_add_f64_e64 v[30:31], v[30:31], -v[36:37]
	s_delay_alu instid0(VALU_DEP_2) | instskip(NEXT) | instid1(VALU_DEP_1)
	v_add_f64_e64 v[32:33], v[32:33], -v[38:39]
	v_add_f64_e32 v[30:31], v[30:31], v[32:33]
	s_delay_alu instid0(VALU_DEP_1) | instskip(NEXT) | instid1(VALU_DEP_1)
	v_add_f64_e32 v[28:29], v[34:35], v[30:31]
	v_ldexp_f64 v[32:33], v[28:29], v3
	v_add_f64_e64 v[28:29], v[28:29], -v[34:35]
	s_delay_alu instid0(VALU_DEP_2) | instskip(NEXT) | instid1(VALU_DEP_1)
	v_rcp_f64_e32 v[36:37], v[32:33]
	v_add_f64_e64 v[28:29], v[30:31], -v[28:29]
	s_delay_alu instid0(VALU_DEP_1) | instskip(SKIP_1) | instid1(TRANS32_DEP_1)
	v_ldexp_f64 v[28:29], v[28:29], v3
	v_cvt_i32_f64_e32 v3, v[26:27]
	v_fma_f64 v[38:39], -v[32:33], v[36:37], 1.0
	s_delay_alu instid0(VALU_DEP_1) | instskip(NEXT) | instid1(VALU_DEP_1)
	v_fmac_f64_e32 v[36:37], v[38:39], v[36:37]
	v_fma_f64 v[38:39], -v[32:33], v[36:37], 1.0
	s_delay_alu instid0(VALU_DEP_1) | instskip(NEXT) | instid1(VALU_DEP_1)
	v_fmac_f64_e32 v[36:37], v[38:39], v[36:37]
	v_mul_f64_e32 v[30:31], v[32:33], v[36:37]
	s_delay_alu instid0(VALU_DEP_1) | instskip(NEXT) | instid1(VALU_DEP_1)
	v_fma_f64 v[34:35], v[36:37], v[32:33], -v[30:31]
	v_fmac_f64_e32 v[34:35], v[36:37], v[28:29]
	s_delay_alu instid0(VALU_DEP_1) | instskip(NEXT) | instid1(VALU_DEP_1)
	v_add_f64_e32 v[38:39], v[30:31], v[34:35]
	v_add_f64_e64 v[40:41], -v[38:39], 1.0
	v_add_f64_e64 v[30:31], v[38:39], -v[30:31]
	s_delay_alu instid0(VALU_DEP_2) | instskip(NEXT) | instid1(VALU_DEP_2)
	v_add_f64_e64 v[42:43], -v[40:41], 1.0
	v_add_f64_e64 v[30:31], v[30:31], -v[34:35]
	s_delay_alu instid0(VALU_DEP_2) | instskip(NEXT) | instid1(VALU_DEP_1)
	v_add_f64_e64 v[34:35], v[42:43], -v[38:39]
	v_add_f64_e32 v[30:31], v[30:31], v[34:35]
	s_delay_alu instid0(VALU_DEP_1) | instskip(NEXT) | instid1(VALU_DEP_1)
	v_add_f64_e32 v[34:35], v[40:41], v[30:31]
	v_mul_f64_e32 v[38:39], v[36:37], v[34:35]
	v_add_f64_e64 v[40:41], v[40:41], -v[34:35]
	s_delay_alu instid0(VALU_DEP_2) | instskip(NEXT) | instid1(VALU_DEP_2)
	v_mul_f64_e32 v[42:43], v[32:33], v[38:39]
	v_add_f64_e32 v[30:31], v[30:31], v[40:41]
	s_delay_alu instid0(VALU_DEP_2) | instskip(NEXT) | instid1(VALU_DEP_1)
	v_fma_f64 v[44:45], v[38:39], v[32:33], -v[42:43]
	v_fmac_f64_e32 v[44:45], v[38:39], v[28:29]
	s_delay_alu instid0(VALU_DEP_1) | instskip(NEXT) | instid1(VALU_DEP_1)
	v_add_f64_e32 v[46:47], v[42:43], v[44:45]
	v_add_f64_e64 v[48:49], v[34:35], -v[46:47]
	v_add_f64_e64 v[40:41], v[46:47], -v[42:43]
	v_fma_f64 v[42:43], v[26:27], s[36:37], -v[14:15]
	s_delay_alu instid0(VALU_DEP_3) | instskip(NEXT) | instid1(VALU_DEP_3)
	v_add_f64_e64 v[34:35], v[34:35], -v[48:49]
	v_add_f64_e64 v[40:41], v[40:41], -v[44:45]
	s_delay_alu instid0(VALU_DEP_3) | instskip(NEXT) | instid1(VALU_DEP_3)
	v_fmac_f64_e32 v[42:43], 0xbc7abc9e3b39803f, v[26:27]
	v_add_f64_e64 v[34:35], v[34:35], -v[46:47]
	s_delay_alu instid0(VALU_DEP_1) | instskip(SKIP_1) | instid1(VALU_DEP_2)
	v_add_f64_e32 v[30:31], v[30:31], v[34:35]
	v_add_f64_e32 v[34:35], v[36:37], v[38:39]
	v_add_f64_e32 v[30:31], v[40:41], v[30:31]
	s_delay_alu instid0(VALU_DEP_2) | instskip(NEXT) | instid1(VALU_DEP_2)
	v_add_f64_e64 v[40:41], v[34:35], -v[36:37]
	v_add_f64_e32 v[30:31], v[48:49], v[30:31]
	s_delay_alu instid0(VALU_DEP_2) | instskip(NEXT) | instid1(VALU_DEP_2)
	v_add_f64_e64 v[38:39], v[38:39], -v[40:41]
	v_mul_f64_e32 v[30:31], v[36:37], v[30:31]
	s_delay_alu instid0(VALU_DEP_1) | instskip(NEXT) | instid1(VALU_DEP_1)
	v_add_f64_e32 v[30:31], v[38:39], v[30:31]
	v_add_f64_e32 v[36:37], v[34:35], v[30:31]
	s_delay_alu instid0(VALU_DEP_1) | instskip(SKIP_1) | instid1(VALU_DEP_2)
	v_add_f64_e32 v[38:39], v[32:33], v[36:37]
	v_add_f64_e64 v[34:35], v[36:37], -v[34:35]
	v_add_f64_e64 v[40:41], v[38:39], -v[32:33]
	s_delay_alu instid0(VALU_DEP_2) | instskip(NEXT) | instid1(VALU_DEP_2)
	v_add_f64_e64 v[30:31], v[30:31], -v[34:35]
	v_add_f64_e64 v[16:17], v[36:37], -v[40:41]
	s_delay_alu instid0(VALU_DEP_2) | instskip(NEXT) | instid1(VALU_DEP_1)
	v_add_f64_e32 v[34:35], v[28:29], v[30:31]
	v_add_f64_e32 v[16:17], v[34:35], v[16:17]
	v_add_f64_e64 v[34:35], v[32:33], -v[36:37]
	s_delay_alu instid0(VALU_DEP_2) | instskip(NEXT) | instid1(VALU_DEP_2)
	v_add_f64_e32 v[22:23], v[38:39], v[16:17]
	v_add_f64_e64 v[32:33], v[32:33], -v[34:35]
	s_delay_alu instid0(VALU_DEP_2) | instskip(NEXT) | instid1(VALU_DEP_1)
	v_rcp_f64_e32 v[40:41], v[22:23]
	v_add_f64_e64 v[32:33], v[32:33], -v[36:37]
	s_delay_alu instid0(VALU_DEP_1) | instskip(SKIP_1) | instid1(TRANS32_DEP_1)
	v_add_f64_e32 v[28:29], v[28:29], v[32:33]
	v_fmamk_f64 v[32:33], v[42:43], 0x3e5ade156a5dcb37, v[4:5]
	v_fma_f64 v[36:37], -v[22:23], v[40:41], 1.0
	s_delay_alu instid0(VALU_DEP_2) | instskip(NEXT) | instid1(VALU_DEP_1)
	v_fmaak_f64 v[32:33], v[42:43], v[32:33], 0x3ec71dee623fde64
	v_fmaak_f64 v[32:33], v[42:43], v[32:33], 0x3efa01997c89e6b0
	s_delay_alu instid0(VALU_DEP_1) | instskip(NEXT) | instid1(VALU_DEP_1)
	v_fmaak_f64 v[32:33], v[42:43], v[32:33], 0x3f2a01a014761f6e
	v_fmaak_f64 v[32:33], v[42:43], v[32:33], 0x3f56c16c1852b7b0
	v_add_f64_e64 v[28:29], v[28:29], -v[30:31]
	v_fmac_f64_e32 v[40:41], v[36:37], v[40:41]
	s_delay_alu instid0(VALU_DEP_2) | instskip(NEXT) | instid1(VALU_DEP_2)
	v_add_f64_e32 v[36:37], v[34:35], v[28:29]
	v_fma_f64 v[30:31], -v[22:23], v[40:41], 1.0
	s_delay_alu instid0(VALU_DEP_2) | instskip(NEXT) | instid1(VALU_DEP_2)
	v_add_f64_e64 v[34:35], v[36:37], -v[34:35]
	v_fmac_f64_e32 v[40:41], v[30:31], v[40:41]
	v_fmaak_f64 v[30:31], v[42:43], v[32:33], 0x3f81111111122322
	s_delay_alu instid0(VALU_DEP_1) | instskip(NEXT) | instid1(VALU_DEP_1)
	v_fmaak_f64 v[30:31], v[42:43], v[30:31], 0x3fa55555555502a1
	v_fmaak_f64 v[30:31], v[42:43], v[30:31], 0x3fc5555555555511
	s_delay_alu instid0(VALU_DEP_1) | instskip(SKIP_1) | instid1(VALU_DEP_2)
	v_fmaak_f64 v[30:31], v[42:43], v[30:31], 0x3fe000000000000b
	v_add_f64_e64 v[28:29], v[28:29], -v[34:35]
	v_fma_f64 v[30:31], v[42:43], v[30:31], 1.0
	v_mul_f64_e32 v[32:33], v[36:37], v[40:41]
	s_delay_alu instid0(VALU_DEP_2) | instskip(SKIP_1) | instid1(VALU_DEP_3)
	v_fma_f64 v[26:27], v[42:43], v[30:31], 1.0
	v_add_f64_e64 v[30:31], v[22:23], -v[38:39]
	v_mul_f64_e32 v[38:39], v[22:23], v[32:33]
	s_delay_alu instid0(VALU_DEP_3) | instskip(NEXT) | instid1(VALU_DEP_3)
	v_ldexp_f64 v[26:27], v[26:27], v3
	v_add_f64_e64 v[16:17], v[16:17], -v[30:31]
	s_delay_alu instid0(VALU_DEP_3) | instskip(NEXT) | instid1(VALU_DEP_3)
	v_fma_f64 v[22:23], v[32:33], v[22:23], -v[38:39]
	v_add_f64_e32 v[26:27], 1.0, v[26:27]
	s_delay_alu instid0(VALU_DEP_2) | instskip(NEXT) | instid1(VALU_DEP_2)
	v_fmac_f64_e32 v[22:23], v[32:33], v[16:17]
	v_div_scale_f64 v[16:17], null, v[26:27], v[26:27], 1.0
	s_delay_alu instid0(VALU_DEP_2) | instskip(NEXT) | instid1(VALU_DEP_2)
	v_add_f64_e32 v[30:31], v[38:39], v[22:23]
	v_rcp_f64_e32 v[42:43], v[16:17]
	s_delay_alu instid0(VALU_DEP_1) | instskip(SKIP_1) | instid1(VALU_DEP_2)
	v_add_f64_e64 v[44:45], v[36:37], -v[30:31]
	v_add_f64_e64 v[38:39], v[30:31], -v[38:39]
	;; [unrolled: 1-line block ×3, first 2 shown]
	s_delay_alu instid0(VALU_DEP_2) | instskip(NEXT) | instid1(TRANS32_DEP_1)
	v_add_f64_e64 v[22:23], v[22:23], -v[38:39]
	v_fma_f64 v[48:49], -v[16:17], v[42:43], 1.0
	s_delay_alu instid0(VALU_DEP_3) | instskip(NEXT) | instid1(VALU_DEP_2)
	v_add_f64_e64 v[30:31], v[46:47], -v[30:31]
	v_fmac_f64_e32 v[42:43], v[42:43], v[48:49]
	s_delay_alu instid0(VALU_DEP_2) | instskip(NEXT) | instid1(VALU_DEP_2)
	v_add_f64_e64 v[22:23], v[30:31], -v[22:23]
	v_fma_f64 v[30:31], -v[16:17], v[42:43], 1.0
	s_delay_alu instid0(VALU_DEP_2) | instskip(SKIP_1) | instid1(VALU_DEP_3)
	v_add_f64_e32 v[22:23], v[28:29], v[22:23]
	v_div_scale_f64 v[28:29], vcc_lo, 1.0, v[26:27], 1.0
	v_fmac_f64_e32 v[42:43], v[42:43], v[30:31]
	s_delay_alu instid0(VALU_DEP_3) | instskip(NEXT) | instid1(VALU_DEP_2)
	v_add_f64_e32 v[22:23], v[44:45], v[22:23]
	v_mul_f64_e32 v[30:31], v[28:29], v[42:43]
	s_delay_alu instid0(VALU_DEP_2) | instskip(NEXT) | instid1(VALU_DEP_2)
	v_mul_f64_e32 v[22:23], v[40:41], v[22:23]
	v_fma_f64 v[16:17], -v[16:17], v[30:31], v[28:29]
	s_delay_alu instid0(VALU_DEP_2) | instskip(NEXT) | instid1(VALU_DEP_2)
	v_add_f64_e32 v[22:23], v[32:33], v[22:23]
	v_div_fmas_f64 v[16:17], v[16:17], v[42:43], v[30:31]
	v_cmp_gt_f64_e64 vcc_lo, 0x3e400000, |v[24:25]|
	s_delay_alu instid0(VALU_DEP_3) | instskip(NEXT) | instid1(VALU_DEP_4)
	v_cndmask_b32_e64 v3, 0x3ff00000, v23, s0
	v_cndmask_b32_e64 v28, 0, v22, s0
	v_lshlrev_b64_e32 v[22:23], 2, v[10:11]
	v_div_fixup_f64 v[16:17], v[16:17], v[26:27], 1.0
	v_and_b32_e32 v26, 0x7fffffff, v25
	v_cmp_nlt_f64_e64 s0, 0x4090cc00, v[14:15]
	s_delay_alu instid0(VALU_DEP_2)
	v_dual_cndmask_b32 v24, v28, v24 :: v_dual_cndmask_b32 v3, v3, v26
	v_cmp_ngt_f64_e32 vcc_lo, 0xc0900000, v[14:15]
	v_add_nc_u64_e32 v[26:27], 4, v[22:23]
	v_mad_nc_u64_u32 v[14:15], s44, v10, v[0:1]
	v_or_b32_e32 v34, 3, v22
	v_bfi_b32 v25, 0x7fffffff, v3, v25
	v_or_b32_e32 v3, 1, v22
	v_or_b32_e32 v32, 2, v22
	v_mul_lo_u32 v36, s4, v23
	v_mad_nc_u64_u32 v[30:31], s4, v26, v[0:1]
	v_add_f64_e64 v[28:29], v[12:13], -v[24:25]
	v_mul_lo_u32 v37, s5, v3
	v_mad_nc_u64_u32 v[22:23], s4, v3, v[0:1]
	v_mul_lo_u32 v38, s5, v34
	v_mad_u32 v10, s45, v10, v15
	v_mad_nc_u64_u32 v[34:35], s4, v34, v[0:1]
	v_mul_lo_u32 v3, s5, v32
	v_mad_nc_u64_u32 v[32:33], s4, v32, v[0:1]
	v_add_nc_u64_e32 v[0:1], s[28:29], v[0:1]
	v_mad_u32 v26, s5, v26, v31
	v_add3_u32 v23, v37, v23, v36
	v_mad_u32 v15, s44, v11, v10
	v_add3_u32 v35, v38, v35, v36
	v_add3_u32 v33, v3, v33, v36
	v_mad_u32 v31, s4, v27, v26
	s_delay_alu instid0(VALU_DEP_3) | instskip(SKIP_4) | instid1(VALU_DEP_3)
	v_mul_u64_e32 v[26:27], s[26:27], v[34:35]
	v_cndmask_b32_e32 v17, 0, v17, vcc_lo
	s_and_b32 vcc_lo, s0, vcc_lo
	v_cndmask_b32_e32 v10, 0, v16, vcc_lo
	v_mul_u64_e32 v[14:15], s[26:27], v[14:15]
	v_cndmask_b32_e64 v11, 0x3ff00000, v17, s0
	v_mul_u64_e32 v[16:17], s[26:27], v[22:23]
	v_mul_u64_e32 v[22:23], s[26:27], v[32:33]
	v_cmp_le_i64_e32 vcc_lo, s[6:7], v[0:1]
	v_mul_u64_e32 v[30:31], s[26:27], v[30:31]
	v_fma_f64 v[28:29], v[10:11], v[28:29], v[24:25]
	s_or_b32 s33, vcc_lo, s33
	v_lshl_add_u64 v[26:27], v[26:27], 3, s[24:25]
	v_lshl_add_u64 v[14:15], v[14:15], 3, s[24:25]
	global_store_b64 v[8:9], v[28:29], off
	global_store_b64 v[14:15], v[20:21], off
	s_wait_xcnt 0x1
	v_add_nc_u64_e32 v[8:9], s[48:49], v[8:9]
	v_lshl_add_u64 v[16:17], v[16:17], 3, s[24:25]
	v_lshl_add_u64 v[22:23], v[22:23], 3, s[24:25]
	s_wait_xcnt 0x0
	v_lshl_add_u64 v[14:15], v[30:31], 3, s[24:25]
	s_clause 0x3
	global_store_b64 v[16:17], v[10:11], off
	global_store_b64 v[22:23], v[24:25], off
	;; [unrolled: 1-line block ×4, first 2 shown]
	s_wait_xcnt 0x0
	s_and_not1_b32 exec_lo, exec_lo, s33
	s_cbranch_execz .LBB34_10
.LBB34_5:                               ; =>This Inner Loop Header: Depth=1
	v_or_b32_e32 v3, s5, v1
                                        ; implicit-def: $vgpr10_vgpr11
	s_mov_b32 s0, exec_lo
	s_delay_alu instid0(VALU_DEP_1)
	v_cmpx_ne_u64_e32 0, v[2:3]
	s_xor_b32 s54, exec_lo, s0
	s_cbranch_execz .LBB34_7
; %bb.6:                                ;   in Loop: Header=BB34_5 Depth=1
	s_mov_b32 s51, s50
	v_dual_mov_b32 v15, v2 :: v_dual_ashrrev_i32 v10, 31, v1
	s_add_nc_u64 s[52:53], s[4:5], s[50:51]
	v_mov_b32_e32 v23, v2
	s_xor_b64 s[52:53], s[52:53], s[50:51]
	s_delay_alu instid0(VALU_DEP_2) | instskip(SKIP_3) | instid1(VALU_DEP_1)
	v_mov_b32_e32 v11, v10
	s_cvt_f32_u32 s0, s52
	s_cvt_f32_u32 s2, s53
	s_sub_nc_u64 s[58:59], 0, s[52:53]
	v_add_nc_u64_e32 v[12:13], v[0:1], v[10:11]
	s_delay_alu instid0(SALU_CYCLE_1) | instskip(SKIP_1) | instid1(SALU_CYCLE_2)
	s_fmamk_f32 s0, s2, 0x4f800000, s0
	v_mov_b32_e32 v19, v2
	v_s_rcp_f32 s0, s0
	s_delay_alu instid0(VALU_DEP_2) | instskip(NEXT) | instid1(VALU_DEP_3)
	v_xor_b32_e32 v14, v12, v10
	v_xor_b32_e32 v18, v13, v10
	s_delay_alu instid0(TRANS32_DEP_1) | instskip(NEXT) | instid1(SALU_CYCLE_3)
	s_mul_f32 s0, s0, 0x5f7ffffc
	s_mul_f32 s2, s0, 0x2f800000
	s_delay_alu instid0(SALU_CYCLE_3) | instskip(NEXT) | instid1(SALU_CYCLE_3)
	s_trunc_f32 s2, s2
	s_fmamk_f32 s0, s2, 0xcf800000, s0
	s_cvt_u32_f32 s57, s2
	s_delay_alu instid0(SALU_CYCLE_2) | instskip(NEXT) | instid1(SALU_CYCLE_3)
	s_cvt_u32_f32 s56, s0
	s_mul_u64 s[60:61], s[58:59], s[56:57]
	s_delay_alu instid0(SALU_CYCLE_1)
	s_mul_hi_u32 s63, s56, s61
	s_mul_i32 s62, s56, s61
	s_mul_hi_u32 s2, s56, s60
	s_mul_i32 s51, s57, s60
	s_add_nc_u64 s[62:63], s[2:3], s[62:63]
	s_mul_hi_u32 s0, s57, s60
	s_mul_hi_u32 s55, s57, s61
	s_add_co_u32 s2, s62, s51
	s_add_co_ci_u32 s2, s63, s0
	s_mul_i32 s60, s57, s61
	s_add_co_ci_u32 s61, s55, 0
	s_delay_alu instid0(SALU_CYCLE_1) | instskip(NEXT) | instid1(SALU_CYCLE_1)
	s_add_nc_u64 s[60:61], s[2:3], s[60:61]
	s_add_co_u32 s56, s56, s60
	s_cselect_b32 s0, -1, 0
	s_delay_alu instid0(SALU_CYCLE_1) | instskip(SKIP_1) | instid1(SALU_CYCLE_1)
	s_cmp_lg_u32 s0, 0
	s_add_co_ci_u32 s57, s57, s61
	s_mul_u64 s[58:59], s[58:59], s[56:57]
	s_delay_alu instid0(SALU_CYCLE_1)
	s_mul_hi_u32 s61, s56, s59
	s_mul_i32 s60, s56, s59
	s_mul_hi_u32 s2, s56, s58
	s_mul_i32 s51, s57, s58
	s_add_nc_u64 s[60:61], s[2:3], s[60:61]
	s_mul_hi_u32 s0, s57, s58
	s_mul_hi_u32 s55, s57, s59
	s_add_co_u32 s2, s60, s51
	s_add_co_ci_u32 s2, s61, s0
	s_mul_i32 s58, s57, s59
	s_add_co_ci_u32 s59, s55, 0
	s_delay_alu instid0(SALU_CYCLE_1) | instskip(NEXT) | instid1(SALU_CYCLE_1)
	s_add_nc_u64 s[58:59], s[2:3], s[58:59]
	s_add_co_u32 s0, s56, s58
	s_cselect_b32 s2, -1, 0
	v_mul_hi_u32 v22, v14, s0
	s_cmp_lg_u32 s2, 0
	s_add_co_ci_u32 s2, s57, s59
	s_and_b64 s[56:57], s[0:1], s[34:35]
	v_mul_u64_e32 v[16:17], s[2:3], v[14:15]
	v_mul_u64_e32 v[12:13], s[56:57], v[18:19]
	;; [unrolled: 1-line block ×3, first 2 shown]
	s_delay_alu instid0(VALU_DEP_3) | instskip(NEXT) | instid1(VALU_DEP_1)
	v_add_nc_u64_e32 v[16:17], v[22:23], v[16:17]
	v_add_co_u32 v3, vcc_lo, v16, v12
	s_delay_alu instid0(VALU_DEP_2) | instskip(NEXT) | instid1(VALU_DEP_4)
	v_add_co_ci_u32_e32 v22, vcc_lo, v17, v13, vcc_lo
	v_add_co_ci_u32_e32 v21, vcc_lo, 0, v21, vcc_lo
	s_delay_alu instid0(VALU_DEP_1) | instskip(NEXT) | instid1(VALU_DEP_1)
	v_add_nc_u64_e32 v[12:13], v[22:23], v[20:21]
	v_mul_u64_e32 v[16:17], s[52:53], v[12:13]
	s_delay_alu instid0(VALU_DEP_1) | instskip(NEXT) | instid1(VALU_DEP_2)
	v_sub_nc_u32_e32 v3, v18, v17
	v_sub_co_u32 v11, vcc_lo, v14, v16
	s_delay_alu instid0(VALU_DEP_1) | instskip(NEXT) | instid1(VALU_DEP_3)
	v_sub_co_ci_u32_e64 v18, null, v18, v17, vcc_lo
	v_subrev_co_ci_u32_e64 v3, null, s53, v3, vcc_lo
	s_delay_alu instid0(VALU_DEP_3) | instskip(SKIP_1) | instid1(VALU_DEP_3)
	v_sub_co_u32 v14, s0, v11, s52
	v_add_nc_u64_e32 v[16:17], 1, v[12:13]
	v_subrev_co_ci_u32_e64 v3, null, 0, v3, s0
	s_delay_alu instid0(VALU_DEP_3) | instskip(SKIP_1) | instid1(VALU_DEP_3)
	v_cmp_le_u32_e32 vcc_lo, s52, v14
	v_cndmask_b32_e64 v14, 0, -1, vcc_lo
	v_cmp_le_u32_e32 vcc_lo, s53, v3
	v_cndmask_b32_e64 v15, 0, -1, vcc_lo
	;; [unrolled: 2-line block ×4, first 2 shown]
	v_cmp_eq_u32_e32 vcc_lo, s53, v3
	v_cndmask_b32_e32 v3, v15, v14, vcc_lo
	v_cmp_eq_u32_e32 vcc_lo, s53, v18
	v_add_nc_u64_e32 v[14:15], 2, v[12:13]
	v_cndmask_b32_e32 v11, v19, v11, vcc_lo
	s_delay_alu instid0(VALU_DEP_4) | instskip(NEXT) | instid1(VALU_DEP_2)
	v_cmp_ne_u32_e32 vcc_lo, 0, v3
	v_cmp_ne_u32_e64 s0, 0, v11
	s_delay_alu instid0(VALU_DEP_4) | instskip(NEXT) | instid1(VALU_DEP_1)
	v_dual_cndmask_b32 v3, v17, v15, vcc_lo :: v_dual_cndmask_b32 v11, v16, v14, vcc_lo
	v_dual_cndmask_b32 v3, v13, v3, s0 :: v_dual_bitop2_b32 v10, s50, v10 bitop3:0x14
	s_delay_alu instid0(VALU_DEP_1) | instskip(NEXT) | instid1(VALU_DEP_2)
	v_dual_cndmask_b32 v12, v12, v11, s0 :: v_dual_mov_b32 v11, v10
	v_xor_b32_e32 v13, v3, v10
	s_delay_alu instid0(VALU_DEP_2) | instskip(NEXT) | instid1(VALU_DEP_1)
	v_xor_b32_e32 v12, v12, v10
	v_sub_nc_u64_e32 v[10:11], v[12:13], v[10:11]
.LBB34_7:                               ;   in Loop: Header=BB34_5 Depth=1
	s_and_not1_saveexec_b32 s0, s54
	s_cbranch_execz .LBB34_2
; %bb.8:                                ;   in Loop: Header=BB34_5 Depth=1
	v_cvt_f32_u32_e32 v3, s4
	s_sub_co_i32 s2, 0, s4
	s_delay_alu instid0(VALU_DEP_1) | instskip(SKIP_1) | instid1(TRANS32_DEP_1)
	v_rcp_iflag_f32_e32 v3, v3
	v_nop
	v_mul_f32_e32 v3, 0x4f7ffffe, v3
	s_delay_alu instid0(VALU_DEP_1) | instskip(NEXT) | instid1(VALU_DEP_1)
	v_cvt_u32_f32_e32 v3, v3
	v_mul_lo_u32 v10, s2, v3
	s_delay_alu instid0(VALU_DEP_1) | instskip(NEXT) | instid1(VALU_DEP_1)
	v_mul_hi_u32 v10, v3, v10
	v_add_nc_u32_e32 v3, v3, v10
	s_delay_alu instid0(VALU_DEP_1) | instskip(NEXT) | instid1(VALU_DEP_1)
	v_mul_hi_u32 v3, v0, v3
	v_mul_lo_u32 v10, v3, s4
	s_delay_alu instid0(VALU_DEP_1) | instskip(NEXT) | instid1(VALU_DEP_1)
	v_dual_add_nc_u32 v11, 1, v3 :: v_dual_sub_nc_u32 v10, v0, v10
	v_subrev_nc_u32_e32 v12, s4, v10
	v_cmp_le_u32_e32 vcc_lo, s4, v10
	s_delay_alu instid0(VALU_DEP_2) | instskip(NEXT) | instid1(VALU_DEP_1)
	v_dual_cndmask_b32 v10, v10, v12 :: v_dual_cndmask_b32 v3, v3, v11
	v_cmp_le_u32_e32 vcc_lo, s4, v10
	s_delay_alu instid0(VALU_DEP_2) | instskip(NEXT) | instid1(VALU_DEP_1)
	v_add_nc_u32_e32 v11, 1, v3
	v_dual_cndmask_b32 v10, v3, v11 :: v_dual_mov_b32 v11, v2
	s_branch .LBB34_2
.LBB34_9:                               ;   in Loop: Header=BB34_5 Depth=1
	s_wait_xcnt 0x4
	v_mov_b64_e32 v[22:23], 0
	v_mov_b64_e32 v[24:25], 0
	s_wait_xcnt 0x2
	v_mov_b64_e32 v[34:35], 0
	v_mov_b64_e32 v[26:27], 0
	v_mov_b64_e32 v[28:29], 0
	s_wait_xcnt 0x1
	v_mov_b64_e32 v[36:37], 0
	s_branch .LBB34_4
.LBB34_10:
	s_endpgm
	.section	.rodata,"a",@progbits
	.p2align	6, 0x0
	.amdhsa_kernel _ZN2at6native12_GLOBAL__N_16kernel16gru_cell_forwardIddlLi1EEEvNS_4cuda6detail10TensorInfoIT_T1_EES9_S9_S9_S9_S9_S9_S8_S8_
		.amdhsa_group_segment_fixed_size 0
		.amdhsa_private_segment_fixed_size 0
		.amdhsa_kernarg_size 3184
		.amdhsa_user_sgpr_count 2
		.amdhsa_user_sgpr_dispatch_ptr 0
		.amdhsa_user_sgpr_queue_ptr 0
		.amdhsa_user_sgpr_kernarg_segment_ptr 1
		.amdhsa_user_sgpr_dispatch_id 0
		.amdhsa_user_sgpr_kernarg_preload_length 0
		.amdhsa_user_sgpr_kernarg_preload_offset 0
		.amdhsa_user_sgpr_private_segment_size 0
		.amdhsa_wavefront_size32 1
		.amdhsa_uses_dynamic_stack 0
		.amdhsa_enable_private_segment 0
		.amdhsa_system_sgpr_workgroup_id_x 1
		.amdhsa_system_sgpr_workgroup_id_y 0
		.amdhsa_system_sgpr_workgroup_id_z 0
		.amdhsa_system_sgpr_workgroup_info 0
		.amdhsa_system_vgpr_workitem_id 0
		.amdhsa_next_free_vgpr 50
		.amdhsa_next_free_sgpr 64
		.amdhsa_named_barrier_count 0
		.amdhsa_reserve_vcc 1
		.amdhsa_float_round_mode_32 0
		.amdhsa_float_round_mode_16_64 0
		.amdhsa_float_denorm_mode_32 3
		.amdhsa_float_denorm_mode_16_64 3
		.amdhsa_fp16_overflow 0
		.amdhsa_memory_ordered 1
		.amdhsa_forward_progress 1
		.amdhsa_inst_pref_size 32
		.amdhsa_round_robin_scheduling 0
		.amdhsa_exception_fp_ieee_invalid_op 0
		.amdhsa_exception_fp_denorm_src 0
		.amdhsa_exception_fp_ieee_div_zero 0
		.amdhsa_exception_fp_ieee_overflow 0
		.amdhsa_exception_fp_ieee_underflow 0
		.amdhsa_exception_fp_ieee_inexact 0
		.amdhsa_exception_int_div_zero 0
	.end_amdhsa_kernel
	.section	.text._ZN2at6native12_GLOBAL__N_16kernel16gru_cell_forwardIddlLi1EEEvNS_4cuda6detail10TensorInfoIT_T1_EES9_S9_S9_S9_S9_S9_S8_S8_,"axG",@progbits,_ZN2at6native12_GLOBAL__N_16kernel16gru_cell_forwardIddlLi1EEEvNS_4cuda6detail10TensorInfoIT_T1_EES9_S9_S9_S9_S9_S9_S8_S8_,comdat
.Lfunc_end34:
	.size	_ZN2at6native12_GLOBAL__N_16kernel16gru_cell_forwardIddlLi1EEEvNS_4cuda6detail10TensorInfoIT_T1_EES9_S9_S9_S9_S9_S9_S8_S8_, .Lfunc_end34-_ZN2at6native12_GLOBAL__N_16kernel16gru_cell_forwardIddlLi1EEEvNS_4cuda6detail10TensorInfoIT_T1_EES9_S9_S9_S9_S9_S9_S8_S8_
                                        ; -- End function
	.set _ZN2at6native12_GLOBAL__N_16kernel16gru_cell_forwardIddlLi1EEEvNS_4cuda6detail10TensorInfoIT_T1_EES9_S9_S9_S9_S9_S9_S8_S8_.num_vgpr, 50
	.set _ZN2at6native12_GLOBAL__N_16kernel16gru_cell_forwardIddlLi1EEEvNS_4cuda6detail10TensorInfoIT_T1_EES9_S9_S9_S9_S9_S9_S8_S8_.num_agpr, 0
	.set _ZN2at6native12_GLOBAL__N_16kernel16gru_cell_forwardIddlLi1EEEvNS_4cuda6detail10TensorInfoIT_T1_EES9_S9_S9_S9_S9_S9_S8_S8_.numbered_sgpr, 64
	.set _ZN2at6native12_GLOBAL__N_16kernel16gru_cell_forwardIddlLi1EEEvNS_4cuda6detail10TensorInfoIT_T1_EES9_S9_S9_S9_S9_S9_S8_S8_.num_named_barrier, 0
	.set _ZN2at6native12_GLOBAL__N_16kernel16gru_cell_forwardIddlLi1EEEvNS_4cuda6detail10TensorInfoIT_T1_EES9_S9_S9_S9_S9_S9_S8_S8_.private_seg_size, 0
	.set _ZN2at6native12_GLOBAL__N_16kernel16gru_cell_forwardIddlLi1EEEvNS_4cuda6detail10TensorInfoIT_T1_EES9_S9_S9_S9_S9_S9_S8_S8_.uses_vcc, 1
	.set _ZN2at6native12_GLOBAL__N_16kernel16gru_cell_forwardIddlLi1EEEvNS_4cuda6detail10TensorInfoIT_T1_EES9_S9_S9_S9_S9_S9_S8_S8_.uses_flat_scratch, 0
	.set _ZN2at6native12_GLOBAL__N_16kernel16gru_cell_forwardIddlLi1EEEvNS_4cuda6detail10TensorInfoIT_T1_EES9_S9_S9_S9_S9_S9_S8_S8_.has_dyn_sized_stack, 0
	.set _ZN2at6native12_GLOBAL__N_16kernel16gru_cell_forwardIddlLi1EEEvNS_4cuda6detail10TensorInfoIT_T1_EES9_S9_S9_S9_S9_S9_S8_S8_.has_recursion, 0
	.set _ZN2at6native12_GLOBAL__N_16kernel16gru_cell_forwardIddlLi1EEEvNS_4cuda6detail10TensorInfoIT_T1_EES9_S9_S9_S9_S9_S9_S8_S8_.has_indirect_call, 0
	.section	.AMDGPU.csdata,"",@progbits
; Kernel info:
; codeLenInByte = 4000
; TotalNumSgprs: 66
; NumVgprs: 50
; ScratchSize: 0
; MemoryBound: 0
; FloatMode: 240
; IeeeMode: 1
; LDSByteSize: 0 bytes/workgroup (compile time only)
; SGPRBlocks: 0
; VGPRBlocks: 3
; NumSGPRsForWavesPerEU: 66
; NumVGPRsForWavesPerEU: 50
; NamedBarCnt: 0
; Occupancy: 16
; WaveLimiterHint : 1
; COMPUTE_PGM_RSRC2:SCRATCH_EN: 0
; COMPUTE_PGM_RSRC2:USER_SGPR: 2
; COMPUTE_PGM_RSRC2:TRAP_HANDLER: 0
; COMPUTE_PGM_RSRC2:TGID_X_EN: 1
; COMPUTE_PGM_RSRC2:TGID_Y_EN: 0
; COMPUTE_PGM_RSRC2:TGID_Z_EN: 0
; COMPUTE_PGM_RSRC2:TIDIG_COMP_CNT: 0
	.section	.text._ZN2at6native12_GLOBAL__N_16kernel16gru_cell_forwardIddlLi2EEEvNS_4cuda6detail10TensorInfoIT_T1_EES9_S9_S9_S9_S9_S9_S8_S8_,"axG",@progbits,_ZN2at6native12_GLOBAL__N_16kernel16gru_cell_forwardIddlLi2EEEvNS_4cuda6detail10TensorInfoIT_T1_EES9_S9_S9_S9_S9_S9_S8_S8_,comdat
	.globl	_ZN2at6native12_GLOBAL__N_16kernel16gru_cell_forwardIddlLi2EEEvNS_4cuda6detail10TensorInfoIT_T1_EES9_S9_S9_S9_S9_S9_S8_S8_ ; -- Begin function _ZN2at6native12_GLOBAL__N_16kernel16gru_cell_forwardIddlLi2EEEvNS_4cuda6detail10TensorInfoIT_T1_EES9_S9_S9_S9_S9_S9_S8_S8_
	.p2align	8
	.type	_ZN2at6native12_GLOBAL__N_16kernel16gru_cell_forwardIddlLi2EEEvNS_4cuda6detail10TensorInfoIT_T1_EES9_S9_S9_S9_S9_S9_S8_S8_,@function
_ZN2at6native12_GLOBAL__N_16kernel16gru_cell_forwardIddlLi2EEEvNS_4cuda6detail10TensorInfoIT_T1_EES9_S9_S9_S9_S9_S9_S8_S8_: ; @_ZN2at6native12_GLOBAL__N_16kernel16gru_cell_forwardIddlLi2EEEvNS_4cuda6detail10TensorInfoIT_T1_EES9_S9_S9_S9_S9_S9_S8_S8_
; %bb.0:
	s_clause 0x1
	s_load_b32 s2, s[0:1], 0xb7c
	s_load_b128 s[4:7], s[0:1], 0xb60
	s_bfe_u32 s3, ttmp6, 0x4000c
	s_and_b32 s8, ttmp6, 15
	s_add_co_i32 s3, s3, 1
	s_getreg_b32 s9, hwreg(HW_REG_IB_STS2, 6, 4)
	s_mul_i32 s3, ttmp9, s3
	v_mov_b32_e32 v2, 0
	s_add_co_i32 s8, s8, s3
	s_delay_alu instid0(VALU_DEP_1)
	v_mov_b32_e32 v1, v2
	s_wait_kmcnt 0x0
	s_and_b32 s2, s2, 0xffff
	s_cmp_eq_u32 s9, 0
	s_cselect_b32 s3, ttmp9, s8
	s_mov_b32 s8, exec_lo
	v_mad_u32 v0, s3, s2, v0
	s_mov_b32 s3, 0
	s_delay_alu instid0(VALU_DEP_1)
	v_cmpx_gt_i64_e64 s[6:7], v[0:1]
	s_cbranch_execz .LBB35_62
; %bb.1:
	s_add_nc_u64 s[20:21], s[0:1], 0xb70
	s_clause 0x1
	s_load_b128 s[24:27], s[0:1], 0xa90
	s_load_b64 s[28:29], s[0:1], 0x340
	s_load_b32 s33, s[20:21], 0x0
	s_clause 0xd
	s_load_b64 s[30:31], s[0:1], 0x0
	s_load_b64 s[34:35], s[0:1], 0x10
	s_load_b128 s[8:11], s[0:1], 0xd0
	s_load_b64 s[36:37], s[0:1], 0x1a0
	s_load_b64 s[38:39], s[0:1], 0x1b0
	s_load_b128 s[12:15], s[0:1], 0x270
	s_load_b64 s[40:41], s[0:1], 0x410
	s_load_b64 s[42:43], s[0:1], 0x4e0
	;; [unrolled: 1-line block ×5, first 2 shown]
	s_load_b128 s[16:19], s[0:1], 0x750
	s_load_b64 s[50:51], s[0:1], 0x820
	; meta instruction
	s_load_b64 s[52:53], s[0:1], 0x830
	s_wait_xcnt 0x0
	s_clause 0x2
	s_load_b128 s[20:23], s[0:1], 0x8f0
	s_load_b64 s[54:55], s[0:1], 0x9c0
	s_load_b64 s[56:57], s[0:1], 0x9d0
	v_mov_b64_e32 v[4:5], 0x3e928af3fca7ab0c
	s_wait_kmcnt 0x0
	s_cmp_lg_u64 s[28:29], 0
	s_mul_i32 s58, s33, s2
	s_cselect_b32 s1, -1, 0
	s_mov_b32 s59, s3
	s_lshl_b64 s[60:61], s[4:5], 1
	s_mov_b64 s[62:63], 0xffffffff
	s_mov_b64 s[64:65], 0xbfe62e42fefa39ef
	;; [unrolled: 1-line block ×4, first 2 shown]
	s_lshl_b64 s[70:71], s[4:5], 2
	s_sub_nc_u64 s[72:73], 0, s[4:5]
	s_sub_nc_u64 s[74:75], 0, s[48:49]
	s_mov_b32 s33, 0
                                        ; implicit-def: $vgpr6_vgpr7
                                        ; implicit-def: $vgpr6_vgpr7
	;; [unrolled: 1-line block ×8, first 2 shown]
	s_sub_nc_u64 s[76:77], 0, s[52:53]
	s_branch .LBB35_3
.LBB35_2:                               ;   in Loop: Header=BB35_3 Depth=1
	s_or_b32 exec_lo, exec_lo, s0
	s_delay_alu instid0(VALU_DEP_1) | instskip(NEXT) | instid1(VALU_DEP_1)
	v_mul_u64_e32 v[10:11], s[56:57], v[12:13]
	v_sub_nc_u64_e32 v[6:7], v[6:7], v[10:11]
	v_mul_u64_e32 v[10:11], s[24:25], v[12:13]
	s_delay_alu instid0(VALU_DEP_2) | instskip(SKIP_1) | instid1(VALU_DEP_2)
	v_add_nc_u64_e32 v[6:7], v[0:1], v[6:7]
	v_add_nc_u64_e32 v[0:1], s[58:59], v[0:1]
	v_mul_u64_e32 v[6:7], s[26:27], v[6:7]
	s_delay_alu instid0(VALU_DEP_2) | instskip(SKIP_2) | instid1(VALU_DEP_1)
	v_cmp_le_i64_e32 vcc_lo, s[6:7], v[0:1]
	s_or_b32 s33, vcc_lo, s33
	v_lshl_add_u64 v[10:11], v[10:11], 3, s[54:55]
	v_lshl_add_u64 v[6:7], v[6:7], 3, v[10:11]
	global_store_b64 v[6:7], v[8:9], off
	s_wait_xcnt 0x0
	s_and_not1_b32 exec_lo, exec_lo, s33
	s_cbranch_execz .LBB35_62
.LBB35_3:                               ; =>This Inner Loop Header: Depth=1
	v_dual_ashrrev_i32 v8, 31, v1 :: v_dual_bitop2_b32 v3, s5, v1 bitop3:0x54
                                        ; implicit-def: $vgpr6_vgpr7
	s_mov_b32 s0, exec_lo
	s_delay_alu instid0(VALU_DEP_1)
	v_cmpx_ne_u64_e32 0, v[2:3]
	s_xor_b32 s82, exec_lo, s0
	s_cbranch_execz .LBB35_5
; %bb.4:                                ;   in Loop: Header=BB35_3 Depth=1
	s_ashr_i32 s78, s5, 31
	v_dual_mov_b32 v9, v8 :: v_dual_mov_b32 v11, v2
	s_mov_b32 s79, s78
	v_mov_b32_e32 v19, v2
	s_add_nc_u64 s[80:81], s[4:5], s[78:79]
	s_delay_alu instid0(VALU_DEP_2)
	v_add_nc_u64_e32 v[6:7], v[0:1], v[8:9]
	s_xor_b64 s[80:81], s[80:81], s[78:79]
	v_mov_b32_e32 v15, v2
	s_cvt_f32_u32 s0, s80
	s_cvt_f32_u32 s2, s81
	s_sub_nc_u64 s[86:87], 0, s[80:81]
	s_delay_alu instid0(VALU_DEP_2) | instskip(NEXT) | instid1(SALU_CYCLE_1)
	v_xor_b32_e32 v10, v6, v8
	s_fmamk_f32 s0, s2, 0x4f800000, s0
	v_xor_b32_e32 v14, v7, v8
	s_delay_alu instid0(SALU_CYCLE_2) | instskip(NEXT) | instid1(TRANS32_DEP_1)
	v_s_rcp_f32 s0, s0
	s_mul_f32 s0, s0, 0x5f7ffffc
	s_delay_alu instid0(SALU_CYCLE_3) | instskip(NEXT) | instid1(SALU_CYCLE_3)
	s_mul_f32 s2, s0, 0x2f800000
	s_trunc_f32 s2, s2
	s_delay_alu instid0(SALU_CYCLE_3) | instskip(SKIP_1) | instid1(SALU_CYCLE_2)
	s_fmamk_f32 s0, s2, 0xcf800000, s0
	s_cvt_u32_f32 s85, s2
	s_cvt_u32_f32 s84, s0
	s_delay_alu instid0(SALU_CYCLE_3) | instskip(NEXT) | instid1(SALU_CYCLE_1)
	s_mul_u64 s[88:89], s[86:87], s[84:85]
	s_mul_hi_u32 s91, s84, s89
	s_mul_i32 s90, s84, s89
	s_mul_hi_u32 s2, s84, s88
	s_mul_i32 s79, s85, s88
	s_add_nc_u64 s[90:91], s[2:3], s[90:91]
	s_mul_hi_u32 s0, s85, s88
	s_mul_hi_u32 s83, s85, s89
	s_add_co_u32 s2, s90, s79
	s_add_co_ci_u32 s2, s91, s0
	s_mul_i32 s88, s85, s89
	s_add_co_ci_u32 s89, s83, 0
	s_delay_alu instid0(SALU_CYCLE_1) | instskip(NEXT) | instid1(SALU_CYCLE_1)
	s_add_nc_u64 s[88:89], s[2:3], s[88:89]
	s_add_co_u32 s84, s84, s88
	s_cselect_b32 s0, -1, 0
	s_delay_alu instid0(SALU_CYCLE_1) | instskip(SKIP_1) | instid1(SALU_CYCLE_1)
	s_cmp_lg_u32 s0, 0
	s_add_co_ci_u32 s85, s85, s89
	s_mul_u64 s[86:87], s[86:87], s[84:85]
	s_delay_alu instid0(SALU_CYCLE_1)
	s_mul_hi_u32 s89, s84, s87
	s_mul_i32 s88, s84, s87
	s_mul_hi_u32 s2, s84, s86
	s_mul_i32 s79, s85, s86
	s_add_nc_u64 s[88:89], s[2:3], s[88:89]
	s_mul_hi_u32 s0, s85, s86
	s_mul_hi_u32 s83, s85, s87
	s_add_co_u32 s2, s88, s79
	s_add_co_ci_u32 s2, s89, s0
	s_mul_i32 s86, s85, s87
	s_add_co_ci_u32 s87, s83, 0
	s_delay_alu instid0(SALU_CYCLE_1) | instskip(NEXT) | instid1(SALU_CYCLE_1)
	s_add_nc_u64 s[86:87], s[2:3], s[86:87]
	s_add_co_u32 s0, s84, s86
	s_cselect_b32 s2, -1, 0
	v_nop
	v_mul_hi_u32 v18, v10, s0
	s_cmp_lg_u32 s2, 0
	s_add_co_ci_u32 s2, s85, s87
	s_and_b64 s[84:85], s[0:1], s[62:63]
	v_mul_u64_e32 v[12:13], s[2:3], v[10:11]
	v_mul_u64_e32 v[6:7], s[84:85], v[14:15]
	;; [unrolled: 1-line block ×3, first 2 shown]
	s_delay_alu instid0(VALU_DEP_3) | instskip(NEXT) | instid1(VALU_DEP_1)
	v_add_nc_u64_e32 v[12:13], v[18:19], v[12:13]
	v_add_co_u32 v3, vcc_lo, v12, v6
	s_delay_alu instid0(VALU_DEP_2) | instskip(NEXT) | instid1(VALU_DEP_4)
	v_add_co_ci_u32_e32 v18, vcc_lo, v13, v7, vcc_lo
	v_add_co_ci_u32_e32 v17, vcc_lo, 0, v17, vcc_lo
	s_delay_alu instid0(VALU_DEP_1) | instskip(NEXT) | instid1(VALU_DEP_1)
	v_add_nc_u64_e32 v[6:7], v[18:19], v[16:17]
	v_mul_u64_e32 v[12:13], s[80:81], v[6:7]
	s_delay_alu instid0(VALU_DEP_1) | instskip(NEXT) | instid1(VALU_DEP_2)
	v_sub_nc_u32_e32 v3, v14, v13
	v_sub_co_u32 v9, vcc_lo, v10, v12
	s_delay_alu instid0(VALU_DEP_1) | instskip(NEXT) | instid1(VALU_DEP_3)
	v_sub_co_ci_u32_e64 v14, null, v14, v13, vcc_lo
	v_subrev_co_ci_u32_e64 v3, null, s81, v3, vcc_lo
	s_delay_alu instid0(VALU_DEP_3) | instskip(SKIP_1) | instid1(VALU_DEP_3)
	v_sub_co_u32 v10, s0, v9, s80
	v_add_nc_u64_e32 v[12:13], 1, v[6:7]
	v_subrev_co_ci_u32_e64 v3, null, 0, v3, s0
	s_delay_alu instid0(VALU_DEP_3) | instskip(SKIP_1) | instid1(VALU_DEP_3)
	v_cmp_le_u32_e32 vcc_lo, s80, v10
	v_cndmask_b32_e64 v10, 0, -1, vcc_lo
	v_cmp_le_u32_e32 vcc_lo, s81, v3
	v_cndmask_b32_e64 v11, 0, -1, vcc_lo
	v_cmp_le_u32_e32 vcc_lo, s80, v9
	v_cndmask_b32_e64 v9, 0, -1, vcc_lo
	v_cmp_le_u32_e32 vcc_lo, s81, v14
	v_cndmask_b32_e64 v15, 0, -1, vcc_lo
	v_cmp_eq_u32_e32 vcc_lo, s81, v3
	v_cndmask_b32_e32 v3, v11, v10, vcc_lo
	v_cmp_eq_u32_e32 vcc_lo, s81, v14
	v_add_nc_u64_e32 v[10:11], 2, v[6:7]
	v_cndmask_b32_e32 v9, v15, v9, vcc_lo
	s_delay_alu instid0(VALU_DEP_4) | instskip(NEXT) | instid1(VALU_DEP_2)
	v_cmp_ne_u32_e32 vcc_lo, 0, v3
	v_cmp_ne_u32_e64 s0, 0, v9
	s_delay_alu instid0(VALU_DEP_4) | instskip(NEXT) | instid1(VALU_DEP_1)
	v_dual_cndmask_b32 v3, v13, v11, vcc_lo :: v_dual_cndmask_b32 v9, v12, v10, vcc_lo
	v_dual_cndmask_b32 v3, v7, v3, s0 :: v_dual_bitop2_b32 v10, s78, v8 bitop3:0x14
	s_delay_alu instid0(VALU_DEP_2) | instskip(NEXT) | instid1(VALU_DEP_2)
	v_cndmask_b32_e64 v6, v6, v9, s0
	v_dual_mov_b32 v11, v10 :: v_dual_bitop2_b32 v7, v3, v10 bitop3:0x14
	s_delay_alu instid0(VALU_DEP_2) | instskip(NEXT) | instid1(VALU_DEP_1)
	v_xor_b32_e32 v6, v6, v10
	v_sub_nc_u64_e32 v[6:7], v[6:7], v[10:11]
.LBB35_5:                               ;   in Loop: Header=BB35_3 Depth=1
	s_and_not1_saveexec_b32 s0, s82
	s_cbranch_execz .LBB35_7
; %bb.6:                                ;   in Loop: Header=BB35_3 Depth=1
	v_cvt_f32_u32_e32 v3, s4
	s_sub_co_i32 s2, 0, s4
	s_delay_alu instid0(VALU_DEP_1) | instskip(SKIP_1) | instid1(TRANS32_DEP_1)
	v_rcp_iflag_f32_e32 v3, v3
	v_nop
	v_mul_f32_e32 v3, 0x4f7ffffe, v3
	s_delay_alu instid0(VALU_DEP_1) | instskip(NEXT) | instid1(VALU_DEP_1)
	v_cvt_u32_f32_e32 v3, v3
	v_mul_lo_u32 v6, s2, v3
	s_delay_alu instid0(VALU_DEP_1) | instskip(NEXT) | instid1(VALU_DEP_1)
	v_mul_hi_u32 v6, v3, v6
	v_add_nc_u32_e32 v3, v3, v6
	s_delay_alu instid0(VALU_DEP_1) | instskip(NEXT) | instid1(VALU_DEP_1)
	v_mul_hi_u32 v3, v0, v3
	v_mul_lo_u32 v6, v3, s4
	s_delay_alu instid0(VALU_DEP_1) | instskip(NEXT) | instid1(VALU_DEP_1)
	v_dual_add_nc_u32 v7, 1, v3 :: v_dual_sub_nc_u32 v6, v0, v6
	v_subrev_nc_u32_e32 v9, s4, v6
	v_cmp_le_u32_e32 vcc_lo, s4, v6
	s_delay_alu instid0(VALU_DEP_2) | instskip(NEXT) | instid1(VALU_DEP_1)
	v_dual_cndmask_b32 v6, v6, v9 :: v_dual_cndmask_b32 v3, v3, v7
	v_cmp_le_u32_e32 vcc_lo, s4, v6
	s_delay_alu instid0(VALU_DEP_2) | instskip(NEXT) | instid1(VALU_DEP_1)
	v_add_nc_u32_e32 v7, 1, v3
	v_dual_cndmask_b32 v6, v3, v7 :: v_dual_mov_b32 v7, v2
.LBB35_7:                               ;   in Loop: Header=BB35_3 Depth=1
	s_or_b32 exec_lo, exec_lo, s0
	s_delay_alu instid0(VALU_DEP_1) | instskip(SKIP_1) | instid1(VALU_DEP_1)
	v_mul_u64_e32 v[14:15], s[60:61], v[6:7]
                                        ; implicit-def: $vgpr10_vgpr11
	s_mov_b32 s0, exec_lo
	v_add_nc_u64_e32 v[28:29], v[0:1], v[14:15]
	s_delay_alu instid0(VALU_DEP_1) | instskip(NEXT) | instid1(VALU_DEP_1)
	v_dual_ashrrev_i32 v18, 31, v29 :: v_dual_bitop2_b32 v3, s35, v29 bitop3:0x54
	v_cmpx_ne_u64_e32 0, v[2:3]
	s_xor_b32 s82, exec_lo, s0
	s_cbranch_execz .LBB35_9
; %bb.8:                                ;   in Loop: Header=BB35_3 Depth=1
	s_ashr_i32 s78, s35, 31
	v_dual_mov_b32 v19, v18 :: v_dual_mov_b32 v13, v2
	s_mov_b32 s79, s78
	v_mov_b32_e32 v25, v2
	s_add_nc_u64 s[80:81], s[34:35], s[78:79]
	s_delay_alu instid0(VALU_DEP_2)
	v_add_nc_u64_e32 v[10:11], v[28:29], v[18:19]
	s_xor_b64 s[80:81], s[80:81], s[78:79]
	v_mov_b32_e32 v21, v2
	s_cvt_f32_u32 s0, s80
	s_cvt_f32_u32 s2, s81
	s_sub_nc_u64 s[86:87], 0, s[80:81]
	s_delay_alu instid0(VALU_DEP_2) | instskip(NEXT) | instid1(SALU_CYCLE_1)
	v_xor_b32_e32 v20, v11, v18
	s_fmamk_f32 s0, s2, 0x4f800000, s0
	v_xor_b32_e32 v12, v10, v18
	s_delay_alu instid0(SALU_CYCLE_2) | instskip(NEXT) | instid1(TRANS32_DEP_1)
	v_s_rcp_f32 s0, s0
	s_mul_f32 s0, s0, 0x5f7ffffc
	s_delay_alu instid0(SALU_CYCLE_3) | instskip(NEXT) | instid1(SALU_CYCLE_3)
	s_mul_f32 s2, s0, 0x2f800000
	s_trunc_f32 s2, s2
	s_delay_alu instid0(SALU_CYCLE_3) | instskip(SKIP_1) | instid1(SALU_CYCLE_2)
	s_fmamk_f32 s0, s2, 0xcf800000, s0
	s_cvt_u32_f32 s85, s2
	s_cvt_u32_f32 s84, s0
	s_delay_alu instid0(SALU_CYCLE_3) | instskip(NEXT) | instid1(SALU_CYCLE_1)
	s_mul_u64 s[88:89], s[86:87], s[84:85]
	s_mul_hi_u32 s91, s84, s89
	s_mul_i32 s90, s84, s89
	s_mul_hi_u32 s2, s84, s88
	s_mul_i32 s79, s85, s88
	s_add_nc_u64 s[90:91], s[2:3], s[90:91]
	s_mul_hi_u32 s0, s85, s88
	s_mul_hi_u32 s83, s85, s89
	s_add_co_u32 s2, s90, s79
	s_add_co_ci_u32 s2, s91, s0
	s_mul_i32 s88, s85, s89
	s_add_co_ci_u32 s89, s83, 0
	s_delay_alu instid0(SALU_CYCLE_1) | instskip(NEXT) | instid1(SALU_CYCLE_1)
	s_add_nc_u64 s[88:89], s[2:3], s[88:89]
	s_add_co_u32 s84, s84, s88
	s_cselect_b32 s0, -1, 0
	s_delay_alu instid0(SALU_CYCLE_1) | instskip(SKIP_1) | instid1(SALU_CYCLE_1)
	s_cmp_lg_u32 s0, 0
	s_add_co_ci_u32 s85, s85, s89
	s_mul_u64 s[86:87], s[86:87], s[84:85]
	s_delay_alu instid0(SALU_CYCLE_1)
	s_mul_hi_u32 s89, s84, s87
	s_mul_i32 s88, s84, s87
	s_mul_hi_u32 s2, s84, s86
	s_mul_i32 s79, s85, s86
	s_add_nc_u64 s[88:89], s[2:3], s[88:89]
	s_mul_hi_u32 s0, s85, s86
	s_mul_hi_u32 s83, s85, s87
	s_add_co_u32 s2, s88, s79
	s_add_co_ci_u32 s2, s89, s0
	s_mul_i32 s86, s85, s87
	s_add_co_ci_u32 s87, s83, 0
	s_delay_alu instid0(SALU_CYCLE_1) | instskip(NEXT) | instid1(SALU_CYCLE_1)
	s_add_nc_u64 s[86:87], s[2:3], s[86:87]
	s_add_co_u32 s0, s84, s86
	s_cselect_b32 s2, -1, 0
	v_nop
	v_mul_hi_u32 v24, v12, s0
	s_cmp_lg_u32 s2, 0
	s_add_co_ci_u32 s2, s85, s87
	s_and_b64 s[84:85], s[0:1], s[62:63]
	v_mul_u64_e32 v[16:17], s[2:3], v[12:13]
	v_mul_u64_e32 v[10:11], s[84:85], v[20:21]
	;; [unrolled: 1-line block ×3, first 2 shown]
	s_delay_alu instid0(VALU_DEP_3) | instskip(NEXT) | instid1(VALU_DEP_1)
	v_add_nc_u64_e32 v[16:17], v[24:25], v[16:17]
	v_add_co_u32 v3, vcc_lo, v16, v10
	s_delay_alu instid0(VALU_DEP_2) | instskip(NEXT) | instid1(VALU_DEP_4)
	v_add_co_ci_u32_e32 v24, vcc_lo, v17, v11, vcc_lo
	v_add_co_ci_u32_e32 v23, vcc_lo, 0, v23, vcc_lo
	s_delay_alu instid0(VALU_DEP_1) | instskip(NEXT) | instid1(VALU_DEP_1)
	v_add_nc_u64_e32 v[10:11], v[24:25], v[22:23]
	v_mul_u64_e32 v[16:17], s[80:81], v[10:11]
	s_delay_alu instid0(VALU_DEP_1) | instskip(NEXT) | instid1(VALU_DEP_2)
	v_sub_nc_u32_e32 v3, v20, v17
	v_sub_co_u32 v9, vcc_lo, v12, v16
	s_delay_alu instid0(VALU_DEP_1) | instskip(NEXT) | instid1(VALU_DEP_3)
	v_sub_co_ci_u32_e64 v19, null, v20, v17, vcc_lo
	v_subrev_co_ci_u32_e64 v3, null, s81, v3, vcc_lo
	s_delay_alu instid0(VALU_DEP_3) | instskip(SKIP_1) | instid1(VALU_DEP_3)
	v_sub_co_u32 v12, s0, v9, s80
	v_add_nc_u64_e32 v[16:17], 1, v[10:11]
	v_subrev_co_ci_u32_e64 v3, null, 0, v3, s0
	s_delay_alu instid0(VALU_DEP_3) | instskip(SKIP_1) | instid1(VALU_DEP_3)
	v_cmp_le_u32_e32 vcc_lo, s80, v12
	v_cndmask_b32_e64 v12, 0, -1, vcc_lo
	v_cmp_le_u32_e32 vcc_lo, s81, v3
	v_cndmask_b32_e64 v13, 0, -1, vcc_lo
	;; [unrolled: 2-line block ×4, first 2 shown]
	v_cmp_eq_u32_e32 vcc_lo, s81, v3
	v_cndmask_b32_e32 v3, v13, v12, vcc_lo
	v_cmp_eq_u32_e32 vcc_lo, s81, v19
	v_add_nc_u64_e32 v[12:13], 2, v[10:11]
	v_cndmask_b32_e32 v9, v20, v9, vcc_lo
	s_delay_alu instid0(VALU_DEP_4) | instskip(NEXT) | instid1(VALU_DEP_2)
	v_cmp_ne_u32_e32 vcc_lo, 0, v3
	v_cmp_ne_u32_e64 s0, 0, v9
	s_delay_alu instid0(VALU_DEP_4) | instskip(NEXT) | instid1(VALU_DEP_1)
	v_dual_cndmask_b32 v3, v17, v13, vcc_lo :: v_dual_cndmask_b32 v9, v16, v12, vcc_lo
	v_dual_cndmask_b32 v3, v11, v3, s0 :: v_dual_bitop2_b32 v12, s78, v18 bitop3:0x14
	s_delay_alu instid0(VALU_DEP_1) | instskip(NEXT) | instid1(VALU_DEP_2)
	v_dual_cndmask_b32 v9, v10, v9, s0 :: v_dual_mov_b32 v13, v12
	v_xor_b32_e32 v11, v3, v12
	s_delay_alu instid0(VALU_DEP_2) | instskip(NEXT) | instid1(VALU_DEP_1)
	v_xor_b32_e32 v10, v9, v12
	v_sub_nc_u64_e32 v[10:11], v[10:11], v[12:13]
.LBB35_9:                               ;   in Loop: Header=BB35_3 Depth=1
	s_or_saveexec_b32 s0, s82
	v_cvt_f32_u32_e32 v9, s34
	s_xor_b32 exec_lo, exec_lo, s0
	s_cbranch_execz .LBB35_11
; %bb.10:                               ;   in Loop: Header=BB35_3 Depth=1
	s_delay_alu instid0(VALU_DEP_1) | instskip(SKIP_2) | instid1(TRANS32_DEP_1)
	v_rcp_iflag_f32_e32 v3, v9
	s_sub_co_i32 s2, 0, s34
	v_nop
	v_mul_f32_e32 v3, 0x4f7ffffe, v3
	s_delay_alu instid0(VALU_DEP_1) | instskip(NEXT) | instid1(VALU_DEP_1)
	v_cvt_u32_f32_e32 v3, v3
	v_mul_lo_u32 v10, s2, v3
	s_delay_alu instid0(VALU_DEP_1) | instskip(NEXT) | instid1(VALU_DEP_1)
	v_mul_hi_u32 v10, v3, v10
	v_add_nc_u32_e32 v3, v3, v10
	s_delay_alu instid0(VALU_DEP_1) | instskip(NEXT) | instid1(VALU_DEP_1)
	v_mul_hi_u32 v3, v28, v3
	v_mul_lo_u32 v10, v3, s34
	s_delay_alu instid0(VALU_DEP_1) | instskip(NEXT) | instid1(VALU_DEP_1)
	v_dual_add_nc_u32 v11, 1, v3 :: v_dual_sub_nc_u32 v10, v28, v10
	v_subrev_nc_u32_e32 v12, s34, v10
	v_cmp_le_u32_e32 vcc_lo, s34, v10
	s_delay_alu instid0(VALU_DEP_2) | instskip(NEXT) | instid1(VALU_DEP_1)
	v_dual_cndmask_b32 v10, v10, v12 :: v_dual_cndmask_b32 v3, v3, v11
	v_cmp_le_u32_e32 vcc_lo, s34, v10
	s_delay_alu instid0(VALU_DEP_2) | instskip(NEXT) | instid1(VALU_DEP_1)
	v_add_nc_u32_e32 v11, 1, v3
	v_dual_cndmask_b32 v10, v3, v11 :: v_dual_mov_b32 v11, v2
.LBB35_11:                              ;   in Loop: Header=BB35_3 Depth=1
	s_or_b32 exec_lo, exec_lo, s0
	s_delay_alu instid0(VALU_DEP_1) | instskip(SKIP_3) | instid1(VALU_DEP_1)
	v_mul_u64_e32 v[12:13], s[34:35], v[10:11]
	v_mul_u64_e32 v[10:11], s[8:9], v[10:11]
	v_lshlrev_b64_e32 v[16:17], 1, v[6:7]
	s_mov_b32 s0, exec_lo
	v_mad_nc_u64_u32 v[20:21], s4, v16, s[4:5]
	s_delay_alu instid0(VALU_DEP_1) | instskip(SKIP_2) | instid1(VALU_DEP_2)
	v_mad_u32 v3, s5, v16, v21
	v_sub_nc_u64_e32 v[12:13], v[14:15], v[12:13]
	v_lshl_add_u64 v[10:11], v[10:11], 3, s[30:31]
	v_add_nc_u64_e32 v[12:13], v[0:1], v[12:13]
	s_delay_alu instid0(VALU_DEP_1) | instskip(NEXT) | instid1(VALU_DEP_1)
	v_mul_u64_e32 v[12:13], s[10:11], v[12:13]
	v_lshl_add_u64 v[10:11], v[12:13], 3, v[10:11]
	v_alignbit_b32 v12, v7, v6, 31
	global_load_b64 v[10:11], v[10:11], off
	v_mad_u32 v21, s4, v12, v3
                                        ; implicit-def: $vgpr12_vgpr13
	s_delay_alu instid0(VALU_DEP_1) | instskip(NEXT) | instid1(VALU_DEP_1)
	v_add_nc_u64_e32 v[32:33], v[0:1], v[20:21]
	v_dual_ashrrev_i32 v26, 31, v33 :: v_dual_bitop2_b32 v3, s35, v33 bitop3:0x54
	s_wait_xcnt 0x0
	s_delay_alu instid0(VALU_DEP_1)
	v_cmpx_ne_u64_e32 0, v[2:3]
	s_xor_b32 s82, exec_lo, s0
	s_cbranch_execz .LBB35_13
; %bb.12:                               ;   in Loop: Header=BB35_3 Depth=1
	s_ashr_i32 s78, s35, 31
	v_dual_mov_b32 v27, v26 :: v_dual_mov_b32 v23, v2
	s_mov_b32 s79, s78
	v_mov_b32_e32 v31, v2
	s_add_nc_u64 s[80:81], s[34:35], s[78:79]
	s_delay_alu instid0(VALU_DEP_2)
	v_add_nc_u64_e32 v[12:13], v[32:33], v[26:27]
	s_xor_b64 s[80:81], s[80:81], s[78:79]
	v_mov_b32_e32 v37, v2
	s_cvt_f32_u32 s0, s80
	s_cvt_f32_u32 s2, s81
	s_sub_nc_u64 s[86:87], 0, s[80:81]
	s_delay_alu instid0(VALU_DEP_2) | instskip(NEXT) | instid1(SALU_CYCLE_1)
	v_xor_b32_e32 v22, v12, v26
	s_fmamk_f32 s0, s2, 0x4f800000, s0
	v_xor_b32_e32 v30, v13, v26
	s_delay_alu instid0(SALU_CYCLE_2) | instskip(NEXT) | instid1(TRANS32_DEP_1)
	v_s_rcp_f32 s0, s0
	s_mul_f32 s0, s0, 0x5f7ffffc
	s_delay_alu instid0(SALU_CYCLE_3) | instskip(NEXT) | instid1(SALU_CYCLE_3)
	s_mul_f32 s2, s0, 0x2f800000
	s_trunc_f32 s2, s2
	s_delay_alu instid0(SALU_CYCLE_3) | instskip(SKIP_1) | instid1(SALU_CYCLE_2)
	s_fmamk_f32 s0, s2, 0xcf800000, s0
	s_cvt_u32_f32 s85, s2
	s_cvt_u32_f32 s84, s0
	s_delay_alu instid0(SALU_CYCLE_3) | instskip(NEXT) | instid1(SALU_CYCLE_1)
	s_mul_u64 s[88:89], s[86:87], s[84:85]
	s_mul_hi_u32 s91, s84, s89
	s_mul_i32 s90, s84, s89
	s_mul_hi_u32 s2, s84, s88
	s_mul_i32 s79, s85, s88
	s_add_nc_u64 s[90:91], s[2:3], s[90:91]
	s_mul_hi_u32 s0, s85, s88
	s_mul_hi_u32 s83, s85, s89
	s_add_co_u32 s2, s90, s79
	s_add_co_ci_u32 s2, s91, s0
	s_mul_i32 s88, s85, s89
	s_add_co_ci_u32 s89, s83, 0
	s_delay_alu instid0(SALU_CYCLE_1) | instskip(NEXT) | instid1(SALU_CYCLE_1)
	s_add_nc_u64 s[88:89], s[2:3], s[88:89]
	s_add_co_u32 s84, s84, s88
	s_cselect_b32 s0, -1, 0
	s_delay_alu instid0(SALU_CYCLE_1) | instskip(SKIP_1) | instid1(SALU_CYCLE_1)
	s_cmp_lg_u32 s0, 0
	s_add_co_ci_u32 s85, s85, s89
	s_mul_u64 s[86:87], s[86:87], s[84:85]
	s_delay_alu instid0(SALU_CYCLE_1)
	s_mul_hi_u32 s89, s84, s87
	s_mul_i32 s88, s84, s87
	s_mul_hi_u32 s2, s84, s86
	s_mul_i32 s79, s85, s86
	s_add_nc_u64 s[88:89], s[2:3], s[88:89]
	s_mul_hi_u32 s0, s85, s86
	s_mul_hi_u32 s83, s85, s87
	s_add_co_u32 s2, s88, s79
	s_add_co_ci_u32 s2, s89, s0
	s_mul_i32 s86, s85, s87
	s_add_co_ci_u32 s87, s83, 0
	s_delay_alu instid0(SALU_CYCLE_1) | instskip(NEXT) | instid1(SALU_CYCLE_1)
	s_add_nc_u64 s[86:87], s[2:3], s[86:87]
	s_add_co_u32 s0, s84, s86
	s_cselect_b32 s2, -1, 0
	v_nop
	v_mul_hi_u32 v36, v22, s0
	s_cmp_lg_u32 s2, 0
	s_add_co_ci_u32 s2, s85, s87
	s_and_b64 s[84:85], s[0:1], s[62:63]
	v_mul_u64_e32 v[24:25], s[2:3], v[22:23]
	v_mul_u64_e32 v[12:13], s[84:85], v[30:31]
	;; [unrolled: 1-line block ×3, first 2 shown]
	s_delay_alu instid0(VALU_DEP_3) | instskip(NEXT) | instid1(VALU_DEP_1)
	v_add_nc_u64_e32 v[24:25], v[36:37], v[24:25]
	v_add_co_u32 v3, vcc_lo, v24, v12
	s_delay_alu instid0(VALU_DEP_2) | instskip(NEXT) | instid1(VALU_DEP_4)
	v_add_co_ci_u32_e32 v36, vcc_lo, v25, v13, vcc_lo
	v_add_co_ci_u32_e32 v35, vcc_lo, 0, v35, vcc_lo
	s_delay_alu instid0(VALU_DEP_1) | instskip(NEXT) | instid1(VALU_DEP_1)
	v_add_nc_u64_e32 v[12:13], v[36:37], v[34:35]
	v_mul_u64_e32 v[24:25], s[80:81], v[12:13]
	s_delay_alu instid0(VALU_DEP_1) | instskip(NEXT) | instid1(VALU_DEP_2)
	v_sub_nc_u32_e32 v3, v30, v25
	v_sub_co_u32 v19, vcc_lo, v22, v24
	s_delay_alu instid0(VALU_DEP_1) | instskip(NEXT) | instid1(VALU_DEP_3)
	v_sub_co_ci_u32_e64 v27, null, v30, v25, vcc_lo
	v_subrev_co_ci_u32_e64 v3, null, s81, v3, vcc_lo
	s_delay_alu instid0(VALU_DEP_3) | instskip(SKIP_1) | instid1(VALU_DEP_3)
	v_sub_co_u32 v22, s0, v19, s80
	v_add_nc_u64_e32 v[24:25], 1, v[12:13]
	v_subrev_co_ci_u32_e64 v3, null, 0, v3, s0
	s_delay_alu instid0(VALU_DEP_3) | instskip(SKIP_1) | instid1(VALU_DEP_3)
	v_cmp_le_u32_e32 vcc_lo, s80, v22
	v_cndmask_b32_e64 v22, 0, -1, vcc_lo
	v_cmp_le_u32_e32 vcc_lo, s81, v3
	v_cndmask_b32_e64 v23, 0, -1, vcc_lo
	;; [unrolled: 2-line block ×4, first 2 shown]
	v_cmp_eq_u32_e32 vcc_lo, s81, v3
	v_cndmask_b32_e32 v3, v23, v22, vcc_lo
	v_cmp_eq_u32_e32 vcc_lo, s81, v27
	v_add_nc_u64_e32 v[22:23], 2, v[12:13]
	v_cndmask_b32_e32 v19, v30, v19, vcc_lo
	s_delay_alu instid0(VALU_DEP_4) | instskip(NEXT) | instid1(VALU_DEP_2)
	v_cmp_ne_u32_e32 vcc_lo, 0, v3
	v_cmp_ne_u32_e64 s0, 0, v19
	s_delay_alu instid0(VALU_DEP_4) | instskip(NEXT) | instid1(VALU_DEP_1)
	v_dual_cndmask_b32 v3, v25, v23, vcc_lo :: v_dual_cndmask_b32 v19, v24, v22, vcc_lo
	v_dual_cndmask_b32 v3, v13, v3, s0 :: v_dual_bitop2_b32 v22, s78, v26 bitop3:0x14
	s_delay_alu instid0(VALU_DEP_1) | instskip(NEXT) | instid1(VALU_DEP_2)
	v_dual_mov_b32 v23, v22 :: v_dual_cndmask_b32 v12, v12, v19, s0
	v_xor_b32_e32 v13, v3, v22
	s_delay_alu instid0(VALU_DEP_2) | instskip(NEXT) | instid1(VALU_DEP_1)
	v_xor_b32_e32 v12, v12, v22
	v_sub_nc_u64_e32 v[12:13], v[12:13], v[22:23]
.LBB35_13:                              ;   in Loop: Header=BB35_3 Depth=1
	s_and_not1_saveexec_b32 s0, s82
	s_cbranch_execz .LBB35_15
; %bb.14:                               ;   in Loop: Header=BB35_3 Depth=1
	v_rcp_iflag_f32_e32 v3, v9
	s_sub_co_i32 s2, 0, s34
	v_nop
	s_delay_alu instid0(TRANS32_DEP_1) | instskip(NEXT) | instid1(VALU_DEP_1)
	v_mul_f32_e32 v3, 0x4f7ffffe, v3
	v_cvt_u32_f32_e32 v3, v3
	s_delay_alu instid0(VALU_DEP_1) | instskip(NEXT) | instid1(VALU_DEP_1)
	v_mul_lo_u32 v12, s2, v3
	v_mul_hi_u32 v12, v3, v12
	s_delay_alu instid0(VALU_DEP_1) | instskip(NEXT) | instid1(VALU_DEP_1)
	v_add_nc_u32_e32 v3, v3, v12
	v_mul_hi_u32 v3, v32, v3
	s_delay_alu instid0(VALU_DEP_1) | instskip(NEXT) | instid1(VALU_DEP_1)
	v_mul_lo_u32 v12, v3, s34
	v_dual_add_nc_u32 v13, 1, v3 :: v_dual_sub_nc_u32 v12, v32, v12
	s_delay_alu instid0(VALU_DEP_1) | instskip(SKIP_1) | instid1(VALU_DEP_2)
	v_subrev_nc_u32_e32 v19, s34, v12
	v_cmp_le_u32_e32 vcc_lo, s34, v12
	v_dual_cndmask_b32 v12, v12, v19 :: v_dual_cndmask_b32 v3, v3, v13
	s_delay_alu instid0(VALU_DEP_1) | instskip(NEXT) | instid1(VALU_DEP_2)
	v_cmp_le_u32_e32 vcc_lo, s34, v12
	v_add_nc_u32_e32 v13, 1, v3
	s_delay_alu instid0(VALU_DEP_1)
	v_dual_cndmask_b32 v12, v3, v13 :: v_dual_mov_b32 v13, v2
.LBB35_15:                              ;   in Loop: Header=BB35_3 Depth=1
	s_or_b32 exec_lo, exec_lo, s0
	s_delay_alu instid0(VALU_DEP_1) | instskip(SKIP_3) | instid1(VALU_DEP_3)
	v_mul_u64_e32 v[22:23], s[34:35], v[12:13]
	v_mul_u64_e32 v[12:13], s[8:9], v[12:13]
	v_add_nc_u64_e32 v[16:17], 2, v[16:17]
	s_mov_b32 s0, exec_lo
	v_sub_nc_u64_e32 v[22:23], v[20:21], v[22:23]
	s_delay_alu instid0(VALU_DEP_3) | instskip(NEXT) | instid1(VALU_DEP_2)
	v_lshl_add_u64 v[12:13], v[12:13], 3, s[30:31]
	v_add_nc_u64_e32 v[22:23], v[0:1], v[22:23]
	s_delay_alu instid0(VALU_DEP_1) | instskip(NEXT) | instid1(VALU_DEP_1)
	v_mul_u64_e32 v[22:23], s[10:11], v[22:23]
	v_lshl_add_u64 v[12:13], v[22:23], 3, v[12:13]
	v_mul_u64_e32 v[22:23], s[4:5], v[16:17]
                                        ; implicit-def: $vgpr16_vgpr17
	global_load_b64 v[12:13], v[12:13], off
	v_add_nc_u64_e32 v[30:31], v[0:1], v[22:23]
	s_delay_alu instid0(VALU_DEP_1) | instskip(SKIP_1) | instid1(VALU_DEP_1)
	v_dual_ashrrev_i32 v24, 31, v31 :: v_dual_bitop2_b32 v3, s35, v31 bitop3:0x54
	s_wait_xcnt 0x0
	v_cmpx_ne_u64_e32 0, v[2:3]
	s_xor_b32 s82, exec_lo, s0
	s_cbranch_execz .LBB35_17
; %bb.16:                               ;   in Loop: Header=BB35_3 Depth=1
	s_ashr_i32 s78, s35, 31
	v_dual_mov_b32 v25, v24 :: v_dual_mov_b32 v35, v2
	s_mov_b32 s79, s78
	v_mov_b32_e32 v39, v2
	s_add_nc_u64 s[80:81], s[34:35], s[78:79]
	s_delay_alu instid0(VALU_DEP_2)
	v_add_nc_u64_e32 v[16:17], v[30:31], v[24:25]
	s_xor_b64 s[80:81], s[80:81], s[78:79]
	v_mov_b32_e32 v43, v2
	s_cvt_f32_u32 s0, s80
	s_cvt_f32_u32 s2, s81
	s_sub_nc_u64 s[86:87], 0, s[80:81]
	s_delay_alu instid0(VALU_DEP_2) | instskip(NEXT) | instid1(SALU_CYCLE_1)
	v_xor_b32_e32 v34, v16, v24
	s_fmamk_f32 s0, s2, 0x4f800000, s0
	v_xor_b32_e32 v38, v17, v24
	s_delay_alu instid0(SALU_CYCLE_2) | instskip(NEXT) | instid1(TRANS32_DEP_1)
	v_s_rcp_f32 s0, s0
	s_mul_f32 s0, s0, 0x5f7ffffc
	s_delay_alu instid0(SALU_CYCLE_3) | instskip(NEXT) | instid1(SALU_CYCLE_3)
	s_mul_f32 s2, s0, 0x2f800000
	s_trunc_f32 s2, s2
	s_delay_alu instid0(SALU_CYCLE_3) | instskip(SKIP_1) | instid1(SALU_CYCLE_2)
	s_fmamk_f32 s0, s2, 0xcf800000, s0
	s_cvt_u32_f32 s85, s2
	s_cvt_u32_f32 s84, s0
	s_delay_alu instid0(SALU_CYCLE_3) | instskip(NEXT) | instid1(SALU_CYCLE_1)
	s_mul_u64 s[88:89], s[86:87], s[84:85]
	s_mul_hi_u32 s91, s84, s89
	s_mul_i32 s90, s84, s89
	s_mul_hi_u32 s2, s84, s88
	s_mul_i32 s79, s85, s88
	s_add_nc_u64 s[90:91], s[2:3], s[90:91]
	s_mul_hi_u32 s0, s85, s88
	s_mul_hi_u32 s83, s85, s89
	s_add_co_u32 s2, s90, s79
	s_add_co_ci_u32 s2, s91, s0
	s_mul_i32 s88, s85, s89
	s_add_co_ci_u32 s89, s83, 0
	s_delay_alu instid0(SALU_CYCLE_1) | instskip(NEXT) | instid1(SALU_CYCLE_1)
	s_add_nc_u64 s[88:89], s[2:3], s[88:89]
	s_add_co_u32 s84, s84, s88
	s_cselect_b32 s0, -1, 0
	s_delay_alu instid0(SALU_CYCLE_1) | instskip(SKIP_1) | instid1(SALU_CYCLE_1)
	s_cmp_lg_u32 s0, 0
	s_add_co_ci_u32 s85, s85, s89
	s_mul_u64 s[86:87], s[86:87], s[84:85]
	s_delay_alu instid0(SALU_CYCLE_1)
	s_mul_hi_u32 s89, s84, s87
	s_mul_i32 s88, s84, s87
	s_mul_hi_u32 s2, s84, s86
	s_mul_i32 s79, s85, s86
	s_add_nc_u64 s[88:89], s[2:3], s[88:89]
	s_mul_hi_u32 s0, s85, s86
	s_mul_hi_u32 s83, s85, s87
	s_add_co_u32 s2, s88, s79
	s_add_co_ci_u32 s2, s89, s0
	s_mul_i32 s86, s85, s87
	s_add_co_ci_u32 s87, s83, 0
	s_delay_alu instid0(SALU_CYCLE_1) | instskip(NEXT) | instid1(SALU_CYCLE_1)
	s_add_nc_u64 s[86:87], s[2:3], s[86:87]
	s_add_co_u32 s0, s84, s86
	s_cselect_b32 s2, -1, 0
	v_nop
	v_mul_hi_u32 v42, v34, s0
	s_cmp_lg_u32 s2, 0
	s_add_co_ci_u32 s2, s85, s87
	s_and_b64 s[84:85], s[0:1], s[62:63]
	v_mul_u64_e32 v[36:37], s[2:3], v[34:35]
	v_mul_u64_e32 v[16:17], s[84:85], v[38:39]
	;; [unrolled: 1-line block ×3, first 2 shown]
	s_delay_alu instid0(VALU_DEP_3) | instskip(NEXT) | instid1(VALU_DEP_1)
	v_add_nc_u64_e32 v[36:37], v[42:43], v[36:37]
	v_add_co_u32 v3, vcc_lo, v36, v16
	s_delay_alu instid0(VALU_DEP_2) | instskip(NEXT) | instid1(VALU_DEP_4)
	v_add_co_ci_u32_e32 v42, vcc_lo, v37, v17, vcc_lo
	v_add_co_ci_u32_e32 v41, vcc_lo, 0, v41, vcc_lo
	s_delay_alu instid0(VALU_DEP_1) | instskip(NEXT) | instid1(VALU_DEP_1)
	v_add_nc_u64_e32 v[16:17], v[42:43], v[40:41]
	v_mul_u64_e32 v[36:37], s[80:81], v[16:17]
	s_delay_alu instid0(VALU_DEP_1) | instskip(SKIP_1) | instid1(VALU_DEP_3)
	v_sub_co_u32 v9, vcc_lo, v34, v36
	v_add_nc_u64_e32 v[34:35], 2, v[16:17]
	v_sub_nc_u32_e32 v3, v38, v37
	v_sub_co_ci_u32_e64 v25, null, v38, v37, vcc_lo
	s_delay_alu instid0(VALU_DEP_4) | instskip(NEXT) | instid1(VALU_DEP_3)
	v_sub_co_u32 v19, s0, v9, s80
	v_subrev_co_ci_u32_e64 v3, null, s81, v3, vcc_lo
	v_add_nc_u64_e32 v[36:37], 1, v[16:17]
	s_delay_alu instid0(VALU_DEP_3) | instskip(NEXT) | instid1(VALU_DEP_3)
	v_cmp_le_u32_e32 vcc_lo, s80, v19
	v_subrev_co_ci_u32_e64 v3, null, 0, v3, s0
	v_cndmask_b32_e64 v19, 0, -1, vcc_lo
	s_delay_alu instid0(VALU_DEP_2)
	v_cmp_le_u32_e32 vcc_lo, s81, v3
	v_cndmask_b32_e64 v27, 0, -1, vcc_lo
	v_cmp_le_u32_e32 vcc_lo, s80, v9
	v_cndmask_b32_e64 v9, 0, -1, vcc_lo
	;; [unrolled: 2-line block ×3, first 2 shown]
	v_cmp_eq_u32_e32 vcc_lo, s81, v3
	v_cndmask_b32_e32 v3, v27, v19, vcc_lo
	v_cmp_eq_u32_e32 vcc_lo, s81, v25
	s_delay_alu instid0(VALU_DEP_4) | instskip(NEXT) | instid1(VALU_DEP_3)
	v_cndmask_b32_e32 v9, v38, v9, vcc_lo
	v_cmp_ne_u32_e32 vcc_lo, 0, v3
	s_delay_alu instid0(VALU_DEP_2) | instskip(SKIP_1) | instid1(VALU_DEP_1)
	v_cmp_ne_u32_e64 s0, 0, v9
	v_dual_cndmask_b32 v3, v37, v35, vcc_lo :: v_dual_cndmask_b32 v9, v36, v34, vcc_lo
	v_dual_cndmask_b32 v3, v17, v3, s0 :: v_dual_bitop2_b32 v34, s78, v24 bitop3:0x14
	s_delay_alu instid0(VALU_DEP_1) | instskip(NEXT) | instid1(VALU_DEP_2)
	v_dual_cndmask_b32 v9, v16, v9, s0 :: v_dual_mov_b32 v35, v34
	v_xor_b32_e32 v17, v3, v34
	s_delay_alu instid0(VALU_DEP_2) | instskip(NEXT) | instid1(VALU_DEP_1)
	v_xor_b32_e32 v16, v9, v34
                                        ; implicit-def: $vgpr9
	v_sub_nc_u64_e32 v[16:17], v[16:17], v[34:35]
.LBB35_17:                              ;   in Loop: Header=BB35_3 Depth=1
	s_and_not1_saveexec_b32 s0, s82
	s_cbranch_execz .LBB35_19
; %bb.18:                               ;   in Loop: Header=BB35_3 Depth=1
	v_rcp_iflag_f32_e32 v3, v9
	s_sub_co_i32 s2, 0, s34
	v_nop
	s_delay_alu instid0(TRANS32_DEP_1) | instskip(NEXT) | instid1(VALU_DEP_1)
	v_mul_f32_e32 v3, 0x4f7ffffe, v3
	v_cvt_u32_f32_e32 v3, v3
	s_delay_alu instid0(VALU_DEP_1) | instskip(NEXT) | instid1(VALU_DEP_1)
	v_mul_lo_u32 v9, s2, v3
	v_mul_hi_u32 v9, v3, v9
	s_delay_alu instid0(VALU_DEP_1) | instskip(NEXT) | instid1(VALU_DEP_1)
	v_add_nc_u32_e32 v3, v3, v9
	v_mul_hi_u32 v3, v30, v3
	s_delay_alu instid0(VALU_DEP_1) | instskip(NEXT) | instid1(VALU_DEP_1)
	v_mul_lo_u32 v9, v3, s34
	v_sub_nc_u32_e32 v9, v30, v9
	s_delay_alu instid0(VALU_DEP_1) | instskip(SKIP_1) | instid1(VALU_DEP_2)
	v_subrev_nc_u32_e32 v17, s34, v9
	v_cmp_le_u32_e32 vcc_lo, s34, v9
	v_dual_cndmask_b32 v9, v9, v17 :: v_dual_add_nc_u32 v16, 1, v3
	s_delay_alu instid0(VALU_DEP_1) | instskip(NEXT) | instid1(VALU_DEP_2)
	v_dual_cndmask_b32 v3, v3, v16, vcc_lo :: v_dual_mov_b32 v17, v2
	v_cmp_le_u32_e32 vcc_lo, s34, v9
	s_delay_alu instid0(VALU_DEP_2) | instskip(NEXT) | instid1(VALU_DEP_1)
	v_add_nc_u32_e32 v16, 1, v3
	v_cndmask_b32_e32 v16, v3, v16, vcc_lo
.LBB35_19:                              ;   in Loop: Header=BB35_3 Depth=1
	s_or_b32 exec_lo, exec_lo, s0
	s_delay_alu instid0(VALU_DEP_1) | instskip(SKIP_3) | instid1(VALU_DEP_3)
	v_mul_u64_e32 v[34:35], s[34:35], v[16:17]
	v_mul_u64_e32 v[16:17], s[8:9], v[16:17]
	v_or_b32_e32 v3, s39, v29
	s_mov_b32 s0, exec_lo
	v_sub_nc_u64_e32 v[34:35], v[22:23], v[34:35]
	s_delay_alu instid0(VALU_DEP_3) | instskip(NEXT) | instid1(VALU_DEP_2)
	v_lshl_add_u64 v[16:17], v[16:17], 3, s[30:31]
	v_add_nc_u64_e32 v[34:35], v[0:1], v[34:35]
	s_delay_alu instid0(VALU_DEP_1) | instskip(NEXT) | instid1(VALU_DEP_1)
	v_mul_u64_e32 v[34:35], s[10:11], v[34:35]
	v_lshl_add_u64 v[16:17], v[34:35], 3, v[16:17]
                                        ; implicit-def: $vgpr34_vgpr35
	global_load_b64 v[16:17], v[16:17], off
	s_wait_xcnt 0x0
	v_cmpx_ne_u64_e32 0, v[2:3]
	s_xor_b32 s82, exec_lo, s0
	s_cbranch_execz .LBB35_21
; %bb.20:                               ;   in Loop: Header=BB35_3 Depth=1
	s_ashr_i32 s78, s39, 31
	v_dual_mov_b32 v19, v18 :: v_dual_mov_b32 v35, v2
	s_mov_b32 s79, s78
	v_mov_b32_e32 v39, v2
	s_add_nc_u64 s[80:81], s[38:39], s[78:79]
	s_delay_alu instid0(VALU_DEP_2)
	v_add_nc_u64_e32 v[28:29], v[28:29], v[18:19]
	s_xor_b64 s[80:81], s[80:81], s[78:79]
	v_mov_b32_e32 v43, v2
	s_cvt_f32_u32 s0, s80
	s_cvt_f32_u32 s2, s81
	s_sub_nc_u64 s[86:87], 0, s[80:81]
	s_delay_alu instid0(VALU_DEP_2) | instskip(NEXT) | instid1(SALU_CYCLE_1)
	v_xor_b32_e32 v34, v28, v18
	s_fmamk_f32 s0, s2, 0x4f800000, s0
	v_xor_b32_e32 v38, v29, v18
	v_xor_b32_e32 v18, s78, v18
	s_delay_alu instid0(SALU_CYCLE_1) | instskip(NEXT) | instid1(TRANS32_DEP_1)
	v_s_rcp_f32 s0, s0
	s_mul_f32 s0, s0, 0x5f7ffffc
	s_delay_alu instid0(SALU_CYCLE_3) | instskip(NEXT) | instid1(SALU_CYCLE_3)
	s_mul_f32 s2, s0, 0x2f800000
	s_trunc_f32 s2, s2
	s_delay_alu instid0(SALU_CYCLE_3) | instskip(SKIP_1) | instid1(SALU_CYCLE_2)
	s_fmamk_f32 s0, s2, 0xcf800000, s0
	s_cvt_u32_f32 s85, s2
	s_cvt_u32_f32 s84, s0
	s_delay_alu instid0(SALU_CYCLE_3) | instskip(NEXT) | instid1(SALU_CYCLE_1)
	s_mul_u64 s[88:89], s[86:87], s[84:85]
	s_mul_hi_u32 s91, s84, s89
	s_mul_i32 s90, s84, s89
	s_mul_hi_u32 s2, s84, s88
	s_mul_i32 s79, s85, s88
	s_add_nc_u64 s[90:91], s[2:3], s[90:91]
	s_mul_hi_u32 s0, s85, s88
	s_mul_hi_u32 s83, s85, s89
	s_add_co_u32 s2, s90, s79
	s_add_co_ci_u32 s2, s91, s0
	s_mul_i32 s88, s85, s89
	s_add_co_ci_u32 s89, s83, 0
	s_delay_alu instid0(SALU_CYCLE_1) | instskip(NEXT) | instid1(SALU_CYCLE_1)
	s_add_nc_u64 s[88:89], s[2:3], s[88:89]
	s_add_co_u32 s84, s84, s88
	s_cselect_b32 s0, -1, 0
	s_delay_alu instid0(SALU_CYCLE_1) | instskip(SKIP_1) | instid1(SALU_CYCLE_1)
	s_cmp_lg_u32 s0, 0
	s_add_co_ci_u32 s85, s85, s89
	s_mul_u64 s[86:87], s[86:87], s[84:85]
	s_delay_alu instid0(SALU_CYCLE_1)
	s_mul_hi_u32 s89, s84, s87
	s_mul_i32 s88, s84, s87
	s_mul_hi_u32 s2, s84, s86
	s_mul_i32 s79, s85, s86
	s_add_nc_u64 s[88:89], s[2:3], s[88:89]
	s_mul_hi_u32 s0, s85, s86
	s_mul_hi_u32 s83, s85, s87
	s_add_co_u32 s2, s88, s79
	s_add_co_ci_u32 s2, s89, s0
	s_mul_i32 s86, s85, s87
	s_add_co_ci_u32 s87, s83, 0
	s_delay_alu instid0(SALU_CYCLE_1) | instskip(NEXT) | instid1(SALU_CYCLE_1)
	s_add_nc_u64 s[86:87], s[2:3], s[86:87]
	s_add_co_u32 s0, s84, s86
	s_cselect_b32 s2, -1, 0
	v_nop
	v_mul_hi_u32 v42, v34, s0
	s_cmp_lg_u32 s2, 0
	s_add_co_ci_u32 s2, s85, s87
	s_and_b64 s[84:85], s[0:1], s[62:63]
	v_mul_u64_e32 v[36:37], s[2:3], v[34:35]
	v_mul_u64_e32 v[28:29], s[84:85], v[38:39]
	;; [unrolled: 1-line block ×3, first 2 shown]
	s_delay_alu instid0(VALU_DEP_3) | instskip(NEXT) | instid1(VALU_DEP_1)
	v_add_nc_u64_e32 v[36:37], v[42:43], v[36:37]
	v_add_co_u32 v3, vcc_lo, v36, v28
	s_delay_alu instid0(VALU_DEP_2) | instskip(NEXT) | instid1(VALU_DEP_4)
	v_add_co_ci_u32_e32 v42, vcc_lo, v37, v29, vcc_lo
	v_add_co_ci_u32_e32 v41, vcc_lo, 0, v41, vcc_lo
	s_delay_alu instid0(VALU_DEP_1) | instskip(NEXT) | instid1(VALU_DEP_1)
	v_add_nc_u64_e32 v[28:29], v[42:43], v[40:41]
	v_mul_u64_e32 v[36:37], s[80:81], v[28:29]
	s_delay_alu instid0(VALU_DEP_1) | instskip(SKIP_1) | instid1(VALU_DEP_3)
	v_sub_co_u32 v9, vcc_lo, v34, v36
	v_add_nc_u64_e32 v[34:35], 2, v[28:29]
	v_sub_nc_u32_e32 v3, v38, v37
	v_sub_co_ci_u32_e64 v25, null, v38, v37, vcc_lo
	s_delay_alu instid0(VALU_DEP_4) | instskip(NEXT) | instid1(VALU_DEP_3)
	v_sub_co_u32 v19, s0, v9, s80
	v_subrev_co_ci_u32_e64 v3, null, s81, v3, vcc_lo
	v_add_nc_u64_e32 v[36:37], 1, v[28:29]
	s_delay_alu instid0(VALU_DEP_3) | instskip(NEXT) | instid1(VALU_DEP_3)
	v_cmp_le_u32_e32 vcc_lo, s80, v19
	v_subrev_co_ci_u32_e64 v3, null, 0, v3, s0
	v_cndmask_b32_e64 v19, 0, -1, vcc_lo
	s_delay_alu instid0(VALU_DEP_2)
	v_cmp_le_u32_e32 vcc_lo, s81, v3
	v_cndmask_b32_e64 v27, 0, -1, vcc_lo
	v_cmp_le_u32_e32 vcc_lo, s80, v9
	v_cndmask_b32_e64 v9, 0, -1, vcc_lo
	;; [unrolled: 2-line block ×3, first 2 shown]
	v_cmp_eq_u32_e32 vcc_lo, s81, v3
	v_cndmask_b32_e32 v3, v27, v19, vcc_lo
	v_cmp_eq_u32_e32 vcc_lo, s81, v25
	s_delay_alu instid0(VALU_DEP_4) | instskip(NEXT) | instid1(VALU_DEP_3)
	v_cndmask_b32_e32 v9, v38, v9, vcc_lo
	v_cmp_ne_u32_e32 vcc_lo, 0, v3
	s_delay_alu instid0(VALU_DEP_2) | instskip(SKIP_1) | instid1(VALU_DEP_1)
	v_cmp_ne_u32_e64 s0, 0, v9
	v_dual_cndmask_b32 v3, v37, v35, vcc_lo :: v_dual_cndmask_b32 v9, v36, v34, vcc_lo
	v_dual_cndmask_b32 v3, v29, v3, s0 :: v_dual_cndmask_b32 v9, v28, v9, s0
	s_delay_alu instid0(VALU_DEP_1) | instskip(NEXT) | instid1(VALU_DEP_2)
	v_dual_mov_b32 v19, v18 :: v_dual_bitop2_b32 v29, v3, v18 bitop3:0x14
	v_xor_b32_e32 v28, v9, v18
	s_delay_alu instid0(VALU_DEP_1)
	v_sub_nc_u64_e32 v[34:35], v[28:29], v[18:19]
                                        ; implicit-def: $vgpr28_vgpr29
.LBB35_21:                              ;   in Loop: Header=BB35_3 Depth=1
	s_or_saveexec_b32 s0, s82
	v_cvt_f32_u32_e32 v9, s38
	s_xor_b32 exec_lo, exec_lo, s0
	s_cbranch_execz .LBB35_23
; %bb.22:                               ;   in Loop: Header=BB35_3 Depth=1
	s_delay_alu instid0(VALU_DEP_1) | instskip(SKIP_2) | instid1(TRANS32_DEP_1)
	v_rcp_iflag_f32_e32 v3, v9
	s_sub_co_i32 s2, 0, s38
	v_mov_b32_e32 v35, v2
	v_mul_f32_e32 v3, 0x4f7ffffe, v3
	s_delay_alu instid0(VALU_DEP_1) | instskip(NEXT) | instid1(VALU_DEP_1)
	v_cvt_u32_f32_e32 v3, v3
	v_mul_lo_u32 v18, s2, v3
	s_delay_alu instid0(VALU_DEP_1) | instskip(NEXT) | instid1(VALU_DEP_1)
	v_mul_hi_u32 v18, v3, v18
	v_add_nc_u32_e32 v3, v3, v18
	s_delay_alu instid0(VALU_DEP_1) | instskip(NEXT) | instid1(VALU_DEP_1)
	v_mul_hi_u32 v3, v28, v3
	v_mul_lo_u32 v18, v3, s38
	s_delay_alu instid0(VALU_DEP_1) | instskip(NEXT) | instid1(VALU_DEP_1)
	v_dual_add_nc_u32 v19, 1, v3 :: v_dual_sub_nc_u32 v18, v28, v18
	v_subrev_nc_u32_e32 v25, s38, v18
	v_cmp_le_u32_e32 vcc_lo, s38, v18
	s_delay_alu instid0(VALU_DEP_2) | instskip(NEXT) | instid1(VALU_DEP_1)
	v_dual_cndmask_b32 v18, v18, v25 :: v_dual_cndmask_b32 v3, v3, v19
	v_cmp_le_u32_e32 vcc_lo, s38, v18
	s_delay_alu instid0(VALU_DEP_2) | instskip(NEXT) | instid1(VALU_DEP_1)
	v_add_nc_u32_e32 v19, 1, v3
	v_cndmask_b32_e32 v34, v3, v19, vcc_lo
.LBB35_23:                              ;   in Loop: Header=BB35_3 Depth=1
	s_or_b32 exec_lo, exec_lo, s0
	s_delay_alu instid0(VALU_DEP_1) | instskip(SKIP_2) | instid1(VALU_DEP_2)
	v_mul_u64_e32 v[18:19], s[38:39], v[34:35]
	v_or_b32_e32 v3, s39, v33
	s_mov_b32 s0, exec_lo
	v_sub_nc_u64_e32 v[14:15], v[14:15], v[18:19]
	v_mul_u64_e32 v[18:19], s[12:13], v[34:35]
	s_delay_alu instid0(VALU_DEP_2) | instskip(NEXT) | instid1(VALU_DEP_1)
	v_add_nc_u64_e32 v[14:15], v[0:1], v[14:15]
	v_mul_u64_e32 v[14:15], s[14:15], v[14:15]
	s_delay_alu instid0(VALU_DEP_3) | instskip(NEXT) | instid1(VALU_DEP_1)
	v_lshl_add_u64 v[18:19], v[18:19], 3, s[36:37]
	v_lshl_add_u64 v[14:15], v[14:15], 3, v[18:19]
	global_load_b64 v[18:19], v[14:15], off
                                        ; implicit-def: $vgpr14_vgpr15
	s_wait_xcnt 0x0
	v_cmpx_ne_u64_e32 0, v[2:3]
	s_xor_b32 s82, exec_lo, s0
	s_cbranch_execz .LBB35_25
; %bb.24:                               ;   in Loop: Header=BB35_3 Depth=1
	s_ashr_i32 s78, s39, 31
	v_dual_mov_b32 v27, v26 :: v_dual_mov_b32 v29, v2
	s_mov_b32 s79, s78
	v_mov_b32_e32 v39, v2
	s_add_nc_u64 s[80:81], s[38:39], s[78:79]
	s_delay_alu instid0(VALU_DEP_2)
	v_add_nc_u64_e32 v[14:15], v[32:33], v[26:27]
	s_xor_b64 s[80:81], s[80:81], s[78:79]
	v_mov_b32_e32 v35, v2
	s_cvt_f32_u32 s0, s80
	s_cvt_f32_u32 s2, s81
	s_sub_nc_u64 s[86:87], 0, s[80:81]
	s_delay_alu instid0(VALU_DEP_2) | instskip(NEXT) | instid1(SALU_CYCLE_1)
	v_xor_b32_e32 v28, v14, v26
	s_fmamk_f32 s0, s2, 0x4f800000, s0
	v_xor_b32_e32 v34, v15, v26
	v_xor_b32_e32 v26, s78, v26
	s_delay_alu instid0(SALU_CYCLE_1) | instskip(NEXT) | instid1(TRANS32_DEP_1)
	v_s_rcp_f32 s0, s0
	s_mul_f32 s0, s0, 0x5f7ffffc
	s_delay_alu instid0(SALU_CYCLE_3) | instskip(NEXT) | instid1(SALU_CYCLE_3)
	s_mul_f32 s2, s0, 0x2f800000
	s_trunc_f32 s2, s2
	s_delay_alu instid0(SALU_CYCLE_3) | instskip(SKIP_1) | instid1(SALU_CYCLE_2)
	s_fmamk_f32 s0, s2, 0xcf800000, s0
	s_cvt_u32_f32 s85, s2
	s_cvt_u32_f32 s84, s0
	s_delay_alu instid0(SALU_CYCLE_3) | instskip(NEXT) | instid1(SALU_CYCLE_1)
	s_mul_u64 s[88:89], s[86:87], s[84:85]
	s_mul_hi_u32 s91, s84, s89
	s_mul_i32 s90, s84, s89
	s_mul_hi_u32 s2, s84, s88
	s_mul_i32 s79, s85, s88
	s_add_nc_u64 s[90:91], s[2:3], s[90:91]
	s_mul_hi_u32 s0, s85, s88
	s_mul_hi_u32 s83, s85, s89
	s_add_co_u32 s2, s90, s79
	s_add_co_ci_u32 s2, s91, s0
	s_mul_i32 s88, s85, s89
	s_add_co_ci_u32 s89, s83, 0
	s_delay_alu instid0(SALU_CYCLE_1) | instskip(NEXT) | instid1(SALU_CYCLE_1)
	s_add_nc_u64 s[88:89], s[2:3], s[88:89]
	s_add_co_u32 s84, s84, s88
	s_cselect_b32 s0, -1, 0
	s_delay_alu instid0(SALU_CYCLE_1) | instskip(SKIP_1) | instid1(SALU_CYCLE_1)
	s_cmp_lg_u32 s0, 0
	s_add_co_ci_u32 s85, s85, s89
	s_mul_u64 s[86:87], s[86:87], s[84:85]
	s_delay_alu instid0(SALU_CYCLE_1)
	s_mul_hi_u32 s89, s84, s87
	s_mul_i32 s88, s84, s87
	s_mul_hi_u32 s2, s84, s86
	s_mul_i32 s79, s85, s86
	s_add_nc_u64 s[88:89], s[2:3], s[88:89]
	s_mul_hi_u32 s0, s85, s86
	s_mul_hi_u32 s83, s85, s87
	s_add_co_u32 s2, s88, s79
	s_add_co_ci_u32 s2, s89, s0
	s_mul_i32 s86, s85, s87
	s_add_co_ci_u32 s87, s83, 0
	s_delay_alu instid0(SALU_CYCLE_1) | instskip(NEXT) | instid1(SALU_CYCLE_1)
	s_add_nc_u64 s[86:87], s[2:3], s[86:87]
	s_add_co_u32 s0, s84, s86
	s_cselect_b32 s2, -1, 0
	v_nop
	v_mul_hi_u32 v38, v28, s0
	s_cmp_lg_u32 s2, 0
	s_add_co_ci_u32 s2, s85, s87
	s_and_b64 s[84:85], s[0:1], s[62:63]
	v_mul_u64_e32 v[32:33], s[2:3], v[28:29]
	v_mul_u64_e32 v[14:15], s[84:85], v[34:35]
	;; [unrolled: 1-line block ×3, first 2 shown]
	s_delay_alu instid0(VALU_DEP_3) | instskip(NEXT) | instid1(VALU_DEP_1)
	v_add_nc_u64_e32 v[32:33], v[38:39], v[32:33]
	v_add_co_u32 v3, vcc_lo, v32, v14
	s_delay_alu instid0(VALU_DEP_2) | instskip(NEXT) | instid1(VALU_DEP_4)
	v_add_co_ci_u32_e32 v38, vcc_lo, v33, v15, vcc_lo
	v_add_co_ci_u32_e32 v37, vcc_lo, 0, v37, vcc_lo
	s_delay_alu instid0(VALU_DEP_1) | instskip(NEXT) | instid1(VALU_DEP_1)
	v_add_nc_u64_e32 v[14:15], v[38:39], v[36:37]
	v_mul_u64_e32 v[32:33], s[80:81], v[14:15]
	s_delay_alu instid0(VALU_DEP_1) | instskip(NEXT) | instid1(VALU_DEP_2)
	v_sub_nc_u32_e32 v3, v34, v33
	v_sub_co_u32 v25, vcc_lo, v28, v32
	s_delay_alu instid0(VALU_DEP_1) | instskip(NEXT) | instid1(VALU_DEP_3)
	v_sub_co_ci_u32_e64 v34, null, v34, v33, vcc_lo
	v_subrev_co_ci_u32_e64 v3, null, s81, v3, vcc_lo
	s_delay_alu instid0(VALU_DEP_3) | instskip(SKIP_1) | instid1(VALU_DEP_3)
	v_sub_co_u32 v27, s0, v25, s80
	v_add_nc_u64_e32 v[32:33], 1, v[14:15]
	v_subrev_co_ci_u32_e64 v3, null, 0, v3, s0
	s_delay_alu instid0(VALU_DEP_3) | instskip(SKIP_1) | instid1(VALU_DEP_3)
	v_cmp_le_u32_e32 vcc_lo, s80, v27
	v_cndmask_b32_e64 v27, 0, -1, vcc_lo
	v_cmp_le_u32_e32 vcc_lo, s81, v3
	v_cndmask_b32_e64 v28, 0, -1, vcc_lo
	;; [unrolled: 2-line block ×4, first 2 shown]
	v_cmp_eq_u32_e32 vcc_lo, s81, v3
	v_cndmask_b32_e32 v3, v28, v27, vcc_lo
	v_cmp_eq_u32_e32 vcc_lo, s81, v34
	v_add_nc_u64_e32 v[28:29], 2, v[14:15]
	v_cndmask_b32_e32 v25, v35, v25, vcc_lo
	s_delay_alu instid0(VALU_DEP_4) | instskip(NEXT) | instid1(VALU_DEP_2)
	v_cmp_ne_u32_e32 vcc_lo, 0, v3
	v_cmp_ne_u32_e64 s0, 0, v25
	s_delay_alu instid0(VALU_DEP_4) | instskip(NEXT) | instid1(VALU_DEP_1)
	v_dual_cndmask_b32 v3, v33, v29, vcc_lo :: v_dual_cndmask_b32 v25, v32, v28, vcc_lo
                                        ; implicit-def: $vgpr32_vgpr33
	v_dual_cndmask_b32 v3, v15, v3, s0 :: v_dual_cndmask_b32 v14, v14, v25, s0
	s_delay_alu instid0(VALU_DEP_1) | instskip(NEXT) | instid1(VALU_DEP_2)
	v_dual_mov_b32 v27, v26 :: v_dual_bitop2_b32 v15, v3, v26 bitop3:0x14
	v_xor_b32_e32 v14, v14, v26
	s_delay_alu instid0(VALU_DEP_1)
	v_sub_nc_u64_e32 v[14:15], v[14:15], v[26:27]
.LBB35_25:                              ;   in Loop: Header=BB35_3 Depth=1
	s_and_not1_saveexec_b32 s0, s82
	s_cbranch_execz .LBB35_27
; %bb.26:                               ;   in Loop: Header=BB35_3 Depth=1
	v_rcp_iflag_f32_e32 v3, v9
	s_sub_co_i32 s2, 0, s38
	v_nop
	s_delay_alu instid0(TRANS32_DEP_1) | instskip(NEXT) | instid1(VALU_DEP_1)
	v_mul_f32_e32 v3, 0x4f7ffffe, v3
	v_cvt_u32_f32_e32 v3, v3
	s_delay_alu instid0(VALU_DEP_1) | instskip(NEXT) | instid1(VALU_DEP_1)
	v_mul_lo_u32 v14, s2, v3
	v_mul_hi_u32 v14, v3, v14
	s_delay_alu instid0(VALU_DEP_1) | instskip(NEXT) | instid1(VALU_DEP_1)
	v_add_nc_u32_e32 v3, v3, v14
	v_mul_hi_u32 v3, v32, v3
	s_delay_alu instid0(VALU_DEP_1) | instskip(NEXT) | instid1(VALU_DEP_1)
	v_mul_lo_u32 v14, v3, s38
	v_dual_add_nc_u32 v15, 1, v3 :: v_dual_sub_nc_u32 v14, v32, v14
	s_delay_alu instid0(VALU_DEP_1) | instskip(SKIP_1) | instid1(VALU_DEP_2)
	v_subrev_nc_u32_e32 v25, s38, v14
	v_cmp_le_u32_e32 vcc_lo, s38, v14
	v_dual_cndmask_b32 v14, v14, v25 :: v_dual_cndmask_b32 v3, v3, v15
	s_delay_alu instid0(VALU_DEP_1) | instskip(NEXT) | instid1(VALU_DEP_2)
	v_cmp_le_u32_e32 vcc_lo, s38, v14
	v_add_nc_u32_e32 v15, 1, v3
	s_delay_alu instid0(VALU_DEP_1)
	v_dual_cndmask_b32 v14, v3, v15 :: v_dual_mov_b32 v15, v2
.LBB35_27:                              ;   in Loop: Header=BB35_3 Depth=1
	s_or_b32 exec_lo, exec_lo, s0
	s_delay_alu instid0(VALU_DEP_1) | instskip(SKIP_3) | instid1(VALU_DEP_3)
	v_mul_u64_e32 v[26:27], s[38:39], v[14:15]
	v_mul_u64_e32 v[14:15], s[12:13], v[14:15]
	v_or_b32_e32 v3, s39, v31
	s_mov_b32 s0, exec_lo
	v_sub_nc_u64_e32 v[20:21], v[20:21], v[26:27]
	s_delay_alu instid0(VALU_DEP_3) | instskip(NEXT) | instid1(VALU_DEP_2)
	v_lshl_add_u64 v[14:15], v[14:15], 3, s[36:37]
	v_add_nc_u64_e32 v[20:21], v[0:1], v[20:21]
	s_delay_alu instid0(VALU_DEP_1) | instskip(NEXT) | instid1(VALU_DEP_1)
	v_mul_u64_e32 v[20:21], s[14:15], v[20:21]
	v_lshl_add_u64 v[14:15], v[20:21], 3, v[14:15]
	global_load_b64 v[20:21], v[14:15], off
                                        ; implicit-def: $vgpr14_vgpr15
	s_wait_xcnt 0x0
	v_cmpx_ne_u64_e32 0, v[2:3]
	s_xor_b32 s82, exec_lo, s0
	s_cbranch_execz .LBB35_29
; %bb.28:                               ;   in Loop: Header=BB35_3 Depth=1
	s_ashr_i32 s78, s39, 31
	v_dual_mov_b32 v25, v24 :: v_dual_mov_b32 v27, v2
	s_mov_b32 s79, s78
	v_mov_b32_e32 v35, v2
	s_add_nc_u64 s[80:81], s[38:39], s[78:79]
	s_delay_alu instid0(VALU_DEP_2)
	v_add_nc_u64_e32 v[14:15], v[30:31], v[24:25]
	s_xor_b64 s[80:81], s[80:81], s[78:79]
	v_mov_b32_e32 v31, v2
	s_cvt_f32_u32 s0, s80
	s_cvt_f32_u32 s2, s81
	s_sub_nc_u64 s[86:87], 0, s[80:81]
	s_delay_alu instid0(VALU_DEP_2) | instskip(NEXT) | instid1(SALU_CYCLE_1)
	v_xor_b32_e32 v26, v14, v24
	s_fmamk_f32 s0, s2, 0x4f800000, s0
	v_xor_b32_e32 v30, v15, v24
	v_xor_b32_e32 v24, s78, v24
	s_delay_alu instid0(SALU_CYCLE_1) | instskip(NEXT) | instid1(TRANS32_DEP_1)
	v_s_rcp_f32 s0, s0
	s_mul_f32 s0, s0, 0x5f7ffffc
	s_delay_alu instid0(SALU_CYCLE_3) | instskip(NEXT) | instid1(SALU_CYCLE_3)
	s_mul_f32 s2, s0, 0x2f800000
	s_trunc_f32 s2, s2
	s_delay_alu instid0(SALU_CYCLE_3) | instskip(SKIP_1) | instid1(SALU_CYCLE_2)
	s_fmamk_f32 s0, s2, 0xcf800000, s0
	s_cvt_u32_f32 s85, s2
	s_cvt_u32_f32 s84, s0
	s_delay_alu instid0(SALU_CYCLE_3) | instskip(NEXT) | instid1(SALU_CYCLE_1)
	s_mul_u64 s[88:89], s[86:87], s[84:85]
	s_mul_hi_u32 s91, s84, s89
	s_mul_i32 s90, s84, s89
	s_mul_hi_u32 s2, s84, s88
	s_mul_i32 s79, s85, s88
	s_add_nc_u64 s[90:91], s[2:3], s[90:91]
	s_mul_hi_u32 s0, s85, s88
	s_mul_hi_u32 s83, s85, s89
	s_add_co_u32 s2, s90, s79
	s_add_co_ci_u32 s2, s91, s0
	s_mul_i32 s88, s85, s89
	s_add_co_ci_u32 s89, s83, 0
	s_delay_alu instid0(SALU_CYCLE_1) | instskip(NEXT) | instid1(SALU_CYCLE_1)
	s_add_nc_u64 s[88:89], s[2:3], s[88:89]
	s_add_co_u32 s84, s84, s88
	s_cselect_b32 s0, -1, 0
	s_delay_alu instid0(SALU_CYCLE_1) | instskip(SKIP_1) | instid1(SALU_CYCLE_1)
	s_cmp_lg_u32 s0, 0
	s_add_co_ci_u32 s85, s85, s89
	s_mul_u64 s[86:87], s[86:87], s[84:85]
	s_delay_alu instid0(SALU_CYCLE_1)
	s_mul_hi_u32 s89, s84, s87
	s_mul_i32 s88, s84, s87
	s_mul_hi_u32 s2, s84, s86
	s_mul_i32 s79, s85, s86
	s_add_nc_u64 s[88:89], s[2:3], s[88:89]
	s_mul_hi_u32 s0, s85, s86
	s_mul_hi_u32 s83, s85, s87
	s_add_co_u32 s2, s88, s79
	s_add_co_ci_u32 s2, s89, s0
	s_mul_i32 s86, s85, s87
	s_add_co_ci_u32 s87, s83, 0
	s_delay_alu instid0(SALU_CYCLE_1) | instskip(NEXT) | instid1(SALU_CYCLE_1)
	s_add_nc_u64 s[86:87], s[2:3], s[86:87]
	s_add_co_u32 s0, s84, s86
	s_cselect_b32 s2, -1, 0
	v_nop
	v_mul_hi_u32 v34, v26, s0
	s_cmp_lg_u32 s2, 0
	s_add_co_ci_u32 s2, s85, s87
	s_and_b64 s[84:85], s[0:1], s[62:63]
	v_mul_u64_e32 v[28:29], s[2:3], v[26:27]
	v_mul_u64_e32 v[14:15], s[84:85], v[30:31]
	;; [unrolled: 1-line block ×3, first 2 shown]
	s_delay_alu instid0(VALU_DEP_3) | instskip(NEXT) | instid1(VALU_DEP_1)
	v_add_nc_u64_e32 v[28:29], v[34:35], v[28:29]
	v_add_co_u32 v3, vcc_lo, v28, v14
	s_delay_alu instid0(VALU_DEP_2) | instskip(NEXT) | instid1(VALU_DEP_4)
	v_add_co_ci_u32_e32 v34, vcc_lo, v29, v15, vcc_lo
	v_add_co_ci_u32_e32 v33, vcc_lo, 0, v33, vcc_lo
	s_delay_alu instid0(VALU_DEP_1) | instskip(NEXT) | instid1(VALU_DEP_1)
	v_add_nc_u64_e32 v[14:15], v[34:35], v[32:33]
	v_mul_u64_e32 v[28:29], s[80:81], v[14:15]
	s_delay_alu instid0(VALU_DEP_1) | instskip(NEXT) | instid1(VALU_DEP_2)
	v_sub_nc_u32_e32 v3, v30, v29
	v_sub_co_u32 v9, vcc_lo, v26, v28
	s_delay_alu instid0(VALU_DEP_1) | instskip(NEXT) | instid1(VALU_DEP_3)
	v_sub_co_ci_u32_e64 v30, null, v30, v29, vcc_lo
	v_subrev_co_ci_u32_e64 v3, null, s81, v3, vcc_lo
	s_delay_alu instid0(VALU_DEP_3) | instskip(SKIP_1) | instid1(VALU_DEP_3)
	v_sub_co_u32 v25, s0, v9, s80
	v_add_nc_u64_e32 v[28:29], 1, v[14:15]
	v_subrev_co_ci_u32_e64 v3, null, 0, v3, s0
	s_delay_alu instid0(VALU_DEP_3) | instskip(SKIP_1) | instid1(VALU_DEP_3)
	v_cmp_le_u32_e32 vcc_lo, s80, v25
	v_cndmask_b32_e64 v25, 0, -1, vcc_lo
	v_cmp_le_u32_e32 vcc_lo, s81, v3
	v_cndmask_b32_e64 v26, 0, -1, vcc_lo
	;; [unrolled: 2-line block ×4, first 2 shown]
	v_cmp_eq_u32_e32 vcc_lo, s81, v3
	v_cndmask_b32_e32 v3, v26, v25, vcc_lo
	v_cmp_eq_u32_e32 vcc_lo, s81, v30
	v_add_nc_u64_e32 v[26:27], 2, v[14:15]
	v_cndmask_b32_e32 v9, v31, v9, vcc_lo
	s_delay_alu instid0(VALU_DEP_4) | instskip(NEXT) | instid1(VALU_DEP_2)
	v_cmp_ne_u32_e32 vcc_lo, 0, v3
                                        ; implicit-def: $vgpr30_vgpr31
	v_cmp_ne_u32_e64 s0, 0, v9
	s_delay_alu instid0(VALU_DEP_4) | instskip(NEXT) | instid1(VALU_DEP_1)
	v_dual_cndmask_b32 v3, v29, v27, vcc_lo :: v_dual_cndmask_b32 v9, v28, v26, vcc_lo
	v_dual_cndmask_b32 v3, v15, v3, s0 :: v_dual_cndmask_b32 v9, v14, v9, s0
	s_delay_alu instid0(VALU_DEP_1) | instskip(NEXT) | instid1(VALU_DEP_2)
	v_dual_mov_b32 v25, v24 :: v_dual_bitop2_b32 v15, v3, v24 bitop3:0x14
	v_xor_b32_e32 v14, v9, v24
                                        ; implicit-def: $vgpr9
	s_delay_alu instid0(VALU_DEP_1)
	v_sub_nc_u64_e32 v[14:15], v[14:15], v[24:25]
.LBB35_29:                              ;   in Loop: Header=BB35_3 Depth=1
	s_and_not1_saveexec_b32 s0, s82
	s_cbranch_execz .LBB35_31
; %bb.30:                               ;   in Loop: Header=BB35_3 Depth=1
	v_rcp_iflag_f32_e32 v3, v9
	s_sub_co_i32 s2, 0, s38
	v_nop
	s_delay_alu instid0(TRANS32_DEP_1) | instskip(NEXT) | instid1(VALU_DEP_1)
	v_mul_f32_e32 v3, 0x4f7ffffe, v3
	v_cvt_u32_f32_e32 v3, v3
	s_delay_alu instid0(VALU_DEP_1) | instskip(NEXT) | instid1(VALU_DEP_1)
	v_mul_lo_u32 v9, s2, v3
	v_mul_hi_u32 v9, v3, v9
	s_delay_alu instid0(VALU_DEP_1) | instskip(NEXT) | instid1(VALU_DEP_1)
	v_add_nc_u32_e32 v3, v3, v9
	v_mul_hi_u32 v3, v30, v3
	s_delay_alu instid0(VALU_DEP_1) | instskip(NEXT) | instid1(VALU_DEP_1)
	v_mul_lo_u32 v9, v3, s38
	v_dual_add_nc_u32 v14, 1, v3 :: v_dual_sub_nc_u32 v9, v30, v9
	s_delay_alu instid0(VALU_DEP_1) | instskip(SKIP_1) | instid1(VALU_DEP_2)
	v_subrev_nc_u32_e32 v15, s38, v9
	v_cmp_le_u32_e32 vcc_lo, s38, v9
	v_dual_cndmask_b32 v9, v9, v15, vcc_lo :: v_dual_mov_b32 v15, v2
	s_delay_alu instid0(VALU_DEP_4) | instskip(NEXT) | instid1(VALU_DEP_2)
	v_cndmask_b32_e32 v3, v3, v14, vcc_lo
	v_cmp_le_u32_e32 vcc_lo, s38, v9
	s_delay_alu instid0(VALU_DEP_2) | instskip(NEXT) | instid1(VALU_DEP_1)
	v_add_nc_u32_e32 v14, 1, v3
	v_cndmask_b32_e32 v14, v3, v14, vcc_lo
.LBB35_31:                              ;   in Loop: Header=BB35_3 Depth=1
	s_or_b32 exec_lo, exec_lo, s0
	s_delay_alu instid0(VALU_DEP_1) | instskip(SKIP_3) | instid1(VALU_DEP_3)
	v_mul_u64_e32 v[24:25], s[38:39], v[14:15]
	v_mul_u64_e32 v[14:15], s[12:13], v[14:15]
	v_or_b32_e32 v3, s49, v1
	s_mov_b32 s0, exec_lo
	v_sub_nc_u64_e32 v[22:23], v[22:23], v[24:25]
	s_delay_alu instid0(VALU_DEP_3) | instskip(NEXT) | instid1(VALU_DEP_2)
	v_lshl_add_u64 v[14:15], v[14:15], 3, s[36:37]
	v_add_nc_u64_e32 v[22:23], v[0:1], v[22:23]
	s_delay_alu instid0(VALU_DEP_1) | instskip(NEXT) | instid1(VALU_DEP_1)
	v_mul_u64_e32 v[22:23], s[14:15], v[22:23]
	v_lshl_add_u64 v[14:15], v[22:23], 3, v[14:15]
	global_load_b64 v[22:23], v[14:15], off
                                        ; implicit-def: $vgpr14_vgpr15
	s_wait_xcnt 0x0
	v_cmpx_ne_u64_e32 0, v[2:3]
	s_xor_b32 s82, exec_lo, s0
	s_cbranch_execz .LBB35_33
; %bb.32:                               ;   in Loop: Header=BB35_3 Depth=1
	s_ashr_i32 s78, s49, 31
	v_dual_mov_b32 v9, v8 :: v_dual_mov_b32 v25, v2
	s_mov_b32 s79, s78
	v_mov_b32_e32 v33, v2
	s_add_nc_u64 s[80:81], s[48:49], s[78:79]
	s_delay_alu instid0(VALU_DEP_2)
	v_add_nc_u64_e32 v[14:15], v[0:1], v[8:9]
	s_xor_b64 s[80:81], s[80:81], s[78:79]
	v_mov_b32_e32 v29, v2
	s_cvt_f32_u32 s0, s80
	s_cvt_f32_u32 s2, s81
	s_sub_nc_u64 s[86:87], 0, s[80:81]
	s_delay_alu instid0(VALU_DEP_2) | instskip(NEXT) | instid1(SALU_CYCLE_1)
	v_xor_b32_e32 v28, v15, v8
	s_fmamk_f32 s0, s2, 0x4f800000, s0
	v_xor_b32_e32 v24, v14, v8
	s_delay_alu instid0(SALU_CYCLE_2) | instskip(NEXT) | instid1(TRANS32_DEP_1)
	v_s_rcp_f32 s0, s0
	s_mul_f32 s0, s0, 0x5f7ffffc
	s_delay_alu instid0(SALU_CYCLE_3) | instskip(NEXT) | instid1(SALU_CYCLE_3)
	s_mul_f32 s2, s0, 0x2f800000
	s_trunc_f32 s2, s2
	s_delay_alu instid0(SALU_CYCLE_3) | instskip(SKIP_1) | instid1(SALU_CYCLE_2)
	s_fmamk_f32 s0, s2, 0xcf800000, s0
	s_cvt_u32_f32 s85, s2
	s_cvt_u32_f32 s84, s0
	s_delay_alu instid0(SALU_CYCLE_3) | instskip(NEXT) | instid1(SALU_CYCLE_1)
	s_mul_u64 s[88:89], s[86:87], s[84:85]
	s_mul_hi_u32 s91, s84, s89
	s_mul_i32 s90, s84, s89
	s_mul_hi_u32 s2, s84, s88
	s_mul_i32 s79, s85, s88
	s_add_nc_u64 s[90:91], s[2:3], s[90:91]
	s_mul_hi_u32 s0, s85, s88
	s_mul_hi_u32 s83, s85, s89
	s_add_co_u32 s2, s90, s79
	s_add_co_ci_u32 s2, s91, s0
	s_mul_i32 s88, s85, s89
	s_add_co_ci_u32 s89, s83, 0
	s_delay_alu instid0(SALU_CYCLE_1) | instskip(NEXT) | instid1(SALU_CYCLE_1)
	s_add_nc_u64 s[88:89], s[2:3], s[88:89]
	s_add_co_u32 s84, s84, s88
	s_cselect_b32 s0, -1, 0
	s_delay_alu instid0(SALU_CYCLE_1) | instskip(SKIP_1) | instid1(SALU_CYCLE_1)
	s_cmp_lg_u32 s0, 0
	s_add_co_ci_u32 s85, s85, s89
	s_mul_u64 s[86:87], s[86:87], s[84:85]
	s_delay_alu instid0(SALU_CYCLE_1)
	s_mul_hi_u32 s89, s84, s87
	s_mul_i32 s88, s84, s87
	s_mul_hi_u32 s2, s84, s86
	s_mul_i32 s79, s85, s86
	s_add_nc_u64 s[88:89], s[2:3], s[88:89]
	s_mul_hi_u32 s0, s85, s86
	s_mul_hi_u32 s83, s85, s87
	s_add_co_u32 s2, s88, s79
	s_add_co_ci_u32 s2, s89, s0
	s_mul_i32 s86, s85, s87
	s_add_co_ci_u32 s87, s83, 0
	s_delay_alu instid0(SALU_CYCLE_1) | instskip(NEXT) | instid1(SALU_CYCLE_1)
	s_add_nc_u64 s[86:87], s[2:3], s[86:87]
	s_add_co_u32 s0, s84, s86
	s_cselect_b32 s2, -1, 0
	v_nop
	v_mul_hi_u32 v32, v24, s0
	s_cmp_lg_u32 s2, 0
	s_add_co_ci_u32 s2, s85, s87
	s_and_b64 s[84:85], s[0:1], s[62:63]
	v_mul_u64_e32 v[26:27], s[2:3], v[24:25]
	v_mul_u64_e32 v[14:15], s[84:85], v[28:29]
	v_mul_u64_e32 v[30:31], s[2:3], v[28:29]
	s_delay_alu instid0(VALU_DEP_3) | instskip(NEXT) | instid1(VALU_DEP_1)
	v_add_nc_u64_e32 v[26:27], v[32:33], v[26:27]
	v_add_co_u32 v3, vcc_lo, v26, v14
	s_delay_alu instid0(VALU_DEP_2) | instskip(NEXT) | instid1(VALU_DEP_4)
	v_add_co_ci_u32_e32 v32, vcc_lo, v27, v15, vcc_lo
	v_add_co_ci_u32_e32 v31, vcc_lo, 0, v31, vcc_lo
	s_delay_alu instid0(VALU_DEP_1) | instskip(NEXT) | instid1(VALU_DEP_1)
	v_add_nc_u64_e32 v[14:15], v[32:33], v[30:31]
	v_mul_u64_e32 v[26:27], s[80:81], v[14:15]
	s_delay_alu instid0(VALU_DEP_1) | instskip(NEXT) | instid1(VALU_DEP_2)
	v_sub_nc_u32_e32 v3, v28, v27
	v_sub_co_u32 v9, vcc_lo, v24, v26
	s_delay_alu instid0(VALU_DEP_1) | instskip(NEXT) | instid1(VALU_DEP_3)
	v_sub_co_ci_u32_e64 v28, null, v28, v27, vcc_lo
	v_subrev_co_ci_u32_e64 v3, null, s81, v3, vcc_lo
	s_delay_alu instid0(VALU_DEP_3) | instskip(SKIP_1) | instid1(VALU_DEP_3)
	v_sub_co_u32 v24, s0, v9, s80
	v_add_nc_u64_e32 v[26:27], 1, v[14:15]
	v_subrev_co_ci_u32_e64 v3, null, 0, v3, s0
	s_delay_alu instid0(VALU_DEP_3) | instskip(SKIP_1) | instid1(VALU_DEP_3)
	v_cmp_le_u32_e32 vcc_lo, s80, v24
	v_cndmask_b32_e64 v24, 0, -1, vcc_lo
	v_cmp_le_u32_e32 vcc_lo, s81, v3
	v_cndmask_b32_e64 v25, 0, -1, vcc_lo
	;; [unrolled: 2-line block ×4, first 2 shown]
	v_cmp_eq_u32_e32 vcc_lo, s81, v3
	v_cndmask_b32_e32 v3, v25, v24, vcc_lo
	v_cmp_eq_u32_e32 vcc_lo, s81, v28
	v_add_nc_u64_e32 v[24:25], 2, v[14:15]
	v_cndmask_b32_e32 v9, v29, v9, vcc_lo
	s_delay_alu instid0(VALU_DEP_4) | instskip(NEXT) | instid1(VALU_DEP_2)
	v_cmp_ne_u32_e32 vcc_lo, 0, v3
	v_cmp_ne_u32_e64 s0, 0, v9
	s_delay_alu instid0(VALU_DEP_4) | instskip(NEXT) | instid1(VALU_DEP_1)
	v_dual_cndmask_b32 v3, v27, v25, vcc_lo :: v_dual_cndmask_b32 v9, v26, v24, vcc_lo
	v_dual_cndmask_b32 v3, v15, v3, s0 :: v_dual_bitop2_b32 v24, s78, v8 bitop3:0x14
	s_delay_alu instid0(VALU_DEP_1) | instskip(NEXT) | instid1(VALU_DEP_2)
	v_dual_cndmask_b32 v9, v14, v9, s0 :: v_dual_mov_b32 v25, v24
	v_xor_b32_e32 v15, v3, v24
	s_delay_alu instid0(VALU_DEP_2) | instskip(NEXT) | instid1(VALU_DEP_1)
	v_xor_b32_e32 v14, v9, v24
	v_sub_nc_u64_e32 v[14:15], v[14:15], v[24:25]
.LBB35_33:                              ;   in Loop: Header=BB35_3 Depth=1
	s_and_not1_saveexec_b32 s0, s82
	s_cbranch_execz .LBB35_35
; %bb.34:                               ;   in Loop: Header=BB35_3 Depth=1
	v_cvt_f32_u32_e32 v3, s48
	s_sub_co_i32 s2, 0, s48
	s_delay_alu instid0(VALU_DEP_1) | instskip(SKIP_1) | instid1(TRANS32_DEP_1)
	v_rcp_iflag_f32_e32 v3, v3
	v_nop
	v_mul_f32_e32 v3, 0x4f7ffffe, v3
	s_delay_alu instid0(VALU_DEP_1) | instskip(NEXT) | instid1(VALU_DEP_1)
	v_cvt_u32_f32_e32 v3, v3
	v_mul_lo_u32 v9, s2, v3
	s_delay_alu instid0(VALU_DEP_1) | instskip(NEXT) | instid1(VALU_DEP_1)
	v_mul_hi_u32 v9, v3, v9
	v_add_nc_u32_e32 v3, v3, v9
	s_delay_alu instid0(VALU_DEP_1) | instskip(NEXT) | instid1(VALU_DEP_1)
	v_mul_hi_u32 v3, v0, v3
	v_mul_lo_u32 v9, v3, s48
	s_delay_alu instid0(VALU_DEP_1) | instskip(NEXT) | instid1(VALU_DEP_1)
	v_dual_add_nc_u32 v14, 1, v3 :: v_dual_sub_nc_u32 v9, v0, v9
	v_subrev_nc_u32_e32 v15, s48, v9
	v_cmp_le_u32_e32 vcc_lo, s48, v9
	s_delay_alu instid0(VALU_DEP_2) | instskip(NEXT) | instid1(VALU_DEP_4)
	v_dual_cndmask_b32 v9, v9, v15, vcc_lo :: v_dual_mov_b32 v15, v2
	v_cndmask_b32_e32 v3, v3, v14, vcc_lo
	s_delay_alu instid0(VALU_DEP_2) | instskip(NEXT) | instid1(VALU_DEP_2)
	v_cmp_le_u32_e32 vcc_lo, s48, v9
	v_add_nc_u32_e32 v14, 1, v3
	s_delay_alu instid0(VALU_DEP_1)
	v_cndmask_b32_e32 v14, v3, v14, vcc_lo
.LBB35_35:                              ;   in Loop: Header=BB35_3 Depth=1
	s_or_b32 exec_lo, exec_lo, s0
	s_delay_alu instid0(VALU_DEP_1) | instskip(SKIP_1) | instid1(VALU_DEP_1)
	v_mad_nc_u64_u32 v[24:25], s74, v14, v[0:1]
	s_mov_b32 s0, exec_lo
	v_mad_u32 v3, s75, v14, v25
	s_delay_alu instid0(VALU_DEP_1) | instskip(SKIP_2) | instid1(VALU_DEP_3)
	v_mad_u32 v25, s74, v15, v3
	v_mul_u64_e32 v[14:15], s[16:17], v[14:15]
	v_or_b32_e32 v3, s53, v1
	v_mul_u64_e32 v[24:25], s[18:19], v[24:25]
	s_delay_alu instid0(VALU_DEP_3) | instskip(NEXT) | instid1(VALU_DEP_1)
	v_lshl_add_u64 v[14:15], v[14:15], 3, s[46:47]
	v_lshl_add_u64 v[14:15], v[24:25], 3, v[14:15]
                                        ; implicit-def: $vgpr24_vgpr25
	global_load_b64 v[14:15], v[14:15], off
	s_wait_xcnt 0x0
	v_cmpx_ne_u64_e32 0, v[2:3]
	s_xor_b32 s82, exec_lo, s0
	s_cbranch_execnz .LBB35_39
; %bb.36:                               ;   in Loop: Header=BB35_3 Depth=1
	s_and_not1_saveexec_b32 s0, s82
	s_cbranch_execnz .LBB35_40
.LBB35_37:                              ;   in Loop: Header=BB35_3 Depth=1
	s_or_b32 exec_lo, exec_lo, s0
	s_delay_alu instid0(SALU_CYCLE_1)
	s_and_not1_b32 vcc_lo, exec_lo, s1
	s_cbranch_vccnz .LBB35_41
.LBB35_38:                              ;   in Loop: Header=BB35_3 Depth=1
	v_sub_nc_u64_e32 v[8:9], 1, v[6:7]
	v_sub_nc_u64_e32 v[26:27], 2, v[6:7]
	v_mad_nc_u64_u32 v[28:29], s72, v6, v[0:1]
	s_delay_alu instid0(VALU_DEP_3) | instskip(NEXT) | instid1(VALU_DEP_3)
	v_mad_nc_u64_u32 v[30:31], s4, v8, v[0:1]
	v_mad_nc_u64_u32 v[32:33], s4, v26, v[0:1]
	s_delay_alu instid0(VALU_DEP_3) | instskip(NEXT) | instid1(VALU_DEP_3)
	v_mad_u32 v3, s73, v6, v29
	v_mad_u32 v8, s5, v8, v31
	s_delay_alu instid0(VALU_DEP_3) | instskip(NEXT) | instid1(VALU_DEP_3)
	v_mad_u32 v26, s5, v26, v33
	v_mad_u32 v29, s72, v7, v3
	;; [unrolled: 3-line block ×3, first 2 shown]
	s_delay_alu instid0(VALU_DEP_3) | instskip(SKIP_1) | instid1(VALU_DEP_4)
	v_mul_u64_e32 v[8:9], s[40:41], v[28:29]
	v_mul_u64_e32 v[26:27], s[44:45], v[28:29]
	;; [unrolled: 1-line block ×3, first 2 shown]
	s_delay_alu instid0(VALU_DEP_4)
	v_mul_u64_e32 v[34:35], s[40:41], v[32:33]
	v_mul_u64_e32 v[30:31], s[44:45], v[30:31]
	;; [unrolled: 1-line block ×3, first 2 shown]
	v_lshl_add_u64 v[8:9], v[8:9], 3, s[28:29]
	v_lshl_add_u64 v[36:37], v[26:27], 3, s[42:43]
	;; [unrolled: 1-line block ×6, first 2 shown]
	s_clause 0x2
	global_load_b64 v[34:35], v[8:9], off
	global_load_b64 v[26:27], v[26:27], off
	;; [unrolled: 1-line block ×3, first 2 shown]
	s_clause 0x2
	global_load_b64 v[32:33], v[36:37], off
	global_load_b64 v[28:29], v[30:31], off
	;; [unrolled: 1-line block ×3, first 2 shown]
	s_branch .LBB35_42
.LBB35_39:                              ;   in Loop: Header=BB35_3 Depth=1
	s_ashr_i32 s78, s53, 31
	v_dual_mov_b32 v9, v8 :: v_dual_mov_b32 v27, v2
	s_mov_b32 s79, s78
	v_mov_b32_e32 v31, v2
	s_add_nc_u64 s[80:81], s[52:53], s[78:79]
	s_delay_alu instid0(VALU_DEP_2)
	v_add_nc_u64_e32 v[24:25], v[0:1], v[8:9]
	s_xor_b64 s[80:81], s[80:81], s[78:79]
	v_mov_b32_e32 v35, v2
	s_cvt_f32_u32 s0, s80
	s_cvt_f32_u32 s2, s81
	s_sub_nc_u64 s[86:87], 0, s[80:81]
	s_delay_alu instid0(VALU_DEP_2) | instskip(NEXT) | instid1(SALU_CYCLE_1)
	v_xor_b32_e32 v26, v24, v8
	s_fmamk_f32 s0, s2, 0x4f800000, s0
	v_xor_b32_e32 v30, v25, v8
	v_xor_b32_e32 v8, s78, v8
	s_delay_alu instid0(SALU_CYCLE_1) | instskip(NEXT) | instid1(TRANS32_DEP_1)
	v_s_rcp_f32 s0, s0
	s_mul_f32 s0, s0, 0x5f7ffffc
	s_delay_alu instid0(SALU_CYCLE_3) | instskip(NEXT) | instid1(SALU_CYCLE_3)
	s_mul_f32 s2, s0, 0x2f800000
	s_trunc_f32 s2, s2
	s_delay_alu instid0(SALU_CYCLE_3) | instskip(SKIP_1) | instid1(SALU_CYCLE_2)
	s_fmamk_f32 s0, s2, 0xcf800000, s0
	s_cvt_u32_f32 s85, s2
	s_cvt_u32_f32 s84, s0
	s_delay_alu instid0(SALU_CYCLE_3) | instskip(NEXT) | instid1(SALU_CYCLE_1)
	s_mul_u64 s[88:89], s[86:87], s[84:85]
	s_mul_hi_u32 s91, s84, s89
	s_mul_i32 s90, s84, s89
	s_mul_hi_u32 s2, s84, s88
	s_mul_i32 s79, s85, s88
	s_add_nc_u64 s[90:91], s[2:3], s[90:91]
	s_mul_hi_u32 s0, s85, s88
	s_mul_hi_u32 s83, s85, s89
	s_add_co_u32 s2, s90, s79
	s_add_co_ci_u32 s2, s91, s0
	s_mul_i32 s88, s85, s89
	s_add_co_ci_u32 s89, s83, 0
	s_delay_alu instid0(SALU_CYCLE_1) | instskip(NEXT) | instid1(SALU_CYCLE_1)
	s_add_nc_u64 s[88:89], s[2:3], s[88:89]
	s_add_co_u32 s84, s84, s88
	s_cselect_b32 s0, -1, 0
	s_delay_alu instid0(SALU_CYCLE_1) | instskip(SKIP_1) | instid1(SALU_CYCLE_1)
	s_cmp_lg_u32 s0, 0
	s_add_co_ci_u32 s85, s85, s89
	s_mul_u64 s[86:87], s[86:87], s[84:85]
	s_delay_alu instid0(SALU_CYCLE_1)
	s_mul_hi_u32 s89, s84, s87
	s_mul_i32 s88, s84, s87
	s_mul_hi_u32 s2, s84, s86
	s_mul_i32 s79, s85, s86
	s_add_nc_u64 s[88:89], s[2:3], s[88:89]
	s_mul_hi_u32 s0, s85, s86
	s_mul_hi_u32 s83, s85, s87
	s_add_co_u32 s2, s88, s79
	s_add_co_ci_u32 s2, s89, s0
	s_mul_i32 s86, s85, s87
	s_add_co_ci_u32 s87, s83, 0
	s_delay_alu instid0(SALU_CYCLE_1) | instskip(NEXT) | instid1(SALU_CYCLE_1)
	s_add_nc_u64 s[86:87], s[2:3], s[86:87]
	s_add_co_u32 s0, s84, s86
	s_cselect_b32 s2, -1, 0
	v_nop
	v_mul_hi_u32 v34, v26, s0
	s_cmp_lg_u32 s2, 0
	s_add_co_ci_u32 s2, s85, s87
	s_and_b64 s[84:85], s[0:1], s[62:63]
	v_mul_u64_e32 v[28:29], s[2:3], v[26:27]
	v_mul_u64_e32 v[24:25], s[84:85], v[30:31]
	;; [unrolled: 1-line block ×3, first 2 shown]
	s_delay_alu instid0(VALU_DEP_3) | instskip(NEXT) | instid1(VALU_DEP_1)
	v_add_nc_u64_e32 v[28:29], v[34:35], v[28:29]
	v_add_co_u32 v3, vcc_lo, v28, v24
	s_delay_alu instid0(VALU_DEP_2) | instskip(NEXT) | instid1(VALU_DEP_4)
	v_add_co_ci_u32_e32 v34, vcc_lo, v29, v25, vcc_lo
	v_add_co_ci_u32_e32 v33, vcc_lo, 0, v33, vcc_lo
	s_delay_alu instid0(VALU_DEP_1) | instskip(NEXT) | instid1(VALU_DEP_1)
	v_add_nc_u64_e32 v[24:25], v[34:35], v[32:33]
	v_mul_u64_e32 v[28:29], s[80:81], v[24:25]
	s_delay_alu instid0(VALU_DEP_1) | instskip(NEXT) | instid1(VALU_DEP_2)
	v_sub_nc_u32_e32 v3, v30, v29
	v_sub_co_u32 v9, vcc_lo, v26, v28
	s_delay_alu instid0(VALU_DEP_1) | instskip(NEXT) | instid1(VALU_DEP_3)
	v_sub_co_ci_u32_e64 v30, null, v30, v29, vcc_lo
	v_subrev_co_ci_u32_e64 v3, null, s81, v3, vcc_lo
	s_delay_alu instid0(VALU_DEP_3) | instskip(SKIP_1) | instid1(VALU_DEP_3)
	v_sub_co_u32 v26, s0, v9, s80
	v_add_nc_u64_e32 v[28:29], 1, v[24:25]
	v_subrev_co_ci_u32_e64 v3, null, 0, v3, s0
	s_delay_alu instid0(VALU_DEP_3) | instskip(SKIP_1) | instid1(VALU_DEP_3)
	v_cmp_le_u32_e32 vcc_lo, s80, v26
	v_cndmask_b32_e64 v26, 0, -1, vcc_lo
	v_cmp_le_u32_e32 vcc_lo, s81, v3
	v_cndmask_b32_e64 v27, 0, -1, vcc_lo
	v_cmp_le_u32_e32 vcc_lo, s80, v9
	v_cndmask_b32_e64 v9, 0, -1, vcc_lo
	v_cmp_le_u32_e32 vcc_lo, s81, v30
	v_cndmask_b32_e64 v31, 0, -1, vcc_lo
	v_cmp_eq_u32_e32 vcc_lo, s81, v3
	v_cndmask_b32_e32 v3, v27, v26, vcc_lo
	v_cmp_eq_u32_e32 vcc_lo, s81, v30
	v_add_nc_u64_e32 v[26:27], 2, v[24:25]
	v_cndmask_b32_e32 v9, v31, v9, vcc_lo
	s_delay_alu instid0(VALU_DEP_4) | instskip(NEXT) | instid1(VALU_DEP_3)
	v_cmp_ne_u32_e32 vcc_lo, 0, v3
	v_cndmask_b32_e32 v3, v29, v27, vcc_lo
	s_delay_alu instid0(VALU_DEP_3) | instskip(NEXT) | instid1(VALU_DEP_1)
	v_cmp_ne_u32_e64 s0, 0, v9
	v_dual_cndmask_b32 v9, v28, v26, vcc_lo :: v_dual_cndmask_b32 v3, v25, v3, s0
	s_delay_alu instid0(VALU_DEP_1) | instskip(NEXT) | instid1(VALU_DEP_2)
	v_cndmask_b32_e64 v24, v24, v9, s0
	v_dual_mov_b32 v9, v8 :: v_dual_bitop2_b32 v25, v3, v8 bitop3:0x14
	s_delay_alu instid0(VALU_DEP_2) | instskip(NEXT) | instid1(VALU_DEP_1)
	v_xor_b32_e32 v24, v24, v8
	v_sub_nc_u64_e32 v[24:25], v[24:25], v[8:9]
	s_and_not1_saveexec_b32 s0, s82
	s_cbranch_execz .LBB35_37
.LBB35_40:                              ;   in Loop: Header=BB35_3 Depth=1
	v_cvt_f32_u32_e32 v3, s52
	s_sub_co_i32 s2, 0, s52
	v_mov_b32_e32 v25, v2
	s_delay_alu instid0(VALU_DEP_2) | instskip(SKIP_1) | instid1(TRANS32_DEP_1)
	v_rcp_iflag_f32_e32 v3, v3
	v_nop
	v_mul_f32_e32 v3, 0x4f7ffffe, v3
	s_delay_alu instid0(VALU_DEP_1) | instskip(NEXT) | instid1(VALU_DEP_1)
	v_cvt_u32_f32_e32 v3, v3
	v_mul_lo_u32 v8, s2, v3
	s_delay_alu instid0(VALU_DEP_1) | instskip(NEXT) | instid1(VALU_DEP_1)
	v_mul_hi_u32 v8, v3, v8
	v_add_nc_u32_e32 v3, v3, v8
	s_delay_alu instid0(VALU_DEP_1) | instskip(NEXT) | instid1(VALU_DEP_1)
	v_mul_hi_u32 v3, v0, v3
	v_mul_lo_u32 v8, v3, s52
	s_delay_alu instid0(VALU_DEP_1) | instskip(NEXT) | instid1(VALU_DEP_1)
	v_sub_nc_u32_e32 v8, v0, v8
	v_subrev_nc_u32_e32 v24, s52, v8
	v_cmp_le_u32_e32 vcc_lo, s52, v8
	s_delay_alu instid0(VALU_DEP_2) | instskip(NEXT) | instid1(VALU_DEP_1)
	v_dual_cndmask_b32 v8, v8, v24 :: v_dual_add_nc_u32 v9, 1, v3
	v_cndmask_b32_e32 v3, v3, v9, vcc_lo
	s_delay_alu instid0(VALU_DEP_2) | instskip(NEXT) | instid1(VALU_DEP_2)
	v_cmp_le_u32_e32 vcc_lo, s52, v8
	v_add_nc_u32_e32 v9, 1, v3
	s_delay_alu instid0(VALU_DEP_1) | instskip(SKIP_1) | instid1(SALU_CYCLE_1)
	v_cndmask_b32_e32 v24, v3, v9, vcc_lo
	s_or_b32 exec_lo, exec_lo, s0
	s_and_not1_b32 vcc_lo, exec_lo, s1
	s_cbranch_vccz .LBB35_38
.LBB35_41:                              ;   in Loop: Header=BB35_3 Depth=1
	v_mov_b64_e32 v[26:27], 0
	v_mov_b64_e32 v[8:9], 0
	;; [unrolled: 1-line block ×6, first 2 shown]
.LBB35_42:                              ;   in Loop: Header=BB35_3 Depth=1
	s_wait_loadcnt 0x3
	v_add_f64_e32 v[10:11], v[10:11], v[18:19]
	s_wait_loadcnt 0x2
	v_add_f64_e32 v[12:13], v[12:13], v[20:21]
	s_delay_alu instid0(VALU_DEP_2) | instskip(NEXT) | instid1(VALU_DEP_2)
	v_add_f64_e32 v[10:11], v[10:11], v[34:35]
	v_add_f64_e32 v[12:13], v[12:13], v[26:27]
	s_delay_alu instid0(VALU_DEP_2) | instskip(SKIP_1) | instid1(VALU_DEP_2)
	v_add_f64_e32 v[10:11], v[32:33], v[10:11]
	s_wait_loadcnt 0x1
	v_add_f64_e32 v[12:13], v[12:13], v[28:29]
	s_delay_alu instid0(VALU_DEP_2) | instskip(SKIP_1) | instid1(VALU_DEP_3)
	v_mul_f64_e32 v[18:19], 0xbff71547652b82fe, v[10:11]
	v_cmp_nlt_f64_e64 s0, 0x4090cc00, v[10:11]
	v_mul_f64_e32 v[28:29], 0xbff71547652b82fe, v[12:13]
	s_delay_alu instid0(VALU_DEP_3) | instskip(NEXT) | instid1(VALU_DEP_2)
	v_rndne_f64_e32 v[18:19], v[18:19]
	v_rndne_f64_e32 v[28:29], v[28:29]
	s_delay_alu instid0(VALU_DEP_2) | instskip(SKIP_1) | instid1(VALU_DEP_2)
	v_fma_f64 v[32:33], v[18:19], s[64:65], -v[10:11]
	v_cvt_i32_f64_e32 v3, v[18:19]
	v_fmac_f64_e32 v[32:33], 0xbc7abc9e3b39803f, v[18:19]
	s_delay_alu instid0(VALU_DEP_1) | instskip(NEXT) | instid1(VALU_DEP_1)
	v_fmamk_f64 v[34:35], v[32:33], 0x3e5ade156a5dcb37, v[4:5]
	v_fmaak_f64 v[34:35], v[32:33], v[34:35], 0x3ec71dee623fde64
	s_delay_alu instid0(VALU_DEP_1) | instskip(NEXT) | instid1(VALU_DEP_1)
	v_fmaak_f64 v[34:35], v[32:33], v[34:35], 0x3efa01997c89e6b0
	v_fmaak_f64 v[34:35], v[32:33], v[34:35], 0x3f2a01a014761f6e
	s_delay_alu instid0(VALU_DEP_1) | instskip(NEXT) | instid1(VALU_DEP_1)
	v_fmaak_f64 v[34:35], v[32:33], v[34:35], 0x3f56c16c1852b7b0
	v_fmaak_f64 v[34:35], v[32:33], v[34:35], 0x3f81111111122322
	s_delay_alu instid0(VALU_DEP_1) | instskip(NEXT) | instid1(VALU_DEP_1)
	v_fmaak_f64 v[34:35], v[32:33], v[34:35], 0x3fa55555555502a1
	v_fmaak_f64 v[34:35], v[32:33], v[34:35], 0x3fc5555555555511
	s_delay_alu instid0(VALU_DEP_1) | instskip(NEXT) | instid1(VALU_DEP_1)
	v_fmaak_f64 v[34:35], v[32:33], v[34:35], 0x3fe000000000000b
	v_fma_f64 v[34:35], v[32:33], v[34:35], 1.0
	s_delay_alu instid0(VALU_DEP_1) | instskip(NEXT) | instid1(VALU_DEP_1)
	v_fma_f64 v[18:19], v[32:33], v[34:35], 1.0
	v_ldexp_f64 v[18:19], v[18:19], v3
	s_delay_alu instid0(VALU_DEP_1) | instskip(NEXT) | instid1(VALU_DEP_1)
	v_add_f64_e32 v[18:19], 1.0, v[18:19]
	v_div_scale_f64 v[32:33], null, v[18:19], v[18:19], 1.0
	s_wait_xcnt 0x0
	v_div_scale_f64 v[38:39], vcc_lo, 1.0, v[18:19], 1.0
	s_delay_alu instid0(VALU_DEP_2) | instskip(SKIP_1) | instid1(TRANS32_DEP_1)
	v_rcp_f64_e32 v[34:35], v[32:33]
	v_nop
	v_fma_f64 v[36:37], -v[32:33], v[34:35], 1.0
	s_delay_alu instid0(VALU_DEP_1) | instskip(NEXT) | instid1(VALU_DEP_1)
	v_fmac_f64_e32 v[34:35], v[34:35], v[36:37]
	v_fma_f64 v[36:37], -v[32:33], v[34:35], 1.0
	s_delay_alu instid0(VALU_DEP_1) | instskip(NEXT) | instid1(VALU_DEP_1)
	v_fmac_f64_e32 v[34:35], v[34:35], v[36:37]
	v_mul_f64_e32 v[36:37], v[38:39], v[34:35]
	s_delay_alu instid0(VALU_DEP_1) | instskip(NEXT) | instid1(VALU_DEP_1)
	v_fma_f64 v[32:33], -v[32:33], v[36:37], v[38:39]
	v_div_fmas_f64 v[32:33], v[32:33], v[34:35], v[36:37]
	v_cmp_ngt_f64_e32 vcc_lo, 0xc0900000, v[10:11]
	s_delay_alu instid0(VALU_DEP_2) | instskip(NEXT) | instid1(VALU_DEP_1)
	v_div_fixup_f64 v[18:19], v[32:33], v[18:19], 1.0
	v_cndmask_b32_e32 v3, 0, v19, vcc_lo
	s_and_b32 vcc_lo, s0, vcc_lo
	s_delay_alu instid0(VALU_DEP_2) | instid1(SALU_CYCLE_1)
	v_dual_add_f64 v[10:11], v[16:17], v[8:9] :: v_dual_cndmask_b32 v18, 0, v18, vcc_lo
	s_wait_loadcnt 0x0
	v_add_f64_e32 v[8:9], v[22:23], v[30:31]
	v_cndmask_b32_e64 v19, 0x3ff00000, v3, s0
	s_delay_alu instid0(VALU_DEP_1) | instskip(NEXT) | instid1(VALU_DEP_1)
	v_fmac_f64_e32 v[10:11], v[8:9], v[18:19]
	v_mul_f64_e64 v[16:17], |v[10:11]|, s[66:67]
	v_cmp_nlt_f64_e64 s0, 0x40331000, |v[10:11]|
	s_delay_alu instid0(VALU_DEP_2) | instskip(NEXT) | instid1(VALU_DEP_1)
	v_rndne_f64_e32 v[16:17], v[16:17]
	v_fma_f64 v[22:23], v[16:17], s[68:69], |v[10:11]|
	v_mul_f64_e32 v[30:31], 0xbd53de6af278e000, v[16:17]
	v_cvt_i32_f64_e32 v3, v[16:17]
	s_delay_alu instid0(VALU_DEP_3) | instskip(NEXT) | instid1(VALU_DEP_1)
	v_add_f64_e32 v[32:33], 0, v[22:23]
	v_add_f64_e32 v[34:35], v[32:33], v[30:31]
	v_add_f64_e64 v[22:23], v[22:23], -v[32:33]
	s_delay_alu instid0(VALU_DEP_2) | instskip(NEXT) | instid1(VALU_DEP_2)
	v_add_f64_e64 v[32:33], v[32:33], -v[34:35]
	v_add_f64_e32 v[22:23], 0, v[22:23]
	s_delay_alu instid0(VALU_DEP_2) | instskip(NEXT) | instid1(VALU_DEP_1)
	v_add_f64_e32 v[30:31], v[32:33], v[30:31]
	v_add_f64_e32 v[22:23], v[22:23], v[30:31]
	v_mul_f64_e32 v[30:31], 0xbac9cc01f97b57a0, v[16:17]
	s_delay_alu instid0(VALU_DEP_2) | instskip(NEXT) | instid1(VALU_DEP_1)
	v_add_f64_e32 v[32:33], v[34:35], v[22:23]
	v_add_f64_e32 v[36:37], v[32:33], v[30:31]
	v_add_f64_e64 v[34:35], v[34:35], -v[32:33]
	s_delay_alu instid0(VALU_DEP_2) | instskip(NEXT) | instid1(VALU_DEP_2)
	v_add_f64_e64 v[32:33], v[32:33], -v[36:37]
	v_add_f64_e32 v[22:23], v[22:23], v[34:35]
	s_delay_alu instid0(VALU_DEP_2) | instskip(NEXT) | instid1(VALU_DEP_1)
	v_add_f64_e32 v[30:31], v[32:33], v[30:31]
	v_add_f64_e32 v[22:23], v[22:23], v[30:31]
	s_delay_alu instid0(VALU_DEP_1) | instskip(NEXT) | instid1(VALU_DEP_1)
	v_add_f64_e32 v[30:31], v[36:37], v[22:23]
	v_add_f64_e64 v[32:33], v[36:37], -v[30:31]
	v_mul_f64_e32 v[34:35], v[30:31], v[30:31]
	s_delay_alu instid0(VALU_DEP_2) | instskip(NEXT) | instid1(VALU_DEP_2)
	v_add_f64_e32 v[22:23], v[22:23], v[32:33]
	v_fma_f64 v[32:33], v[30:31], v[30:31], -v[34:35]
	s_delay_alu instid0(VALU_DEP_2) | instskip(NEXT) | instid1(VALU_DEP_1)
	v_add_f64_e32 v[36:37], v[22:23], v[22:23]
	v_fmac_f64_e32 v[32:33], v[30:31], v[36:37]
	v_fmamk_f64 v[36:37], v[30:31], 0x3e5ade156a5dcb37, v[4:5]
	s_delay_alu instid0(VALU_DEP_1) | instskip(NEXT) | instid1(VALU_DEP_1)
	v_fmaak_f64 v[36:37], v[30:31], v[36:37], 0x3ec71dee623fde64
	v_fmaak_f64 v[36:37], v[30:31], v[36:37], 0x3efa01997c89e6b0
	s_delay_alu instid0(VALU_DEP_1) | instskip(NEXT) | instid1(VALU_DEP_1)
	v_fmaak_f64 v[36:37], v[30:31], v[36:37], 0x3f2a01a014761f6e
	v_fmaak_f64 v[36:37], v[30:31], v[36:37], 0x3f56c16c1852b7b0
	v_add_f64_e32 v[38:39], v[34:35], v[32:33]
	s_delay_alu instid0(VALU_DEP_2) | instskip(NEXT) | instid1(VALU_DEP_1)
	v_fmaak_f64 v[36:37], v[30:31], v[36:37], 0x3f81111111122322
	v_fmaak_f64 v[36:37], v[30:31], v[36:37], 0x3fa55555555502a1
	s_delay_alu instid0(VALU_DEP_1) | instskip(NEXT) | instid1(VALU_DEP_1)
	v_fmaak_f64 v[36:37], v[30:31], v[36:37], 0x3fc5555555555511
	v_fmaak_f64 v[36:37], v[30:31], v[36:37], 0x3fe000000000000b
	v_add_f64_e64 v[34:35], v[38:39], -v[34:35]
	s_delay_alu instid0(VALU_DEP_2) | instskip(NEXT) | instid1(VALU_DEP_2)
	v_mul_f64_e32 v[40:41], v[38:39], v[36:37]
	v_add_f64_e64 v[32:33], v[32:33], -v[34:35]
	s_delay_alu instid0(VALU_DEP_2) | instskip(NEXT) | instid1(VALU_DEP_1)
	v_fma_f64 v[34:35], v[38:39], v[36:37], -v[40:41]
	v_fmac_f64_e32 v[34:35], v[32:33], v[36:37]
	s_delay_alu instid0(VALU_DEP_1) | instskip(NEXT) | instid1(VALU_DEP_1)
	v_add_f64_e32 v[32:33], v[40:41], v[34:35]
	v_add_f64_e32 v[36:37], v[30:31], v[32:33]
	v_add_f64_e64 v[38:39], v[32:33], -v[40:41]
	s_delay_alu instid0(VALU_DEP_2) | instskip(NEXT) | instid1(VALU_DEP_2)
	v_add_f64_e64 v[30:31], v[36:37], -v[30:31]
	v_add_f64_e64 v[34:35], v[34:35], -v[38:39]
	s_delay_alu instid0(VALU_DEP_2) | instskip(NEXT) | instid1(VALU_DEP_2)
	v_add_f64_e64 v[30:31], v[32:33], -v[30:31]
	v_add_f64_e32 v[22:23], v[22:23], v[34:35]
	s_delay_alu instid0(VALU_DEP_1) | instskip(NEXT) | instid1(VALU_DEP_1)
	v_add_f64_e32 v[22:23], v[22:23], v[30:31]
	v_add_f64_e32 v[30:31], v[36:37], v[22:23]
	s_delay_alu instid0(VALU_DEP_1) | instskip(SKIP_1) | instid1(VALU_DEP_2)
	v_add_f64_e32 v[32:33], 1.0, v[30:31]
	v_add_f64_e64 v[34:35], v[30:31], -v[36:37]
	v_add_f64_e32 v[36:37], -1.0, v[32:33]
	s_delay_alu instid0(VALU_DEP_2) | instskip(NEXT) | instid1(VALU_DEP_2)
	v_add_f64_e64 v[22:23], v[22:23], -v[34:35]
	v_add_f64_e64 v[30:31], v[30:31], -v[36:37]
	s_delay_alu instid0(VALU_DEP_1) | instskip(NEXT) | instid1(VALU_DEP_1)
	v_add_f64_e32 v[22:23], v[22:23], v[30:31]
	v_add_f64_e32 v[16:17], v[32:33], v[22:23]
	s_delay_alu instid0(VALU_DEP_1) | instskip(SKIP_1) | instid1(VALU_DEP_2)
	v_ldexp_f64 v[30:31], v[16:17], v3
	v_add_f64_e64 v[16:17], v[16:17], -v[32:33]
	v_rcp_f64_e32 v[34:35], v[30:31]
	s_delay_alu instid0(VALU_DEP_1) | instskip(NEXT) | instid1(VALU_DEP_1)
	v_add_f64_e64 v[16:17], v[22:23], -v[16:17]
	v_ldexp_f64 v[16:17], v[16:17], v3
	v_cvt_i32_f64_e32 v3, v[28:29]
	s_delay_alu instid0(TRANS32_DEP_1) | instskip(NEXT) | instid1(VALU_DEP_1)
	v_fma_f64 v[36:37], -v[30:31], v[34:35], 1.0
	v_fmac_f64_e32 v[34:35], v[36:37], v[34:35]
	s_delay_alu instid0(VALU_DEP_1) | instskip(NEXT) | instid1(VALU_DEP_1)
	v_fma_f64 v[36:37], -v[30:31], v[34:35], 1.0
	v_fmac_f64_e32 v[34:35], v[36:37], v[34:35]
	s_delay_alu instid0(VALU_DEP_1) | instskip(NEXT) | instid1(VALU_DEP_1)
	v_mul_f64_e32 v[22:23], v[30:31], v[34:35]
	v_fma_f64 v[32:33], v[34:35], v[30:31], -v[22:23]
	s_delay_alu instid0(VALU_DEP_1) | instskip(NEXT) | instid1(VALU_DEP_1)
	v_fmac_f64_e32 v[32:33], v[34:35], v[16:17]
	v_add_f64_e32 v[36:37], v[22:23], v[32:33]
	s_delay_alu instid0(VALU_DEP_1) | instskip(SKIP_1) | instid1(VALU_DEP_2)
	v_add_f64_e64 v[38:39], -v[36:37], 1.0
	v_add_f64_e64 v[22:23], v[36:37], -v[22:23]
	v_add_f64_e64 v[40:41], -v[38:39], 1.0
	s_delay_alu instid0(VALU_DEP_2) | instskip(NEXT) | instid1(VALU_DEP_2)
	v_add_f64_e64 v[22:23], v[22:23], -v[32:33]
	v_add_f64_e64 v[32:33], v[40:41], -v[36:37]
	s_delay_alu instid0(VALU_DEP_1) | instskip(NEXT) | instid1(VALU_DEP_1)
	v_add_f64_e32 v[22:23], v[22:23], v[32:33]
	v_add_f64_e32 v[32:33], v[38:39], v[22:23]
	s_delay_alu instid0(VALU_DEP_1) | instskip(SKIP_1) | instid1(VALU_DEP_2)
	v_mul_f64_e32 v[36:37], v[34:35], v[32:33]
	v_add_f64_e64 v[38:39], v[38:39], -v[32:33]
	v_mul_f64_e32 v[40:41], v[30:31], v[36:37]
	s_delay_alu instid0(VALU_DEP_2) | instskip(NEXT) | instid1(VALU_DEP_2)
	v_add_f64_e32 v[22:23], v[22:23], v[38:39]
	v_fma_f64 v[42:43], v[36:37], v[30:31], -v[40:41]
	s_delay_alu instid0(VALU_DEP_1) | instskip(NEXT) | instid1(VALU_DEP_1)
	v_fmac_f64_e32 v[42:43], v[36:37], v[16:17]
	v_add_f64_e32 v[44:45], v[40:41], v[42:43]
	s_delay_alu instid0(VALU_DEP_1) | instskip(SKIP_2) | instid1(VALU_DEP_3)
	v_add_f64_e64 v[46:47], v[32:33], -v[44:45]
	v_add_f64_e64 v[38:39], v[44:45], -v[40:41]
	v_fma_f64 v[40:41], v[28:29], s[64:65], -v[12:13]
	v_add_f64_e64 v[32:33], v[32:33], -v[46:47]
	s_delay_alu instid0(VALU_DEP_3) | instskip(NEXT) | instid1(VALU_DEP_3)
	v_add_f64_e64 v[38:39], v[38:39], -v[42:43]
	v_fmac_f64_e32 v[40:41], 0xbc7abc9e3b39803f, v[28:29]
	s_delay_alu instid0(VALU_DEP_3) | instskip(NEXT) | instid1(VALU_DEP_1)
	v_add_f64_e64 v[32:33], v[32:33], -v[44:45]
	v_add_f64_e32 v[22:23], v[22:23], v[32:33]
	v_add_f64_e32 v[32:33], v[34:35], v[36:37]
	s_delay_alu instid0(VALU_DEP_2) | instskip(NEXT) | instid1(VALU_DEP_2)
	v_add_f64_e32 v[22:23], v[38:39], v[22:23]
	v_add_f64_e64 v[38:39], v[32:33], -v[34:35]
	s_delay_alu instid0(VALU_DEP_2) | instskip(NEXT) | instid1(VALU_DEP_2)
	v_add_f64_e32 v[22:23], v[46:47], v[22:23]
	v_add_f64_e64 v[36:37], v[36:37], -v[38:39]
	s_delay_alu instid0(VALU_DEP_2) | instskip(NEXT) | instid1(VALU_DEP_1)
	v_mul_f64_e32 v[22:23], v[34:35], v[22:23]
	v_add_f64_e32 v[22:23], v[36:37], v[22:23]
	s_delay_alu instid0(VALU_DEP_1) | instskip(NEXT) | instid1(VALU_DEP_1)
	v_add_f64_e32 v[34:35], v[32:33], v[22:23]
	v_add_f64_e32 v[36:37], v[30:31], v[34:35]
	v_add_f64_e64 v[32:33], v[34:35], -v[32:33]
	s_delay_alu instid0(VALU_DEP_2) | instskip(NEXT) | instid1(VALU_DEP_2)
	v_add_f64_e64 v[38:39], v[36:37], -v[30:31]
	v_add_f64_e64 v[22:23], v[22:23], -v[32:33]
	s_delay_alu instid0(VALU_DEP_2) | instskip(NEXT) | instid1(VALU_DEP_2)
	v_add_f64_e64 v[20:21], v[34:35], -v[38:39]
	v_add_f64_e32 v[32:33], v[16:17], v[22:23]
	s_delay_alu instid0(VALU_DEP_1) | instskip(SKIP_1) | instid1(VALU_DEP_2)
	v_add_f64_e32 v[20:21], v[32:33], v[20:21]
	v_add_f64_e64 v[32:33], v[30:31], -v[34:35]
	v_add_f64_e32 v[26:27], v[36:37], v[20:21]
	s_delay_alu instid0(VALU_DEP_2) | instskip(NEXT) | instid1(VALU_DEP_2)
	v_add_f64_e64 v[30:31], v[30:31], -v[32:33]
	v_rcp_f64_e32 v[38:39], v[26:27]
	s_delay_alu instid0(VALU_DEP_1) | instskip(SKIP_1) | instid1(VALU_DEP_2)
	v_add_f64_e64 v[30:31], v[30:31], -v[34:35]
	v_add_f64_e64 v[28:29], v[26:27], -v[36:37]
	v_add_f64_e32 v[16:17], v[16:17], v[30:31]
	v_fmamk_f64 v[30:31], v[40:41], 0x3e5ade156a5dcb37, v[4:5]
	s_delay_alu instid0(VALU_DEP_3) | instskip(NEXT) | instid1(TRANS32_DEP_1)
	v_add_f64_e64 v[20:21], v[20:21], -v[28:29]
	v_fma_f64 v[34:35], -v[26:27], v[38:39], 1.0
	s_delay_alu instid0(VALU_DEP_3) | instskip(NEXT) | instid1(VALU_DEP_1)
	v_fmaak_f64 v[30:31], v[40:41], v[30:31], 0x3ec71dee623fde64
	v_fmaak_f64 v[30:31], v[40:41], v[30:31], 0x3efa01997c89e6b0
	s_delay_alu instid0(VALU_DEP_1) | instskip(NEXT) | instid1(VALU_DEP_1)
	v_fmaak_f64 v[30:31], v[40:41], v[30:31], 0x3f2a01a014761f6e
	v_fmaak_f64 v[30:31], v[40:41], v[30:31], 0x3f56c16c1852b7b0
	v_add_f64_e64 v[16:17], v[16:17], -v[22:23]
	v_fmac_f64_e32 v[38:39], v[34:35], v[38:39]
	s_delay_alu instid0(VALU_DEP_2) | instskip(NEXT) | instid1(VALU_DEP_2)
	v_add_f64_e32 v[34:35], v[32:33], v[16:17]
	v_fma_f64 v[22:23], -v[26:27], v[38:39], 1.0
	s_delay_alu instid0(VALU_DEP_2) | instskip(NEXT) | instid1(VALU_DEP_2)
	v_add_f64_e64 v[32:33], v[34:35], -v[32:33]
	v_fmac_f64_e32 v[38:39], v[22:23], v[38:39]
	v_fmaak_f64 v[22:23], v[40:41], v[30:31], 0x3f81111111122322
	s_delay_alu instid0(VALU_DEP_1) | instskip(NEXT) | instid1(VALU_DEP_1)
	v_fmaak_f64 v[22:23], v[40:41], v[22:23], 0x3fa55555555502a1
	v_fmaak_f64 v[22:23], v[40:41], v[22:23], 0x3fc5555555555511
	s_delay_alu instid0(VALU_DEP_1) | instskip(SKIP_1) | instid1(VALU_DEP_2)
	v_fmaak_f64 v[22:23], v[40:41], v[22:23], 0x3fe000000000000b
	v_add_f64_e64 v[16:17], v[16:17], -v[32:33]
	v_fma_f64 v[22:23], v[40:41], v[22:23], 1.0
	v_mul_f64_e32 v[30:31], v[34:35], v[38:39]
	s_delay_alu instid0(VALU_DEP_2) | instskip(NEXT) | instid1(VALU_DEP_2)
	v_fma_f64 v[22:23], v[40:41], v[22:23], 1.0
	v_mul_f64_e32 v[36:37], v[26:27], v[30:31]
	s_delay_alu instid0(VALU_DEP_2) | instskip(NEXT) | instid1(VALU_DEP_2)
	v_ldexp_f64 v[22:23], v[22:23], v3
	v_fma_f64 v[26:27], v[30:31], v[26:27], -v[36:37]
	s_delay_alu instid0(VALU_DEP_2) | instskip(NEXT) | instid1(VALU_DEP_2)
	v_add_f64_e32 v[22:23], 1.0, v[22:23]
	v_fmac_f64_e32 v[26:27], v[30:31], v[20:21]
	s_delay_alu instid0(VALU_DEP_2) | instskip(NEXT) | instid1(VALU_DEP_2)
	v_div_scale_f64 v[20:21], null, v[22:23], v[22:23], 1.0
	v_add_f64_e32 v[28:29], v[36:37], v[26:27]
	s_delay_alu instid0(VALU_DEP_2) | instskip(NEXT) | instid1(VALU_DEP_1)
	v_rcp_f64_e32 v[40:41], v[20:21]
	v_add_f64_e64 v[42:43], v[34:35], -v[28:29]
	v_add_f64_e64 v[36:37], v[28:29], -v[36:37]
	s_delay_alu instid0(VALU_DEP_2) | instskip(NEXT) | instid1(VALU_DEP_2)
	v_add_f64_e64 v[44:45], v[34:35], -v[42:43]
	v_add_f64_e64 v[26:27], v[26:27], -v[36:37]
	s_delay_alu instid0(TRANS32_DEP_1) | instskip(NEXT) | instid1(VALU_DEP_3)
	v_fma_f64 v[46:47], -v[20:21], v[40:41], 1.0
	v_add_f64_e64 v[28:29], v[44:45], -v[28:29]
	s_delay_alu instid0(VALU_DEP_2) | instskip(NEXT) | instid1(VALU_DEP_2)
	v_fmac_f64_e32 v[40:41], v[40:41], v[46:47]
	v_add_f64_e64 v[26:27], v[28:29], -v[26:27]
	s_delay_alu instid0(VALU_DEP_2) | instskip(NEXT) | instid1(VALU_DEP_2)
	v_fma_f64 v[28:29], -v[20:21], v[40:41], 1.0
	v_add_f64_e32 v[16:17], v[16:17], v[26:27]
	v_div_scale_f64 v[26:27], vcc_lo, 1.0, v[22:23], 1.0
	s_delay_alu instid0(VALU_DEP_3) | instskip(NEXT) | instid1(VALU_DEP_3)
	v_fmac_f64_e32 v[40:41], v[40:41], v[28:29]
	v_add_f64_e32 v[16:17], v[42:43], v[16:17]
	s_delay_alu instid0(VALU_DEP_2) | instskip(NEXT) | instid1(VALU_DEP_2)
	v_mul_f64_e32 v[28:29], v[26:27], v[40:41]
	v_mul_f64_e32 v[16:17], v[38:39], v[16:17]
	s_delay_alu instid0(VALU_DEP_2) | instskip(NEXT) | instid1(VALU_DEP_2)
	v_fma_f64 v[20:21], -v[20:21], v[28:29], v[26:27]
	v_add_f64_e32 v[16:17], v[30:31], v[16:17]
	s_delay_alu instid0(VALU_DEP_2) | instskip(SKIP_1) | instid1(VALU_DEP_3)
	v_div_fmas_f64 v[20:21], v[20:21], v[40:41], v[28:29]
	v_cmp_gt_f64_e64 vcc_lo, 0x3e400000, |v[10:11]|
	v_cndmask_b32_e64 v3, 0x3ff00000, v17, s0
	s_delay_alu instid0(VALU_DEP_4) | instskip(SKIP_4) | instid1(VALU_DEP_2)
	v_cndmask_b32_e64 v26, 0, v16, s0
	v_cmp_nlt_f64_e64 s0, 0x4090cc00, v[12:13]
	v_div_fixup_f64 v[16:17], v[20:21], v[22:23], 1.0
	v_and_b32_e32 v20, 0x7fffffff, v11
	v_mad_nc_u64_u32 v[22:23], s76, v24, v[0:1]
	v_dual_cndmask_b32 v10, v26, v10 :: v_dual_cndmask_b32 v3, v3, v20
	v_cmp_ngt_f64_e32 vcc_lo, 0xc0900000, v[12:13]
	v_mul_u64_e32 v[20:21], s[70:71], v[6:7]
	s_delay_alu instid0(VALU_DEP_3) | instskip(SKIP_1) | instid1(VALU_DEP_2)
	v_bfi_b32 v11, 0x7fffffff, v3, v11
	v_mad_u32 v3, s77, v24, v23
	v_add_f64_e64 v[12:13], v[14:15], -v[10:11]
	s_delay_alu instid0(VALU_DEP_2) | instskip(SKIP_1) | instid1(VALU_DEP_2)
	v_mad_u32 v23, s76, v25, v3
	v_mul_u64_e32 v[24:25], s[20:21], v[24:25]
	v_mul_u64_e32 v[22:23], s[22:23], v[22:23]
	v_cndmask_b32_e32 v17, 0, v17, vcc_lo
	s_and_b32 vcc_lo, s0, vcc_lo
	v_cndmask_b32_e32 v16, 0, v16, vcc_lo
	s_delay_alu instid0(VALU_DEP_2) | instskip(SKIP_1) | instid1(VALU_DEP_1)
	v_cndmask_b32_e64 v17, 0x3ff00000, v17, s0
	s_mov_b32 s0, exec_lo
	v_fma_f64 v[26:27], v[16:17], v[12:13], v[10:11]
	v_add_nc_u64_e32 v[12:13], v[0:1], v[20:21]
	v_lshl_add_u64 v[24:25], v[24:25], 3, s[50:51]
	s_delay_alu instid0(VALU_DEP_2) | instskip(NEXT) | instid1(VALU_DEP_2)
	v_or_b32_e32 v3, s57, v13
	v_lshl_add_u64 v[22:23], v[22:23], 3, v[24:25]
	global_store_b64 v[22:23], v[26:27], off
                                        ; implicit-def: $vgpr22_vgpr23
	s_wait_xcnt 0x0
	v_cmpx_ne_u64_e32 0, v[2:3]
	s_xor_b32 s82, exec_lo, s0
	s_cbranch_execz .LBB35_44
; %bb.43:                               ;   in Loop: Header=BB35_3 Depth=1
	s_ashr_i32 s78, s57, 31
	v_dual_mov_b32 v25, v2 :: v_dual_ashrrev_i32 v22, 31, v13
	s_mov_b32 s79, s78
	s_delay_alu instid0(SALU_CYCLE_1) | instskip(NEXT) | instid1(VALU_DEP_1)
	s_add_nc_u64 s[80:81], s[56:57], s[78:79]
	v_mov_b32_e32 v23, v22
	s_xor_b64 s[80:81], s[80:81], s[78:79]
	s_delay_alu instid0(SALU_CYCLE_1)
	s_cvt_f32_u32 s0, s80
	s_cvt_f32_u32 s2, s81
	s_sub_nc_u64 s[86:87], 0, s[80:81]
	v_add_nc_u64_e32 v[12:13], v[12:13], v[22:23]
	v_mov_b32_e32 v29, v2
	s_fmamk_f32 s0, s2, 0x4f800000, s0
	s_delay_alu instid0(SALU_CYCLE_3) | instskip(NEXT) | instid1(VALU_DEP_2)
	v_s_rcp_f32 s0, s0
	v_xor_b32_e32 v24, v12, v22
	s_delay_alu instid0(VALU_DEP_3) | instskip(NEXT) | instid1(TRANS32_DEP_1)
	v_dual_mov_b32 v33, v2 :: v_dual_bitop2_b32 v28, v13, v22 bitop3:0x14
	s_mul_f32 s0, s0, 0x5f7ffffc
	s_delay_alu instid0(SALU_CYCLE_3) | instskip(NEXT) | instid1(SALU_CYCLE_3)
	s_mul_f32 s2, s0, 0x2f800000
	s_trunc_f32 s2, s2
	s_delay_alu instid0(SALU_CYCLE_3) | instskip(SKIP_1) | instid1(SALU_CYCLE_2)
	s_fmamk_f32 s0, s2, 0xcf800000, s0
	s_cvt_u32_f32 s85, s2
	s_cvt_u32_f32 s84, s0
	s_delay_alu instid0(SALU_CYCLE_3) | instskip(NEXT) | instid1(SALU_CYCLE_1)
	s_mul_u64 s[88:89], s[86:87], s[84:85]
	s_mul_hi_u32 s91, s84, s89
	s_mul_i32 s90, s84, s89
	s_mul_hi_u32 s2, s84, s88
	s_mul_i32 s79, s85, s88
	s_add_nc_u64 s[90:91], s[2:3], s[90:91]
	s_mul_hi_u32 s0, s85, s88
	s_mul_hi_u32 s83, s85, s89
	s_add_co_u32 s2, s90, s79
	s_add_co_ci_u32 s2, s91, s0
	s_mul_i32 s88, s85, s89
	s_add_co_ci_u32 s89, s83, 0
	s_delay_alu instid0(SALU_CYCLE_1) | instskip(NEXT) | instid1(SALU_CYCLE_1)
	s_add_nc_u64 s[88:89], s[2:3], s[88:89]
	s_add_co_u32 s84, s84, s88
	s_cselect_b32 s0, -1, 0
	s_delay_alu instid0(SALU_CYCLE_1) | instskip(SKIP_1) | instid1(SALU_CYCLE_1)
	s_cmp_lg_u32 s0, 0
	s_add_co_ci_u32 s85, s85, s89
	s_mul_u64 s[86:87], s[86:87], s[84:85]
	s_delay_alu instid0(SALU_CYCLE_1)
	s_mul_hi_u32 s89, s84, s87
	s_mul_i32 s88, s84, s87
	s_mul_hi_u32 s2, s84, s86
	s_mul_i32 s79, s85, s86
	s_add_nc_u64 s[88:89], s[2:3], s[88:89]
	s_mul_hi_u32 s0, s85, s86
	s_mul_hi_u32 s83, s85, s87
	s_add_co_u32 s2, s88, s79
	s_add_co_ci_u32 s2, s89, s0
	s_mul_i32 s86, s85, s87
	s_add_co_ci_u32 s87, s83, 0
	s_delay_alu instid0(SALU_CYCLE_1) | instskip(NEXT) | instid1(SALU_CYCLE_1)
	s_add_nc_u64 s[86:87], s[2:3], s[86:87]
	s_add_co_u32 s0, s84, s86
	s_cselect_b32 s2, -1, 0
	v_mul_hi_u32 v32, v24, s0
	s_cmp_lg_u32 s2, 0
	s_add_co_ci_u32 s2, s85, s87
	s_and_b64 s[84:85], s[0:1], s[62:63]
	v_mul_u64_e32 v[26:27], s[2:3], v[24:25]
	v_mul_u64_e32 v[12:13], s[84:85], v[28:29]
	v_mul_u64_e32 v[30:31], s[2:3], v[28:29]
	s_delay_alu instid0(VALU_DEP_3) | instskip(NEXT) | instid1(VALU_DEP_1)
	v_add_nc_u64_e32 v[26:27], v[32:33], v[26:27]
	v_add_co_u32 v3, vcc_lo, v26, v12
	s_delay_alu instid0(VALU_DEP_2) | instskip(NEXT) | instid1(VALU_DEP_4)
	v_add_co_ci_u32_e32 v32, vcc_lo, v27, v13, vcc_lo
	v_add_co_ci_u32_e32 v31, vcc_lo, 0, v31, vcc_lo
	s_delay_alu instid0(VALU_DEP_1) | instskip(NEXT) | instid1(VALU_DEP_1)
	v_add_nc_u64_e32 v[12:13], v[32:33], v[30:31]
	v_mul_u64_e32 v[26:27], s[80:81], v[12:13]
	s_delay_alu instid0(VALU_DEP_1) | instskip(NEXT) | instid1(VALU_DEP_2)
	v_sub_nc_u32_e32 v3, v28, v27
	v_sub_co_u32 v23, vcc_lo, v24, v26
	s_delay_alu instid0(VALU_DEP_1) | instskip(NEXT) | instid1(VALU_DEP_3)
	v_sub_co_ci_u32_e64 v28, null, v28, v27, vcc_lo
	v_subrev_co_ci_u32_e64 v3, null, s81, v3, vcc_lo
	s_delay_alu instid0(VALU_DEP_3) | instskip(SKIP_1) | instid1(VALU_DEP_3)
	v_sub_co_u32 v24, s0, v23, s80
	v_add_nc_u64_e32 v[26:27], 1, v[12:13]
	v_subrev_co_ci_u32_e64 v3, null, 0, v3, s0
	s_delay_alu instid0(VALU_DEP_3) | instskip(SKIP_1) | instid1(VALU_DEP_3)
	v_cmp_le_u32_e32 vcc_lo, s80, v24
	v_cndmask_b32_e64 v24, 0, -1, vcc_lo
	v_cmp_le_u32_e32 vcc_lo, s81, v3
	v_cndmask_b32_e64 v25, 0, -1, vcc_lo
	;; [unrolled: 2-line block ×4, first 2 shown]
	v_cmp_eq_u32_e32 vcc_lo, s81, v3
	v_cndmask_b32_e32 v3, v25, v24, vcc_lo
	v_cmp_eq_u32_e32 vcc_lo, s81, v28
	v_add_nc_u64_e32 v[24:25], 2, v[12:13]
	v_cndmask_b32_e32 v23, v29, v23, vcc_lo
	s_delay_alu instid0(VALU_DEP_4) | instskip(NEXT) | instid1(VALU_DEP_3)
	v_cmp_ne_u32_e32 vcc_lo, 0, v3
	v_cndmask_b32_e32 v3, v27, v25, vcc_lo
	s_delay_alu instid0(VALU_DEP_3) | instskip(SKIP_1) | instid1(VALU_DEP_2)
	v_cmp_ne_u32_e64 s0, 0, v23
	v_dual_cndmask_b32 v23, v26, v24, vcc_lo :: v_dual_bitop2_b32 v22, s78, v22 bitop3:0x14
	v_cndmask_b32_e64 v3, v13, v3, s0
	s_delay_alu instid0(VALU_DEP_2) | instskip(NEXT) | instid1(VALU_DEP_2)
	v_dual_cndmask_b32 v12, v12, v23, s0 :: v_dual_mov_b32 v23, v22
	v_xor_b32_e32 v13, v3, v22
	s_delay_alu instid0(VALU_DEP_2) | instskip(NEXT) | instid1(VALU_DEP_1)
	v_xor_b32_e32 v12, v12, v22
	v_sub_nc_u64_e32 v[22:23], v[12:13], v[22:23]
                                        ; implicit-def: $vgpr12_vgpr13
.LBB35_44:                              ;   in Loop: Header=BB35_3 Depth=1
	s_or_saveexec_b32 s0, s82
	v_cvt_f32_u32_e32 v24, s56
	s_xor_b32 exec_lo, exec_lo, s0
	s_cbranch_execz .LBB35_46
; %bb.45:                               ;   in Loop: Header=BB35_3 Depth=1
	s_delay_alu instid0(VALU_DEP_1) | instskip(SKIP_2) | instid1(TRANS32_DEP_1)
	v_rcp_iflag_f32_e32 v3, v24
	s_sub_co_i32 s2, 0, s56
	v_mov_b32_e32 v23, v2
	v_mul_f32_e32 v3, 0x4f7ffffe, v3
	s_delay_alu instid0(VALU_DEP_1) | instskip(NEXT) | instid1(VALU_DEP_1)
	v_cvt_u32_f32_e32 v3, v3
	v_mul_lo_u32 v13, s2, v3
	s_delay_alu instid0(VALU_DEP_1) | instskip(NEXT) | instid1(VALU_DEP_1)
	v_mul_hi_u32 v13, v3, v13
	v_add_nc_u32_e32 v3, v3, v13
	s_delay_alu instid0(VALU_DEP_1) | instskip(NEXT) | instid1(VALU_DEP_1)
	v_mul_hi_u32 v3, v12, v3
	v_mul_lo_u32 v13, v3, s56
	s_delay_alu instid0(VALU_DEP_1) | instskip(NEXT) | instid1(VALU_DEP_1)
	v_dual_sub_nc_u32 v12, v12, v13 :: v_dual_add_nc_u32 v13, 1, v3
	v_subrev_nc_u32_e32 v22, s56, v12
	v_cmp_le_u32_e32 vcc_lo, s56, v12
	s_delay_alu instid0(VALU_DEP_2) | instskip(NEXT) | instid1(VALU_DEP_1)
	v_dual_cndmask_b32 v12, v12, v22 :: v_dual_cndmask_b32 v3, v3, v13
	v_cmp_le_u32_e32 vcc_lo, s56, v12
	s_delay_alu instid0(VALU_DEP_2) | instskip(NEXT) | instid1(VALU_DEP_1)
	v_add_nc_u32_e32 v13, 1, v3
	v_cndmask_b32_e32 v22, v3, v13, vcc_lo
.LBB35_46:                              ;   in Loop: Header=BB35_3 Depth=1
	s_or_b32 exec_lo, exec_lo, s0
	s_delay_alu instid0(VALU_DEP_1) | instskip(SKIP_4) | instid1(VALU_DEP_4)
	v_mul_u64_e32 v[26:27], s[56:57], v[22:23]
	v_lshlrev_b64_e32 v[12:13], 2, v[6:7]
	v_mul_u64_e32 v[22:23], s[24:25], v[22:23]
	v_alignbit_b32 v6, v7, v6, 30
	s_mov_b32 s0, exec_lo
	v_sub_nc_u64_e32 v[26:27], v[20:21], v[26:27]
	s_delay_alu instid0(VALU_DEP_4) | instskip(NEXT) | instid1(VALU_DEP_4)
	v_mad_nc_u64_u32 v[20:21], s4, v12, s[4:5]
	v_lshl_add_u64 v[22:23], v[22:23], 3, s[54:55]
	s_delay_alu instid0(VALU_DEP_3) | instskip(NEXT) | instid1(VALU_DEP_3)
	v_add_nc_u64_e32 v[26:27], v[0:1], v[26:27]
	v_mad_u32 v3, s5, v12, v21
	s_delay_alu instid0(VALU_DEP_2) | instskip(NEXT) | instid1(VALU_DEP_2)
	v_mul_u64_e32 v[26:27], s[26:27], v[26:27]
	v_mad_u32 v21, s4, v6, v3
	s_delay_alu instid0(VALU_DEP_1) | instskip(NEXT) | instid1(VALU_DEP_1)
	v_add_nc_u64_e32 v[6:7], v[0:1], v[20:21]
	v_or_b32_e32 v3, s57, v7
	s_delay_alu instid0(VALU_DEP_4)
	v_lshl_add_u64 v[22:23], v[26:27], 3, v[22:23]
	global_store_b64 v[22:23], v[18:19], off
                                        ; implicit-def: $vgpr18_vgpr19
	s_wait_xcnt 0x0
	v_cmpx_ne_u64_e32 0, v[2:3]
	s_xor_b32 s82, exec_lo, s0
	s_cbranch_execz .LBB35_48
; %bb.47:                               ;   in Loop: Header=BB35_3 Depth=1
	s_ashr_i32 s78, s57, 31
	v_dual_mov_b32 v23, v2 :: v_dual_ashrrev_i32 v18, 31, v7
	s_mov_b32 s79, s78
	v_mov_b32_e32 v29, v2
	s_add_nc_u64 s[80:81], s[56:57], s[78:79]
	s_delay_alu instid0(VALU_DEP_2)
	v_mov_b32_e32 v19, v18
	s_xor_b64 s[80:81], s[80:81], s[78:79]
	v_mov_b32_e32 v33, v2
	s_cvt_f32_u32 s0, s80
	s_cvt_f32_u32 s2, s81
	s_sub_nc_u64 s[86:87], 0, s[80:81]
	v_add_nc_u64_e32 v[6:7], v[6:7], v[18:19]
	s_delay_alu instid0(SALU_CYCLE_1) | instskip(NEXT) | instid1(SALU_CYCLE_3)
	s_fmamk_f32 s0, s2, 0x4f800000, s0
	v_s_rcp_f32 s0, s0
	s_delay_alu instid0(VALU_DEP_1) | instskip(NEXT) | instid1(VALU_DEP_2)
	v_xor_b32_e32 v28, v7, v18
	v_xor_b32_e32 v22, v6, v18
	s_delay_alu instid0(TRANS32_DEP_1) | instskip(NEXT) | instid1(SALU_CYCLE_3)
	s_mul_f32 s0, s0, 0x5f7ffffc
	s_mul_f32 s2, s0, 0x2f800000
	s_delay_alu instid0(SALU_CYCLE_3) | instskip(NEXT) | instid1(SALU_CYCLE_3)
	s_trunc_f32 s2, s2
	s_fmamk_f32 s0, s2, 0xcf800000, s0
	s_cvt_u32_f32 s85, s2
	s_delay_alu instid0(SALU_CYCLE_2) | instskip(NEXT) | instid1(SALU_CYCLE_3)
	s_cvt_u32_f32 s84, s0
	s_mul_u64 s[88:89], s[86:87], s[84:85]
	s_delay_alu instid0(SALU_CYCLE_1)
	s_mul_hi_u32 s91, s84, s89
	s_mul_i32 s90, s84, s89
	s_mul_hi_u32 s2, s84, s88
	s_mul_i32 s79, s85, s88
	s_add_nc_u64 s[90:91], s[2:3], s[90:91]
	s_mul_hi_u32 s0, s85, s88
	s_mul_hi_u32 s83, s85, s89
	s_add_co_u32 s2, s90, s79
	s_add_co_ci_u32 s2, s91, s0
	s_mul_i32 s88, s85, s89
	s_add_co_ci_u32 s89, s83, 0
	s_delay_alu instid0(SALU_CYCLE_1) | instskip(NEXT) | instid1(SALU_CYCLE_1)
	s_add_nc_u64 s[88:89], s[2:3], s[88:89]
	s_add_co_u32 s84, s84, s88
	s_cselect_b32 s0, -1, 0
	s_delay_alu instid0(SALU_CYCLE_1) | instskip(SKIP_1) | instid1(SALU_CYCLE_1)
	s_cmp_lg_u32 s0, 0
	s_add_co_ci_u32 s85, s85, s89
	s_mul_u64 s[86:87], s[86:87], s[84:85]
	s_delay_alu instid0(SALU_CYCLE_1)
	s_mul_hi_u32 s89, s84, s87
	s_mul_i32 s88, s84, s87
	s_mul_hi_u32 s2, s84, s86
	s_mul_i32 s79, s85, s86
	s_add_nc_u64 s[88:89], s[2:3], s[88:89]
	s_mul_hi_u32 s0, s85, s86
	s_mul_hi_u32 s83, s85, s87
	s_add_co_u32 s2, s88, s79
	s_add_co_ci_u32 s2, s89, s0
	s_mul_i32 s86, s85, s87
	s_add_co_ci_u32 s87, s83, 0
	s_delay_alu instid0(SALU_CYCLE_1) | instskip(NEXT) | instid1(SALU_CYCLE_1)
	s_add_nc_u64 s[86:87], s[2:3], s[86:87]
	s_add_co_u32 s0, s84, s86
	s_cselect_b32 s2, -1, 0
	v_mul_hi_u32 v32, v22, s0
	s_cmp_lg_u32 s2, 0
	s_add_co_ci_u32 s2, s85, s87
	s_and_b64 s[84:85], s[0:1], s[62:63]
	v_mul_u64_e32 v[26:27], s[2:3], v[22:23]
	v_mul_u64_e32 v[6:7], s[84:85], v[28:29]
	;; [unrolled: 1-line block ×3, first 2 shown]
	s_delay_alu instid0(VALU_DEP_3) | instskip(NEXT) | instid1(VALU_DEP_1)
	v_add_nc_u64_e32 v[26:27], v[32:33], v[26:27]
	v_add_co_u32 v3, vcc_lo, v26, v6
	s_delay_alu instid0(VALU_DEP_2) | instskip(NEXT) | instid1(VALU_DEP_4)
	v_add_co_ci_u32_e32 v32, vcc_lo, v27, v7, vcc_lo
	v_add_co_ci_u32_e32 v31, vcc_lo, 0, v31, vcc_lo
	s_delay_alu instid0(VALU_DEP_1) | instskip(NEXT) | instid1(VALU_DEP_1)
	v_add_nc_u64_e32 v[6:7], v[32:33], v[30:31]
	v_mul_u64_e32 v[26:27], s[80:81], v[6:7]
	s_delay_alu instid0(VALU_DEP_1) | instskip(NEXT) | instid1(VALU_DEP_2)
	v_sub_nc_u32_e32 v3, v28, v27
	v_sub_co_u32 v19, vcc_lo, v22, v26
	s_delay_alu instid0(VALU_DEP_1) | instskip(NEXT) | instid1(VALU_DEP_3)
	v_sub_co_ci_u32_e64 v25, null, v28, v27, vcc_lo
	v_subrev_co_ci_u32_e64 v3, null, s81, v3, vcc_lo
	s_delay_alu instid0(VALU_DEP_3) | instskip(SKIP_1) | instid1(VALU_DEP_3)
	v_sub_co_u32 v22, s0, v19, s80
	v_add_nc_u64_e32 v[26:27], 1, v[6:7]
	v_subrev_co_ci_u32_e64 v3, null, 0, v3, s0
	s_delay_alu instid0(VALU_DEP_3) | instskip(SKIP_1) | instid1(VALU_DEP_3)
	v_cmp_le_u32_e32 vcc_lo, s80, v22
	v_cndmask_b32_e64 v22, 0, -1, vcc_lo
	v_cmp_le_u32_e32 vcc_lo, s81, v3
	v_cndmask_b32_e64 v23, 0, -1, vcc_lo
	;; [unrolled: 2-line block ×4, first 2 shown]
	v_cmp_eq_u32_e32 vcc_lo, s81, v3
	v_cndmask_b32_e32 v3, v23, v22, vcc_lo
	v_cmp_eq_u32_e32 vcc_lo, s81, v25
	v_add_nc_u64_e32 v[22:23], 2, v[6:7]
	v_cndmask_b32_e32 v19, v28, v19, vcc_lo
	s_delay_alu instid0(VALU_DEP_4) | instskip(NEXT) | instid1(VALU_DEP_2)
	v_cmp_ne_u32_e32 vcc_lo, 0, v3
	v_cmp_ne_u32_e64 s0, 0, v19
	s_delay_alu instid0(VALU_DEP_4) | instskip(NEXT) | instid1(VALU_DEP_1)
	v_dual_cndmask_b32 v3, v27, v23, vcc_lo :: v_dual_cndmask_b32 v19, v26, v22, vcc_lo
	v_dual_cndmask_b32 v3, v7, v3, s0 :: v_dual_bitop2_b32 v18, s78, v18 bitop3:0x14
	s_delay_alu instid0(VALU_DEP_2) | instskip(NEXT) | instid1(VALU_DEP_2)
	v_cndmask_b32_e64 v6, v6, v19, s0
	v_dual_mov_b32 v19, v18 :: v_dual_bitop2_b32 v7, v3, v18 bitop3:0x14
	s_delay_alu instid0(VALU_DEP_2) | instskip(NEXT) | instid1(VALU_DEP_1)
	v_xor_b32_e32 v6, v6, v18
	v_sub_nc_u64_e32 v[18:19], v[6:7], v[18:19]
                                        ; implicit-def: $vgpr6_vgpr7
.LBB35_48:                              ;   in Loop: Header=BB35_3 Depth=1
	s_and_not1_saveexec_b32 s0, s82
	s_cbranch_execz .LBB35_50
; %bb.49:                               ;   in Loop: Header=BB35_3 Depth=1
	v_rcp_iflag_f32_e32 v3, v24
	s_sub_co_i32 s2, 0, s56
	v_mov_b32_e32 v19, v2
	s_delay_alu instid0(TRANS32_DEP_1) | instskip(NEXT) | instid1(VALU_DEP_1)
	v_mul_f32_e32 v3, 0x4f7ffffe, v3
	v_cvt_u32_f32_e32 v3, v3
	s_delay_alu instid0(VALU_DEP_1) | instskip(NEXT) | instid1(VALU_DEP_1)
	v_mul_lo_u32 v7, s2, v3
	v_mul_hi_u32 v7, v3, v7
	s_delay_alu instid0(VALU_DEP_1) | instskip(NEXT) | instid1(VALU_DEP_1)
	v_add_nc_u32_e32 v3, v3, v7
	v_mul_hi_u32 v3, v6, v3
	s_delay_alu instid0(VALU_DEP_1) | instskip(NEXT) | instid1(VALU_DEP_1)
	v_mul_lo_u32 v7, v3, s56
	v_sub_nc_u32_e32 v6, v6, v7
	v_add_nc_u32_e32 v7, 1, v3
	s_delay_alu instid0(VALU_DEP_2) | instskip(SKIP_1) | instid1(VALU_DEP_2)
	v_subrev_nc_u32_e32 v18, s56, v6
	v_cmp_le_u32_e32 vcc_lo, s56, v6
	v_dual_cndmask_b32 v6, v6, v18 :: v_dual_cndmask_b32 v3, v3, v7
	s_delay_alu instid0(VALU_DEP_1) | instskip(NEXT) | instid1(VALU_DEP_2)
	v_cmp_le_u32_e32 vcc_lo, s56, v6
	v_add_nc_u32_e32 v7, 1, v3
	s_delay_alu instid0(VALU_DEP_1)
	v_cndmask_b32_e32 v18, v3, v7, vcc_lo
.LBB35_50:                              ;   in Loop: Header=BB35_3 Depth=1
	s_or_b32 exec_lo, exec_lo, s0
	s_delay_alu instid0(VALU_DEP_1) | instskip(SKIP_2) | instid1(VALU_DEP_2)
	v_mul_u64_e32 v[6:7], s[56:57], v[18:19]
	v_add_nc_u64_e32 v[22:23], 2, v[12:13]
	s_mov_b32 s0, exec_lo
	v_sub_nc_u64_e32 v[20:21], v[20:21], v[6:7]
	s_delay_alu instid0(VALU_DEP_2) | instskip(SKIP_1) | instid1(VALU_DEP_3)
	v_mul_u64_e32 v[6:7], s[4:5], v[22:23]
	v_mul_u64_e32 v[22:23], s[24:25], v[18:19]
	v_add_nc_u64_e32 v[20:21], v[0:1], v[20:21]
	s_delay_alu instid0(VALU_DEP_1) | instskip(NEXT) | instid1(VALU_DEP_4)
	v_mul_u64_e32 v[20:21], s[26:27], v[20:21]
	v_add_nc_u64_e32 v[18:19], v[0:1], v[6:7]
	s_delay_alu instid0(VALU_DEP_4) | instskip(NEXT) | instid1(VALU_DEP_2)
	v_lshl_add_u64 v[22:23], v[22:23], 3, s[54:55]
	v_or_b32_e32 v3, s57, v19
	s_delay_alu instid0(VALU_DEP_2)
	v_lshl_add_u64 v[20:21], v[20:21], 3, v[22:23]
	global_store_b64 v[20:21], v[16:17], off
                                        ; implicit-def: $vgpr16_vgpr17
	s_wait_xcnt 0x0
	v_cmpx_ne_u64_e32 0, v[2:3]
	s_xor_b32 s82, exec_lo, s0
	s_cbranch_execz .LBB35_52
; %bb.51:                               ;   in Loop: Header=BB35_3 Depth=1
	s_ashr_i32 s78, s57, 31
	v_dual_mov_b32 v21, v2 :: v_dual_ashrrev_i32 v16, 31, v19
	s_mov_b32 s79, s78
	v_mov_b32_e32 v31, v2
	s_add_nc_u64 s[80:81], s[56:57], s[78:79]
	s_delay_alu instid0(VALU_DEP_2) | instskip(SKIP_1) | instid1(SALU_CYCLE_1)
	v_mov_b32_e32 v17, v16
	s_xor_b64 s[80:81], s[80:81], s[78:79]
	s_cvt_f32_u32 s0, s80
	s_cvt_f32_u32 s2, s81
	s_sub_nc_u64 s[86:87], 0, s[80:81]
	v_add_nc_u64_e32 v[18:19], v[18:19], v[16:17]
	v_mov_b32_e32 v27, v2
	s_fmamk_f32 s0, s2, 0x4f800000, s0
	s_delay_alu instid0(SALU_CYCLE_3) | instskip(NEXT) | instid1(VALU_DEP_2)
	v_s_rcp_f32 s0, s0
	v_xor_b32_e32 v20, v18, v16
	s_delay_alu instid0(VALU_DEP_3) | instskip(NEXT) | instid1(TRANS32_DEP_1)
	v_xor_b32_e32 v26, v19, v16
	s_mul_f32 s0, s0, 0x5f7ffffc
	s_delay_alu instid0(SALU_CYCLE_3) | instskip(NEXT) | instid1(SALU_CYCLE_3)
	s_mul_f32 s2, s0, 0x2f800000
	s_trunc_f32 s2, s2
	s_delay_alu instid0(SALU_CYCLE_3) | instskip(SKIP_1) | instid1(SALU_CYCLE_2)
	s_fmamk_f32 s0, s2, 0xcf800000, s0
	s_cvt_u32_f32 s85, s2
	s_cvt_u32_f32 s84, s0
	s_delay_alu instid0(SALU_CYCLE_3) | instskip(NEXT) | instid1(SALU_CYCLE_1)
	s_mul_u64 s[88:89], s[86:87], s[84:85]
	s_mul_hi_u32 s91, s84, s89
	s_mul_i32 s90, s84, s89
	s_mul_hi_u32 s2, s84, s88
	s_mul_i32 s79, s85, s88
	s_add_nc_u64 s[90:91], s[2:3], s[90:91]
	s_mul_hi_u32 s0, s85, s88
	s_mul_hi_u32 s83, s85, s89
	s_add_co_u32 s2, s90, s79
	s_add_co_ci_u32 s2, s91, s0
	s_mul_i32 s88, s85, s89
	s_add_co_ci_u32 s89, s83, 0
	s_delay_alu instid0(SALU_CYCLE_1) | instskip(NEXT) | instid1(SALU_CYCLE_1)
	s_add_nc_u64 s[88:89], s[2:3], s[88:89]
	s_add_co_u32 s84, s84, s88
	s_cselect_b32 s0, -1, 0
	s_delay_alu instid0(SALU_CYCLE_1) | instskip(SKIP_1) | instid1(SALU_CYCLE_1)
	s_cmp_lg_u32 s0, 0
	s_add_co_ci_u32 s85, s85, s89
	s_mul_u64 s[86:87], s[86:87], s[84:85]
	s_delay_alu instid0(SALU_CYCLE_1)
	s_mul_hi_u32 s89, s84, s87
	s_mul_i32 s88, s84, s87
	s_mul_hi_u32 s2, s84, s86
	s_mul_i32 s79, s85, s86
	s_add_nc_u64 s[88:89], s[2:3], s[88:89]
	s_mul_hi_u32 s0, s85, s86
	s_mul_hi_u32 s83, s85, s87
	s_add_co_u32 s2, s88, s79
	s_add_co_ci_u32 s2, s89, s0
	s_mul_i32 s86, s85, s87
	s_add_co_ci_u32 s87, s83, 0
	s_delay_alu instid0(SALU_CYCLE_1) | instskip(NEXT) | instid1(SALU_CYCLE_1)
	s_add_nc_u64 s[86:87], s[2:3], s[86:87]
	s_add_co_u32 s0, s84, s86
	s_cselect_b32 s2, -1, 0
	v_mul_hi_u32 v30, v20, s0
	s_cmp_lg_u32 s2, 0
	s_add_co_ci_u32 s2, s85, s87
	s_and_b64 s[84:85], s[0:1], s[62:63]
	v_mul_u64_e32 v[22:23], s[2:3], v[20:21]
	v_mul_u64_e32 v[18:19], s[84:85], v[26:27]
	;; [unrolled: 1-line block ×3, first 2 shown]
	s_delay_alu instid0(VALU_DEP_3) | instskip(NEXT) | instid1(VALU_DEP_1)
	v_add_nc_u64_e32 v[22:23], v[30:31], v[22:23]
	v_add_co_u32 v3, vcc_lo, v22, v18
	s_delay_alu instid0(VALU_DEP_2) | instskip(NEXT) | instid1(VALU_DEP_4)
	v_add_co_ci_u32_e32 v30, vcc_lo, v23, v19, vcc_lo
	v_add_co_ci_u32_e32 v29, vcc_lo, 0, v29, vcc_lo
	s_delay_alu instid0(VALU_DEP_1) | instskip(NEXT) | instid1(VALU_DEP_1)
	v_add_nc_u64_e32 v[18:19], v[30:31], v[28:29]
	v_mul_u64_e32 v[22:23], s[80:81], v[18:19]
	s_delay_alu instid0(VALU_DEP_1) | instskip(NEXT) | instid1(VALU_DEP_2)
	v_sub_nc_u32_e32 v3, v26, v23
	v_sub_co_u32 v17, vcc_lo, v20, v22
	s_delay_alu instid0(VALU_DEP_1) | instskip(NEXT) | instid1(VALU_DEP_3)
	v_sub_co_ci_u32_e64 v25, null, v26, v23, vcc_lo
	v_subrev_co_ci_u32_e64 v3, null, s81, v3, vcc_lo
	s_delay_alu instid0(VALU_DEP_3) | instskip(SKIP_1) | instid1(VALU_DEP_3)
	v_sub_co_u32 v20, s0, v17, s80
	v_add_nc_u64_e32 v[22:23], 1, v[18:19]
	v_subrev_co_ci_u32_e64 v3, null, 0, v3, s0
	s_delay_alu instid0(VALU_DEP_3) | instskip(SKIP_1) | instid1(VALU_DEP_3)
	v_cmp_le_u32_e32 vcc_lo, s80, v20
	v_cndmask_b32_e64 v20, 0, -1, vcc_lo
	v_cmp_le_u32_e32 vcc_lo, s81, v3
	v_cndmask_b32_e64 v21, 0, -1, vcc_lo
	;; [unrolled: 2-line block ×4, first 2 shown]
	v_cmp_eq_u32_e32 vcc_lo, s81, v3
	v_cndmask_b32_e32 v3, v21, v20, vcc_lo
	v_cmp_eq_u32_e32 vcc_lo, s81, v25
	v_add_nc_u64_e32 v[20:21], 2, v[18:19]
	v_cndmask_b32_e32 v17, v26, v17, vcc_lo
	s_delay_alu instid0(VALU_DEP_4) | instskip(NEXT) | instid1(VALU_DEP_2)
	v_cmp_ne_u32_e32 vcc_lo, 0, v3
	v_cmp_ne_u32_e64 s0, 0, v17
	s_delay_alu instid0(VALU_DEP_4) | instskip(NEXT) | instid1(VALU_DEP_1)
	v_dual_cndmask_b32 v3, v23, v21, vcc_lo :: v_dual_cndmask_b32 v17, v22, v20, vcc_lo
	v_dual_cndmask_b32 v3, v19, v3, s0 :: v_dual_bitop2_b32 v16, s78, v16 bitop3:0x14
	s_delay_alu instid0(VALU_DEP_1) | instskip(NEXT) | instid1(VALU_DEP_2)
	v_dual_cndmask_b32 v18, v18, v17, s0 :: v_dual_mov_b32 v17, v16
	v_xor_b32_e32 v19, v3, v16
	s_delay_alu instid0(VALU_DEP_2) | instskip(NEXT) | instid1(VALU_DEP_1)
	v_xor_b32_e32 v18, v18, v16
	v_sub_nc_u64_e32 v[16:17], v[18:19], v[16:17]
                                        ; implicit-def: $vgpr18_vgpr19
.LBB35_52:                              ;   in Loop: Header=BB35_3 Depth=1
	s_and_not1_saveexec_b32 s0, s82
	s_cbranch_execz .LBB35_54
; %bb.53:                               ;   in Loop: Header=BB35_3 Depth=1
	v_rcp_iflag_f32_e32 v3, v24
	s_sub_co_i32 s2, 0, s56
	v_nop
	s_delay_alu instid0(TRANS32_DEP_1) | instskip(NEXT) | instid1(VALU_DEP_1)
	v_mul_f32_e32 v3, 0x4f7ffffe, v3
	v_cvt_u32_f32_e32 v3, v3
	s_delay_alu instid0(VALU_DEP_1) | instskip(NEXT) | instid1(VALU_DEP_1)
	v_mul_lo_u32 v16, s2, v3
	v_mul_hi_u32 v16, v3, v16
	s_delay_alu instid0(VALU_DEP_1) | instskip(NEXT) | instid1(VALU_DEP_1)
	v_add_nc_u32_e32 v3, v3, v16
	v_mul_hi_u32 v3, v18, v3
	s_delay_alu instid0(VALU_DEP_1) | instskip(NEXT) | instid1(VALU_DEP_1)
	v_mul_lo_u32 v16, v3, s56
	v_dual_add_nc_u32 v17, 1, v3 :: v_dual_sub_nc_u32 v16, v18, v16
	s_delay_alu instid0(VALU_DEP_1) | instskip(SKIP_1) | instid1(VALU_DEP_2)
	v_subrev_nc_u32_e32 v18, s56, v16
	v_cmp_le_u32_e32 vcc_lo, s56, v16
	v_dual_cndmask_b32 v16, v16, v18 :: v_dual_cndmask_b32 v3, v3, v17
	s_delay_alu instid0(VALU_DEP_1) | instskip(NEXT) | instid1(VALU_DEP_2)
	v_cmp_le_u32_e32 vcc_lo, s56, v16
	v_add_nc_u32_e32 v17, 1, v3
	s_delay_alu instid0(VALU_DEP_1)
	v_dual_cndmask_b32 v16, v3, v17 :: v_dual_mov_b32 v17, v2
.LBB35_54:                              ;   in Loop: Header=BB35_3 Depth=1
	s_or_b32 exec_lo, exec_lo, s0
	s_delay_alu instid0(VALU_DEP_1) | instskip(SKIP_2) | instid1(VALU_DEP_2)
	v_mul_u64_e32 v[18:19], s[56:57], v[16:17]
	v_add_nc_u64_e32 v[20:21], 3, v[12:13]
	s_mov_b32 s0, exec_lo
	v_sub_nc_u64_e32 v[18:19], v[6:7], v[18:19]
	s_delay_alu instid0(VALU_DEP_2) | instskip(SKIP_1) | instid1(VALU_DEP_3)
	v_mul_u64_e32 v[6:7], s[4:5], v[20:21]
	v_mul_u64_e32 v[20:21], s[24:25], v[16:17]
	v_add_nc_u64_e32 v[18:19], v[0:1], v[18:19]
	s_delay_alu instid0(VALU_DEP_1) | instskip(NEXT) | instid1(VALU_DEP_4)
	v_mul_u64_e32 v[18:19], s[26:27], v[18:19]
	v_add_nc_u64_e32 v[16:17], v[0:1], v[6:7]
	s_delay_alu instid0(VALU_DEP_4) | instskip(NEXT) | instid1(VALU_DEP_2)
	v_lshl_add_u64 v[20:21], v[20:21], 3, s[54:55]
	v_or_b32_e32 v3, s57, v17
	s_delay_alu instid0(VALU_DEP_2)
	v_lshl_add_u64 v[18:19], v[18:19], 3, v[20:21]
	global_store_b64 v[18:19], v[10:11], off
                                        ; implicit-def: $vgpr10_vgpr11
	s_wait_xcnt 0x0
	v_cmpx_ne_u64_e32 0, v[2:3]
	s_xor_b32 s82, exec_lo, s0
	s_cbranch_execz .LBB35_56
; %bb.55:                               ;   in Loop: Header=BB35_3 Depth=1
	s_ashr_i32 s78, s57, 31
	v_dual_mov_b32 v19, v2 :: v_dual_ashrrev_i32 v10, 31, v17
	s_mov_b32 s79, s78
	v_mov_b32_e32 v29, v2
	s_add_nc_u64 s[80:81], s[56:57], s[78:79]
	s_delay_alu instid0(VALU_DEP_2) | instskip(SKIP_1) | instid1(SALU_CYCLE_1)
	v_mov_b32_e32 v11, v10
	s_xor_b64 s[80:81], s[80:81], s[78:79]
	s_cvt_f32_u32 s0, s80
	s_cvt_f32_u32 s2, s81
	s_sub_nc_u64 s[86:87], 0, s[80:81]
	v_add_nc_u64_e32 v[16:17], v[16:17], v[10:11]
	v_mov_b32_e32 v23, v2
	s_fmamk_f32 s0, s2, 0x4f800000, s0
	s_delay_alu instid0(SALU_CYCLE_3) | instskip(NEXT) | instid1(VALU_DEP_2)
	v_s_rcp_f32 s0, s0
	v_xor_b32_e32 v18, v16, v10
	s_delay_alu instid0(VALU_DEP_3) | instskip(NEXT) | instid1(TRANS32_DEP_1)
	v_xor_b32_e32 v22, v17, v10
	s_mul_f32 s0, s0, 0x5f7ffffc
	s_delay_alu instid0(SALU_CYCLE_3) | instskip(NEXT) | instid1(SALU_CYCLE_3)
	s_mul_f32 s2, s0, 0x2f800000
	s_trunc_f32 s2, s2
	s_delay_alu instid0(SALU_CYCLE_3) | instskip(SKIP_1) | instid1(SALU_CYCLE_2)
	s_fmamk_f32 s0, s2, 0xcf800000, s0
	s_cvt_u32_f32 s85, s2
	s_cvt_u32_f32 s84, s0
	s_delay_alu instid0(SALU_CYCLE_3) | instskip(NEXT) | instid1(SALU_CYCLE_1)
	s_mul_u64 s[88:89], s[86:87], s[84:85]
	s_mul_hi_u32 s91, s84, s89
	s_mul_i32 s90, s84, s89
	s_mul_hi_u32 s2, s84, s88
	s_mul_i32 s79, s85, s88
	s_add_nc_u64 s[90:91], s[2:3], s[90:91]
	s_mul_hi_u32 s0, s85, s88
	s_mul_hi_u32 s83, s85, s89
	s_add_co_u32 s2, s90, s79
	s_add_co_ci_u32 s2, s91, s0
	s_mul_i32 s88, s85, s89
	s_add_co_ci_u32 s89, s83, 0
	s_delay_alu instid0(SALU_CYCLE_1) | instskip(NEXT) | instid1(SALU_CYCLE_1)
	s_add_nc_u64 s[88:89], s[2:3], s[88:89]
	s_add_co_u32 s84, s84, s88
	s_cselect_b32 s0, -1, 0
	s_delay_alu instid0(SALU_CYCLE_1) | instskip(SKIP_1) | instid1(SALU_CYCLE_1)
	s_cmp_lg_u32 s0, 0
	s_add_co_ci_u32 s85, s85, s89
	s_mul_u64 s[86:87], s[86:87], s[84:85]
	s_delay_alu instid0(SALU_CYCLE_1)
	s_mul_hi_u32 s89, s84, s87
	s_mul_i32 s88, s84, s87
	s_mul_hi_u32 s2, s84, s86
	s_mul_i32 s79, s85, s86
	s_add_nc_u64 s[88:89], s[2:3], s[88:89]
	s_mul_hi_u32 s0, s85, s86
	s_mul_hi_u32 s83, s85, s87
	s_add_co_u32 s2, s88, s79
	s_add_co_ci_u32 s2, s89, s0
	s_mul_i32 s86, s85, s87
	s_add_co_ci_u32 s87, s83, 0
	s_delay_alu instid0(SALU_CYCLE_1) | instskip(NEXT) | instid1(SALU_CYCLE_1)
	s_add_nc_u64 s[86:87], s[2:3], s[86:87]
	s_add_co_u32 s0, s84, s86
	s_cselect_b32 s2, -1, 0
	v_mul_hi_u32 v28, v18, s0
	s_cmp_lg_u32 s2, 0
	s_add_co_ci_u32 s2, s85, s87
	s_and_b64 s[84:85], s[0:1], s[62:63]
	v_mul_u64_e32 v[20:21], s[2:3], v[18:19]
	v_mul_u64_e32 v[16:17], s[84:85], v[22:23]
	;; [unrolled: 1-line block ×3, first 2 shown]
	s_delay_alu instid0(VALU_DEP_3) | instskip(NEXT) | instid1(VALU_DEP_1)
	v_add_nc_u64_e32 v[20:21], v[28:29], v[20:21]
	v_add_co_u32 v3, vcc_lo, v20, v16
	s_delay_alu instid0(VALU_DEP_2) | instskip(NEXT) | instid1(VALU_DEP_4)
	v_add_co_ci_u32_e32 v28, vcc_lo, v21, v17, vcc_lo
	v_add_co_ci_u32_e32 v27, vcc_lo, 0, v27, vcc_lo
	s_delay_alu instid0(VALU_DEP_1) | instskip(NEXT) | instid1(VALU_DEP_1)
	v_add_nc_u64_e32 v[16:17], v[28:29], v[26:27]
	v_mul_u64_e32 v[20:21], s[80:81], v[16:17]
	s_delay_alu instid0(VALU_DEP_1) | instskip(NEXT) | instid1(VALU_DEP_2)
	v_sub_nc_u32_e32 v3, v22, v21
	v_sub_co_u32 v11, vcc_lo, v18, v20
	s_delay_alu instid0(VALU_DEP_1) | instskip(NEXT) | instid1(VALU_DEP_3)
	v_sub_co_ci_u32_e64 v22, null, v22, v21, vcc_lo
	v_subrev_co_ci_u32_e64 v3, null, s81, v3, vcc_lo
	s_delay_alu instid0(VALU_DEP_3) | instskip(SKIP_1) | instid1(VALU_DEP_3)
	v_sub_co_u32 v18, s0, v11, s80
	v_add_nc_u64_e32 v[20:21], 1, v[16:17]
	v_subrev_co_ci_u32_e64 v3, null, 0, v3, s0
	s_delay_alu instid0(VALU_DEP_3) | instskip(SKIP_1) | instid1(VALU_DEP_3)
	v_cmp_le_u32_e32 vcc_lo, s80, v18
	v_cndmask_b32_e64 v18, 0, -1, vcc_lo
	v_cmp_le_u32_e32 vcc_lo, s81, v3
	v_cndmask_b32_e64 v19, 0, -1, vcc_lo
	;; [unrolled: 2-line block ×4, first 2 shown]
	v_cmp_eq_u32_e32 vcc_lo, s81, v3
	v_cndmask_b32_e32 v3, v19, v18, vcc_lo
	v_cmp_eq_u32_e32 vcc_lo, s81, v22
	v_add_nc_u64_e32 v[18:19], 2, v[16:17]
	v_cndmask_b32_e32 v11, v23, v11, vcc_lo
	s_delay_alu instid0(VALU_DEP_4) | instskip(NEXT) | instid1(VALU_DEP_2)
	v_cmp_ne_u32_e32 vcc_lo, 0, v3
	v_cmp_ne_u32_e64 s0, 0, v11
	s_delay_alu instid0(VALU_DEP_4) | instskip(NEXT) | instid1(VALU_DEP_1)
	v_dual_cndmask_b32 v3, v21, v19, vcc_lo :: v_dual_cndmask_b32 v11, v20, v18, vcc_lo
	v_dual_cndmask_b32 v3, v17, v3, s0 :: v_dual_bitop2_b32 v10, s78, v10 bitop3:0x14
	s_delay_alu instid0(VALU_DEP_1) | instskip(NEXT) | instid1(VALU_DEP_2)
	v_dual_cndmask_b32 v16, v16, v11, s0 :: v_dual_mov_b32 v11, v10
	v_xor_b32_e32 v17, v3, v10
	s_delay_alu instid0(VALU_DEP_2) | instskip(NEXT) | instid1(VALU_DEP_1)
	v_xor_b32_e32 v16, v16, v10
	v_sub_nc_u64_e32 v[10:11], v[16:17], v[10:11]
                                        ; implicit-def: $vgpr16_vgpr17
.LBB35_56:                              ;   in Loop: Header=BB35_3 Depth=1
	s_and_not1_saveexec_b32 s0, s82
	s_cbranch_execz .LBB35_58
; %bb.57:                               ;   in Loop: Header=BB35_3 Depth=1
	v_rcp_iflag_f32_e32 v3, v24
	s_sub_co_i32 s2, 0, s56
	v_nop
	s_delay_alu instid0(TRANS32_DEP_1) | instskip(NEXT) | instid1(VALU_DEP_1)
	v_mul_f32_e32 v3, 0x4f7ffffe, v3
	v_cvt_u32_f32_e32 v3, v3
	s_delay_alu instid0(VALU_DEP_1) | instskip(NEXT) | instid1(VALU_DEP_1)
	v_mul_lo_u32 v10, s2, v3
	v_mul_hi_u32 v10, v3, v10
	s_delay_alu instid0(VALU_DEP_1) | instskip(NEXT) | instid1(VALU_DEP_1)
	v_add_nc_u32_e32 v3, v3, v10
	v_mul_hi_u32 v3, v16, v3
	s_delay_alu instid0(VALU_DEP_1) | instskip(NEXT) | instid1(VALU_DEP_1)
	v_mul_lo_u32 v10, v3, s56
	v_dual_add_nc_u32 v11, 1, v3 :: v_dual_sub_nc_u32 v10, v16, v10
	s_delay_alu instid0(VALU_DEP_1) | instskip(SKIP_1) | instid1(VALU_DEP_2)
	v_subrev_nc_u32_e32 v16, s56, v10
	v_cmp_le_u32_e32 vcc_lo, s56, v10
	v_dual_cndmask_b32 v10, v10, v16 :: v_dual_cndmask_b32 v3, v3, v11
	s_delay_alu instid0(VALU_DEP_1) | instskip(NEXT) | instid1(VALU_DEP_2)
	v_cmp_le_u32_e32 vcc_lo, s56, v10
	v_add_nc_u32_e32 v11, 1, v3
	s_delay_alu instid0(VALU_DEP_1)
	v_dual_cndmask_b32 v10, v3, v11 :: v_dual_mov_b32 v11, v2
.LBB35_58:                              ;   in Loop: Header=BB35_3 Depth=1
	s_or_b32 exec_lo, exec_lo, s0
	s_delay_alu instid0(VALU_DEP_1) | instskip(SKIP_2) | instid1(VALU_DEP_2)
	v_mul_u64_e32 v[16:17], s[56:57], v[10:11]
	v_add_nc_u64_e32 v[12:13], 4, v[12:13]
	s_mov_b32 s0, exec_lo
	v_sub_nc_u64_e32 v[16:17], v[6:7], v[16:17]
	s_delay_alu instid0(VALU_DEP_2) | instskip(NEXT) | instid1(VALU_DEP_2)
	v_mul_u64_e32 v[6:7], s[4:5], v[12:13]
	v_add_nc_u64_e32 v[12:13], v[0:1], v[16:17]
	v_mul_u64_e32 v[16:17], s[24:25], v[10:11]
	s_delay_alu instid0(VALU_DEP_2) | instskip(NEXT) | instid1(VALU_DEP_4)
	v_mul_u64_e32 v[12:13], s[26:27], v[12:13]
	v_add_nc_u64_e32 v[10:11], v[0:1], v[6:7]
	s_delay_alu instid0(VALU_DEP_3) | instskip(NEXT) | instid1(VALU_DEP_2)
	v_lshl_add_u64 v[16:17], v[16:17], 3, s[54:55]
	v_or_b32_e32 v3, s57, v11
	s_delay_alu instid0(VALU_DEP_2)
	v_lshl_add_u64 v[12:13], v[12:13], 3, v[16:17]
	global_store_b64 v[12:13], v[14:15], off
                                        ; implicit-def: $vgpr12_vgpr13
	s_wait_xcnt 0x0
	v_cmpx_ne_u64_e32 0, v[2:3]
	s_xor_b32 s82, exec_lo, s0
	s_cbranch_execz .LBB35_60
; %bb.59:                               ;   in Loop: Header=BB35_3 Depth=1
	s_ashr_i32 s78, s57, 31
	v_dual_mov_b32 v15, v2 :: v_dual_ashrrev_i32 v12, 31, v11
	s_mov_b32 s79, s78
	v_mov_b32_e32 v23, v2
	s_add_nc_u64 s[80:81], s[56:57], s[78:79]
	s_delay_alu instid0(VALU_DEP_2) | instskip(SKIP_1) | instid1(SALU_CYCLE_1)
	v_mov_b32_e32 v13, v12
	s_xor_b64 s[80:81], s[80:81], s[78:79]
                                        ; implicit-def: $vgpr24
	s_cvt_f32_u32 s0, s80
	s_cvt_f32_u32 s2, s81
	s_sub_nc_u64 s[86:87], 0, s[80:81]
	v_add_nc_u64_e32 v[10:11], v[10:11], v[12:13]
	v_mov_b32_e32 v19, v2
	s_fmamk_f32 s0, s2, 0x4f800000, s0
	s_delay_alu instid0(SALU_CYCLE_3) | instskip(NEXT) | instid1(VALU_DEP_2)
	v_s_rcp_f32 s0, s0
	v_xor_b32_e32 v14, v10, v12
	s_delay_alu instid0(VALU_DEP_3) | instskip(NEXT) | instid1(TRANS32_DEP_1)
	v_xor_b32_e32 v18, v11, v12
	s_mul_f32 s0, s0, 0x5f7ffffc
	s_delay_alu instid0(SALU_CYCLE_3) | instskip(NEXT) | instid1(SALU_CYCLE_3)
	s_mul_f32 s2, s0, 0x2f800000
	s_trunc_f32 s2, s2
	s_delay_alu instid0(SALU_CYCLE_3) | instskip(SKIP_1) | instid1(SALU_CYCLE_2)
	s_fmamk_f32 s0, s2, 0xcf800000, s0
	s_cvt_u32_f32 s85, s2
	s_cvt_u32_f32 s84, s0
	s_delay_alu instid0(SALU_CYCLE_3) | instskip(NEXT) | instid1(SALU_CYCLE_1)
	s_mul_u64 s[88:89], s[86:87], s[84:85]
	s_mul_hi_u32 s91, s84, s89
	s_mul_i32 s90, s84, s89
	s_mul_hi_u32 s2, s84, s88
	s_mul_i32 s79, s85, s88
	s_add_nc_u64 s[90:91], s[2:3], s[90:91]
	s_mul_hi_u32 s0, s85, s88
	s_mul_hi_u32 s83, s85, s89
	s_add_co_u32 s2, s90, s79
	s_add_co_ci_u32 s2, s91, s0
	s_mul_i32 s88, s85, s89
	s_add_co_ci_u32 s89, s83, 0
	s_delay_alu instid0(SALU_CYCLE_1) | instskip(NEXT) | instid1(SALU_CYCLE_1)
	s_add_nc_u64 s[88:89], s[2:3], s[88:89]
	s_add_co_u32 s84, s84, s88
	s_cselect_b32 s0, -1, 0
	s_delay_alu instid0(SALU_CYCLE_1) | instskip(SKIP_1) | instid1(SALU_CYCLE_1)
	s_cmp_lg_u32 s0, 0
	s_add_co_ci_u32 s85, s85, s89
	s_mul_u64 s[86:87], s[86:87], s[84:85]
	s_delay_alu instid0(SALU_CYCLE_1)
	s_mul_hi_u32 s89, s84, s87
	s_mul_i32 s88, s84, s87
	s_mul_hi_u32 s2, s84, s86
	s_mul_i32 s79, s85, s86
	s_add_nc_u64 s[88:89], s[2:3], s[88:89]
	s_mul_hi_u32 s0, s85, s86
	s_mul_hi_u32 s83, s85, s87
	s_add_co_u32 s2, s88, s79
	s_add_co_ci_u32 s2, s89, s0
	s_mul_i32 s86, s85, s87
	s_add_co_ci_u32 s87, s83, 0
	s_delay_alu instid0(SALU_CYCLE_1) | instskip(NEXT) | instid1(SALU_CYCLE_1)
	s_add_nc_u64 s[86:87], s[2:3], s[86:87]
	s_add_co_u32 s0, s84, s86
	s_cselect_b32 s2, -1, 0
	v_mul_hi_u32 v22, v14, s0
	s_cmp_lg_u32 s2, 0
	s_add_co_ci_u32 s2, s85, s87
	s_and_b64 s[84:85], s[0:1], s[62:63]
	v_mul_u64_e32 v[16:17], s[2:3], v[14:15]
	v_mul_u64_e32 v[10:11], s[84:85], v[18:19]
	;; [unrolled: 1-line block ×3, first 2 shown]
	s_delay_alu instid0(VALU_DEP_3) | instskip(NEXT) | instid1(VALU_DEP_1)
	v_add_nc_u64_e32 v[16:17], v[22:23], v[16:17]
	v_add_co_u32 v3, vcc_lo, v16, v10
	s_delay_alu instid0(VALU_DEP_2) | instskip(NEXT) | instid1(VALU_DEP_4)
	v_add_co_ci_u32_e32 v22, vcc_lo, v17, v11, vcc_lo
	v_add_co_ci_u32_e32 v21, vcc_lo, 0, v21, vcc_lo
	s_delay_alu instid0(VALU_DEP_1) | instskip(NEXT) | instid1(VALU_DEP_1)
	v_add_nc_u64_e32 v[10:11], v[22:23], v[20:21]
	v_mul_u64_e32 v[16:17], s[80:81], v[10:11]
	s_delay_alu instid0(VALU_DEP_1) | instskip(NEXT) | instid1(VALU_DEP_2)
	v_sub_nc_u32_e32 v3, v18, v17
	v_sub_co_u32 v13, vcc_lo, v14, v16
	s_delay_alu instid0(VALU_DEP_1) | instskip(NEXT) | instid1(VALU_DEP_3)
	v_sub_co_ci_u32_e64 v18, null, v18, v17, vcc_lo
	v_subrev_co_ci_u32_e64 v3, null, s81, v3, vcc_lo
	s_delay_alu instid0(VALU_DEP_3) | instskip(SKIP_1) | instid1(VALU_DEP_3)
	v_sub_co_u32 v14, s0, v13, s80
	v_add_nc_u64_e32 v[16:17], 1, v[10:11]
	v_subrev_co_ci_u32_e64 v3, null, 0, v3, s0
	s_delay_alu instid0(VALU_DEP_3) | instskip(SKIP_1) | instid1(VALU_DEP_3)
	v_cmp_le_u32_e32 vcc_lo, s80, v14
	v_cndmask_b32_e64 v14, 0, -1, vcc_lo
	v_cmp_le_u32_e32 vcc_lo, s81, v3
	v_cndmask_b32_e64 v15, 0, -1, vcc_lo
	;; [unrolled: 2-line block ×4, first 2 shown]
	v_cmp_eq_u32_e32 vcc_lo, s81, v3
	v_cndmask_b32_e32 v3, v15, v14, vcc_lo
	v_cmp_eq_u32_e32 vcc_lo, s81, v18
	v_add_nc_u64_e32 v[14:15], 2, v[10:11]
	v_cndmask_b32_e32 v13, v19, v13, vcc_lo
	s_delay_alu instid0(VALU_DEP_4) | instskip(NEXT) | instid1(VALU_DEP_3)
	v_cmp_ne_u32_e32 vcc_lo, 0, v3
	v_cndmask_b32_e32 v3, v17, v15, vcc_lo
	s_delay_alu instid0(VALU_DEP_3) | instskip(SKIP_1) | instid1(VALU_DEP_1)
	v_cmp_ne_u32_e64 s0, 0, v13
	v_dual_cndmask_b32 v13, v16, v14, vcc_lo :: v_dual_bitop2_b32 v12, s78, v12 bitop3:0x14
	v_dual_cndmask_b32 v3, v11, v3, s0 :: v_dual_cndmask_b32 v10, v10, v13, s0
	s_delay_alu instid0(VALU_DEP_1) | instskip(NEXT) | instid1(VALU_DEP_2)
	v_dual_mov_b32 v13, v12 :: v_dual_bitop2_b32 v11, v3, v12 bitop3:0x14
	v_xor_b32_e32 v10, v10, v12
	s_delay_alu instid0(VALU_DEP_1)
	v_sub_nc_u64_e32 v[12:13], v[10:11], v[12:13]
                                        ; implicit-def: $vgpr10_vgpr11
.LBB35_60:                              ;   in Loop: Header=BB35_3 Depth=1
	s_and_not1_saveexec_b32 s0, s82
	s_cbranch_execz .LBB35_2
; %bb.61:                               ;   in Loop: Header=BB35_3 Depth=1
	v_rcp_iflag_f32_e32 v3, v24
	s_sub_co_i32 s2, 0, s56
	v_mov_b32_e32 v13, v2
	s_delay_alu instid0(TRANS32_DEP_1) | instskip(NEXT) | instid1(VALU_DEP_1)
	v_mul_f32_e32 v3, 0x4f7ffffe, v3
	v_cvt_u32_f32_e32 v3, v3
	s_delay_alu instid0(VALU_DEP_1) | instskip(NEXT) | instid1(VALU_DEP_1)
	v_mul_lo_u32 v11, s2, v3
	v_mul_hi_u32 v11, v3, v11
	s_delay_alu instid0(VALU_DEP_1) | instskip(NEXT) | instid1(VALU_DEP_1)
	v_add_nc_u32_e32 v3, v3, v11
	v_mul_hi_u32 v3, v10, v3
	s_delay_alu instid0(VALU_DEP_1) | instskip(NEXT) | instid1(VALU_DEP_1)
	v_mul_lo_u32 v11, v3, s56
	v_sub_nc_u32_e32 v10, v10, v11
	v_add_nc_u32_e32 v11, 1, v3
	s_delay_alu instid0(VALU_DEP_2) | instskip(SKIP_1) | instid1(VALU_DEP_2)
	v_subrev_nc_u32_e32 v12, s56, v10
	v_cmp_le_u32_e32 vcc_lo, s56, v10
	v_dual_cndmask_b32 v10, v10, v12 :: v_dual_cndmask_b32 v3, v3, v11
	s_delay_alu instid0(VALU_DEP_1) | instskip(NEXT) | instid1(VALU_DEP_2)
	v_cmp_le_u32_e32 vcc_lo, s56, v10
	v_add_nc_u32_e32 v11, 1, v3
	s_delay_alu instid0(VALU_DEP_1)
	v_cndmask_b32_e32 v12, v3, v11, vcc_lo
	s_branch .LBB35_2
.LBB35_62:
	s_endpgm
	.section	.rodata,"a",@progbits
	.p2align	6, 0x0
	.amdhsa_kernel _ZN2at6native12_GLOBAL__N_16kernel16gru_cell_forwardIddlLi2EEEvNS_4cuda6detail10TensorInfoIT_T1_EES9_S9_S9_S9_S9_S9_S8_S8_
		.amdhsa_group_segment_fixed_size 0
		.amdhsa_private_segment_fixed_size 0
		.amdhsa_kernarg_size 3184
		.amdhsa_user_sgpr_count 2
		.amdhsa_user_sgpr_dispatch_ptr 0
		.amdhsa_user_sgpr_queue_ptr 0
		.amdhsa_user_sgpr_kernarg_segment_ptr 1
		.amdhsa_user_sgpr_dispatch_id 0
		.amdhsa_user_sgpr_kernarg_preload_length 0
		.amdhsa_user_sgpr_kernarg_preload_offset 0
		.amdhsa_user_sgpr_private_segment_size 0
		.amdhsa_wavefront_size32 1
		.amdhsa_uses_dynamic_stack 0
		.amdhsa_enable_private_segment 0
		.amdhsa_system_sgpr_workgroup_id_x 1
		.amdhsa_system_sgpr_workgroup_id_y 0
		.amdhsa_system_sgpr_workgroup_id_z 0
		.amdhsa_system_sgpr_workgroup_info 0
		.amdhsa_system_vgpr_workitem_id 0
		.amdhsa_next_free_vgpr 48
		.amdhsa_next_free_sgpr 92
		.amdhsa_named_barrier_count 0
		.amdhsa_reserve_vcc 1
		.amdhsa_float_round_mode_32 0
		.amdhsa_float_round_mode_16_64 0
		.amdhsa_float_denorm_mode_32 3
		.amdhsa_float_denorm_mode_16_64 3
		.amdhsa_fp16_overflow 0
		.amdhsa_memory_ordered 1
		.amdhsa_forward_progress 1
		.amdhsa_inst_pref_size 110
		.amdhsa_round_robin_scheduling 0
		.amdhsa_exception_fp_ieee_invalid_op 0
		.amdhsa_exception_fp_denorm_src 0
		.amdhsa_exception_fp_ieee_div_zero 0
		.amdhsa_exception_fp_ieee_overflow 0
		.amdhsa_exception_fp_ieee_underflow 0
		.amdhsa_exception_fp_ieee_inexact 0
		.amdhsa_exception_int_div_zero 0
	.end_amdhsa_kernel
	.section	.text._ZN2at6native12_GLOBAL__N_16kernel16gru_cell_forwardIddlLi2EEEvNS_4cuda6detail10TensorInfoIT_T1_EES9_S9_S9_S9_S9_S9_S8_S8_,"axG",@progbits,_ZN2at6native12_GLOBAL__N_16kernel16gru_cell_forwardIddlLi2EEEvNS_4cuda6detail10TensorInfoIT_T1_EES9_S9_S9_S9_S9_S9_S8_S8_,comdat
.Lfunc_end35:
	.size	_ZN2at6native12_GLOBAL__N_16kernel16gru_cell_forwardIddlLi2EEEvNS_4cuda6detail10TensorInfoIT_T1_EES9_S9_S9_S9_S9_S9_S8_S8_, .Lfunc_end35-_ZN2at6native12_GLOBAL__N_16kernel16gru_cell_forwardIddlLi2EEEvNS_4cuda6detail10TensorInfoIT_T1_EES9_S9_S9_S9_S9_S9_S8_S8_
                                        ; -- End function
	.set _ZN2at6native12_GLOBAL__N_16kernel16gru_cell_forwardIddlLi2EEEvNS_4cuda6detail10TensorInfoIT_T1_EES9_S9_S9_S9_S9_S9_S8_S8_.num_vgpr, 48
	.set _ZN2at6native12_GLOBAL__N_16kernel16gru_cell_forwardIddlLi2EEEvNS_4cuda6detail10TensorInfoIT_T1_EES9_S9_S9_S9_S9_S9_S8_S8_.num_agpr, 0
	.set _ZN2at6native12_GLOBAL__N_16kernel16gru_cell_forwardIddlLi2EEEvNS_4cuda6detail10TensorInfoIT_T1_EES9_S9_S9_S9_S9_S9_S8_S8_.numbered_sgpr, 92
	.set _ZN2at6native12_GLOBAL__N_16kernel16gru_cell_forwardIddlLi2EEEvNS_4cuda6detail10TensorInfoIT_T1_EES9_S9_S9_S9_S9_S9_S8_S8_.num_named_barrier, 0
	.set _ZN2at6native12_GLOBAL__N_16kernel16gru_cell_forwardIddlLi2EEEvNS_4cuda6detail10TensorInfoIT_T1_EES9_S9_S9_S9_S9_S9_S8_S8_.private_seg_size, 0
	.set _ZN2at6native12_GLOBAL__N_16kernel16gru_cell_forwardIddlLi2EEEvNS_4cuda6detail10TensorInfoIT_T1_EES9_S9_S9_S9_S9_S9_S8_S8_.uses_vcc, 1
	.set _ZN2at6native12_GLOBAL__N_16kernel16gru_cell_forwardIddlLi2EEEvNS_4cuda6detail10TensorInfoIT_T1_EES9_S9_S9_S9_S9_S9_S8_S8_.uses_flat_scratch, 0
	.set _ZN2at6native12_GLOBAL__N_16kernel16gru_cell_forwardIddlLi2EEEvNS_4cuda6detail10TensorInfoIT_T1_EES9_S9_S9_S9_S9_S9_S8_S8_.has_dyn_sized_stack, 0
	.set _ZN2at6native12_GLOBAL__N_16kernel16gru_cell_forwardIddlLi2EEEvNS_4cuda6detail10TensorInfoIT_T1_EES9_S9_S9_S9_S9_S9_S8_S8_.has_recursion, 0
	.set _ZN2at6native12_GLOBAL__N_16kernel16gru_cell_forwardIddlLi2EEEvNS_4cuda6detail10TensorInfoIT_T1_EES9_S9_S9_S9_S9_S9_S8_S8_.has_indirect_call, 0
	.section	.AMDGPU.csdata,"",@progbits
; Kernel info:
; codeLenInByte = 14016
; TotalNumSgprs: 94
; NumVgprs: 48
; ScratchSize: 0
; MemoryBound: 0
; FloatMode: 240
; IeeeMode: 1
; LDSByteSize: 0 bytes/workgroup (compile time only)
; SGPRBlocks: 0
; VGPRBlocks: 2
; NumSGPRsForWavesPerEU: 94
; NumVGPRsForWavesPerEU: 48
; NamedBarCnt: 0
; Occupancy: 16
; WaveLimiterHint : 1
; COMPUTE_PGM_RSRC2:SCRATCH_EN: 0
; COMPUTE_PGM_RSRC2:USER_SGPR: 2
; COMPUTE_PGM_RSRC2:TRAP_HANDLER: 0
; COMPUTE_PGM_RSRC2:TGID_X_EN: 1
; COMPUTE_PGM_RSRC2:TGID_Y_EN: 0
; COMPUTE_PGM_RSRC2:TGID_Z_EN: 0
; COMPUTE_PGM_RSRC2:TIDIG_COMP_CNT: 0
	.section	.text._ZN2at6native12_GLOBAL__N_16kernel16gru_cell_forwardIffiLi1EEEvNS_4cuda6detail10TensorInfoIT_T1_EES9_S9_S9_S9_S9_S9_S8_S8_,"axG",@progbits,_ZN2at6native12_GLOBAL__N_16kernel16gru_cell_forwardIffiLi1EEEvNS_4cuda6detail10TensorInfoIT_T1_EES9_S9_S9_S9_S9_S9_S8_S8_,comdat
	.globl	_ZN2at6native12_GLOBAL__N_16kernel16gru_cell_forwardIffiLi1EEEvNS_4cuda6detail10TensorInfoIT_T1_EES9_S9_S9_S9_S9_S9_S8_S8_ ; -- Begin function _ZN2at6native12_GLOBAL__N_16kernel16gru_cell_forwardIffiLi1EEEvNS_4cuda6detail10TensorInfoIT_T1_EES9_S9_S9_S9_S9_S9_S8_S8_
	.p2align	8
	.type	_ZN2at6native12_GLOBAL__N_16kernel16gru_cell_forwardIffiLi1EEEvNS_4cuda6detail10TensorInfoIT_T1_EES9_S9_S9_S9_S9_S9_S8_S8_,@function
_ZN2at6native12_GLOBAL__N_16kernel16gru_cell_forwardIffiLi1EEEvNS_4cuda6detail10TensorInfoIT_T1_EES9_S9_S9_S9_S9_S9_S8_S8_: ; @_ZN2at6native12_GLOBAL__N_16kernel16gru_cell_forwardIffiLi1EEEvNS_4cuda6detail10TensorInfoIT_T1_EES9_S9_S9_S9_S9_S9_S8_S8_
; %bb.0:
	s_clause 0x1
	s_load_b32 s4, s[0:1], 0x5fc
	s_load_b64 s[2:3], s[0:1], 0x5e8
	s_bfe_u32 s5, ttmp6, 0x4000c
	s_and_b32 s6, ttmp6, 15
	s_add_co_i32 s5, s5, 1
	s_getreg_b32 s7, hwreg(HW_REG_IB_STS2, 6, 4)
	s_mul_i32 s5, ttmp9, s5
	s_delay_alu instid0(SALU_CYCLE_1)
	s_add_co_i32 s6, s6, s5
	s_wait_kmcnt 0x0
	s_and_b32 s4, s4, 0xffff
	s_cmp_eq_u32 s7, 0
	s_cselect_b32 s5, ttmp9, s6
	s_mov_b32 s6, exec_lo
	v_mad_u32 v6, s5, s4, v0
	s_mov_b32 s5, 0
	s_delay_alu instid0(VALU_DEP_1)
	v_cmpx_gt_i32_e64 s3, v6
	s_cbranch_execz .LBB36_9
; %bb.1:
	s_load_b64 s[6:7], s[0:1], 0x1b0
	s_add_nc_u64 s[10:11], s[0:1], 0x5f0
	s_clause 0x4
	s_load_b32 s20, s[0:1], 0x21c
	s_load_b64 s[8:9], s[0:1], 0x288
	s_load_b32 s21, s[0:1], 0x2f4
	s_load_b32 s31, s[0:1], 0x3cc
	s_load_b32 s33, s[0:1], 0x4a4
	s_load_b32 s27, s[10:11], 0x0
	s_wait_xcnt 0x0
	s_clause 0x1
	s_load_b64 s[10:11], s[0:1], 0x360
	s_load_b64 s[12:13], s[0:1], 0x438
	v_mov_b32_e32 v1, 0
	s_wait_kmcnt 0x0
	s_cmp_lg_u64 s[6:7], 0
	v_mul_lo_u32 v7, v6, s31
	s_cselect_b32 s22, -1, 0
	s_abs_i32 s23, s2
	v_mul_lo_u32 v8, v6, s33
	s_cvt_f32_u32 s14, s23
	s_sub_co_i32 s34, 0, s23
	s_lshl_b32 s29, s2, 2
	s_sub_co_i32 s30, 0, s2
	v_rcp_iflag_f32_e32 v0, s14
	s_clause 0x5
	s_load_b64 s[14:15], s[0:1], 0x0
	s_load_b32 s24, s[0:1], 0x6c
	s_load_b64 s[16:17], s[0:1], 0xd8
	s_load_b32 s25, s[0:1], 0x144
	s_load_b64 s[18:19], s[0:1], 0x510
	s_load_b32 s26, s[0:1], 0x57c
	s_wait_xcnt 0x0
	s_mul_i32 s1, s27, s4
	s_mov_b32 s0, 0xbbbac73d
	s_ashr_i32 s27, s2, 31
	s_mul_i32 s31, s1, s31
	s_mul_i32 s33, s1, s33
	v_nop
	v_readfirstlane_b32 s28, v0
	s_mul_f32 s4, s28, 0x4f7ffffe
	s_lshl_b32 s28, s2, 1
	s_delay_alu instid0(SALU_CYCLE_2) | instskip(NEXT) | instid1(SALU_CYCLE_3)
	s_cvt_u32_f32 s4, s4
	s_mul_i32 s34, s34, s4
	s_delay_alu instid0(SALU_CYCLE_1) | instskip(NEXT) | instid1(SALU_CYCLE_1)
	s_mul_hi_u32 s34, s4, s34
	s_add_co_i32 s4, s4, s34
	s_mov_b32 s34, s5
	s_branch .LBB36_3
.LBB36_2:                               ;   in Loop: Header=BB36_3 Depth=1
	s_or_b32 exec_lo, exec_lo, s35
	v_add_f32_e32 v5, v12, v13
	s_delay_alu instid0(VALU_DEP_2) | instskip(SKIP_2) | instid1(VALU_DEP_4)
	v_bfi_b32 v2, 0x7fffffff, v4, v2
	v_mad_u32 v11, s29, v11, v6
	v_dual_lshlrev_b32 v10, 2, v10 :: v_dual_add_nc_u32 v7, s31, v7
	v_add_f32_e32 v5, v5, v15
	s_delay_alu instid0(VALU_DEP_1) | instskip(NEXT) | instid1(VALU_DEP_4)
	v_add_f32_e32 v5, v5, v16
	v_mul_lo_u32 v11, v11, s26
	s_delay_alu instid0(VALU_DEP_2) | instskip(SKIP_1) | instid1(VALU_DEP_2)
	v_mul_f32_e32 v12, 0xbfb8aa3b, v5
	v_cmp_nlt_f32_e32 vcc_lo, 0x42ce8ed0, v5
	v_fma_f32 v13, 0xbfb8aa3b, v5, -v12
	v_rndne_f32_e32 v15, v12
	s_delay_alu instid0(VALU_DEP_1) | instskip(NEXT) | instid1(VALU_DEP_1)
	v_dual_fmac_f32 v13, 0xb2a5705f, v5 :: v_dual_sub_f32 v12, v12, v15
	v_add_f32_e32 v12, v12, v13
	v_cvt_i32_f32_e32 v13, v15
	s_delay_alu instid0(VALU_DEP_2) | instskip(SKIP_1) | instid1(TRANS32_DEP_1)
	v_exp_f32_e32 v12, v12
	v_nop
	v_ldexp_f32 v12, v12, v13
	s_delay_alu instid0(VALU_DEP_1) | instskip(SKIP_1) | instid1(VALU_DEP_2)
	v_cndmask_b32_e32 v12, 0, v12, vcc_lo
	v_cmp_ngt_f32_e32 vcc_lo, 0xc2b17218, v5
	v_cndmask_b32_e32 v5, 0x7f800000, v12, vcc_lo
	s_delay_alu instid0(VALU_DEP_1) | instskip(NEXT) | instid1(VALU_DEP_1)
	v_add_f32_e32 v5, 1.0, v5
	v_div_scale_f32 v12, null, v5, v5, 1.0
	v_div_scale_f32 v16, vcc_lo, 1.0, v5, 1.0
	s_delay_alu instid0(VALU_DEP_2) | instskip(SKIP_1) | instid1(TRANS32_DEP_1)
	v_rcp_f32_e32 v13, v12
	v_nop
	v_fma_f32 v15, -v12, v13, 1.0
	s_delay_alu instid0(VALU_DEP_1) | instskip(NEXT) | instid1(VALU_DEP_1)
	v_fmac_f32_e32 v13, v15, v13
	v_mul_f32_e32 v15, v16, v13
	v_lshlrev_b32_e32 v9, 2, v9
	s_delay_alu instid0(VALU_DEP_1) | instskip(NEXT) | instid1(VALU_DEP_1)
	v_dual_sub_nc_u32 v9, v10, v9 :: v_dual_fma_f32 v10, -v12, v15, v16
	v_fmac_f32_e32 v15, v10, v13
	s_delay_alu instid0(VALU_DEP_1) | instskip(SKIP_2) | instid1(VALU_DEP_3)
	v_dual_fma_f32 v12, -v12, v15, v16 :: v_dual_bitop2_b32 v4, 1, v9 bitop3:0x54
	v_or_b32_e32 v17, 2, v9
	v_dual_add_nc_u32 v9, 4, v9 :: v_dual_bitop2_b32 v10, 3, v9 bitop3:0x54
	v_div_fmas_f32 v12, v12, v13, v15
	s_delay_alu instid0(VALU_DEP_4)
	v_mad_u32 v4, s2, v4, v6
	v_sub_f32_e32 v13, v0, v2
	v_mad_u32 v17, s2, v17, v6
	v_mad_u32 v10, s2, v10, v6
	v_mad_u32 v9, s2, v9, v6
	v_div_fixup_f32 v5, v12, v5, 1.0
	s_delay_alu instid0(VALU_DEP_1) | instskip(SKIP_1) | instid1(VALU_DEP_2)
	v_dual_add_nc_u32 v6, s1, v6 :: v_dual_fma_f32 v13, v5, v13, v2
	v_mul_lo_u32 v4, v4, s26
	v_cmp_le_i32_e32 vcc_lo, s3, v6
	v_mul_lo_u32 v12, v17, s26
	v_mul_lo_u32 v10, v10, s26
	;; [unrolled: 1-line block ×3, first 2 shown]
	global_store_b32 v8, v13, s[12:13] scale_offset
	s_clause 0x1
	global_store_b32 v11, v14, s[18:19] scale_offset
	global_store_b32 v4, v5, s[18:19] scale_offset
	s_wait_xcnt 0x2
	v_add_nc_u32_e32 v8, s33, v8
	s_or_b32 s34, vcc_lo, s34
	s_clause 0x2
	global_store_b32 v12, v2, s[18:19] scale_offset
	global_store_b32 v10, v0, s[18:19] scale_offset
	;; [unrolled: 1-line block ×3, first 2 shown]
	s_wait_xcnt 0x0
	s_and_not1_b32 exec_lo, exec_lo, s34
	s_cbranch_execz .LBB36_9
.LBB36_3:                               ; =>This Inner Loop Header: Depth=1
	v_sub_nc_u32_e32 v0, 0, v6
	s_delay_alu instid0(VALU_DEP_1) | instskip(NEXT) | instid1(VALU_DEP_1)
	v_max_i32_e32 v0, v6, v0
	v_mul_u64_e32 v[2:3], s[4:5], v[0:1]
	s_delay_alu instid0(VALU_DEP_1) | instskip(NEXT) | instid1(VALU_DEP_1)
	v_mul_lo_u32 v2, v3, s23
	v_dual_sub_nc_u32 v0, v0, v2 :: v_dual_add_nc_u32 v2, 1, v3
	s_delay_alu instid0(VALU_DEP_1) | instskip(SKIP_1) | instid1(VALU_DEP_3)
	v_subrev_nc_u32_e32 v4, s23, v0
	v_cmp_le_u32_e32 vcc_lo, s23, v0
	v_cndmask_b32_e32 v2, v3, v2, vcc_lo
	s_delay_alu instid0(VALU_DEP_3) | instskip(NEXT) | instid1(VALU_DEP_2)
	v_dual_cndmask_b32 v0, v0, v4 :: v_dual_ashrrev_i32 v3, 31, v6
	v_add_nc_u32_e32 v4, 1, v2
	s_delay_alu instid0(VALU_DEP_2) | instskip(NEXT) | instid1(VALU_DEP_2)
	v_cmp_le_u32_e32 vcc_lo, s23, v0
	v_dual_cndmask_b32 v0, v2, v4, vcc_lo :: v_dual_bitop2_b32 v9, s27, v3 bitop3:0x14
	s_and_not1_b32 vcc_lo, exec_lo, s22
	s_delay_alu instid0(VALU_DEP_1) | instskip(NEXT) | instid1(VALU_DEP_1)
	v_dual_lshlrev_b32 v0, 1, v9 :: v_dual_bitop2_b32 v10, v0, v9 bitop3:0x14
	v_dual_lshlrev_b32 v2, 1, v10 :: v_dual_sub_nc_u32 v11, v10, v9
	s_delay_alu instid0(VALU_DEP_1) | instskip(NEXT) | instid1(VALU_DEP_2)
	v_sub_nc_u32_e32 v0, v2, v0
	v_mad_u32 v3, s28, v11, v6
	s_delay_alu instid0(VALU_DEP_2) | instskip(NEXT) | instid1(VALU_DEP_1)
	v_dual_add_nc_u32 v0, 2, v0 :: v_dual_bitop2_b32 v2, 1, v0 bitop3:0x54
	v_mad_u32 v2, s2, v2, v6
	s_delay_alu instid0(VALU_DEP_2) | instskip(SKIP_1) | instid1(VALU_DEP_4)
	v_mad_u32 v0, s2, v0, v6
	s_wait_kmcnt 0x0
	v_mul_lo_u32 v4, v3, s24
	v_mul_lo_u32 v16, v3, s25
	s_delay_alu instid0(VALU_DEP_4) | instskip(NEXT) | instid1(VALU_DEP_4)
	v_mul_lo_u32 v5, v2, s24
	v_mul_lo_u32 v15, v0, s24
	;; [unrolled: 1-line block ×4, first 2 shown]
	s_clause 0x2
	global_load_b32 v14, v4, s[14:15] scale_offset
	global_load_b32 v12, v5, s[14:15] scale_offset
	;; [unrolled: 1-line block ×3, first 2 shown]
	s_clause 0x2
	global_load_b32 v17, v16, s[16:17] scale_offset
	global_load_b32 v13, v18, s[16:17] scale_offset
	global_load_b32 v3, v19, s[16:17] scale_offset
	global_load_b32 v0, v7, s[10:11] scale_offset
	s_wait_xcnt 0x2
	v_dual_mov_b32 v15, 0 :: v_dual_mov_b32 v18, 0
	s_wait_xcnt 0x1
	v_dual_mov_b32 v16, 0 :: v_dual_mov_b32 v19, 0
	v_dual_mov_b32 v4, 0 :: v_dual_mov_b32 v5, 0
	s_cbranch_vccnz .LBB36_5
; %bb.4:                                ;   in Loop: Header=BB36_3 Depth=1
	v_sub_nc_u32_e32 v4, v9, v10
	v_mad_u32 v15, s30, v11, v6
	s_delay_alu instid0(VALU_DEP_2) | instskip(SKIP_1) | instid1(VALU_DEP_1)
	v_mul_lo_u32 v5, s2, v4
	v_add_nc_u32_e32 v4, 2, v4
	v_mad_u32 v4, s2, v4, v6
	s_delay_alu instid0(VALU_DEP_4) | instskip(SKIP_2) | instid1(VALU_DEP_1)
	v_mul_lo_u32 v20, v15, s20
	v_mul_lo_u32 v23, v15, s21
	v_add3_u32 v5, v5, s2, v6
	v_mul_lo_u32 v21, v5, s20
	v_mul_lo_u32 v22, v4, s20
	v_mul_lo_u32 v24, v5, s21
	v_mul_lo_u32 v25, v4, s21
	s_clause 0x2
	global_load_b32 v19, v20, s[6:7] scale_offset
	global_load_b32 v15, v21, s[6:7] scale_offset
	;; [unrolled: 1-line block ×3, first 2 shown]
	s_clause 0x2
	global_load_b32 v18, v23, s[8:9] scale_offset
	global_load_b32 v16, v24, s[8:9] scale_offset
	;; [unrolled: 1-line block ×3, first 2 shown]
.LBB36_5:                               ;   in Loop: Header=BB36_3 Depth=1
	s_wait_loadcnt 0x3
	v_add_f32_e32 v14, v14, v17
	s_wait_loadcnt 0x0
	v_pk_add_f32 v[2:3], v[2:3], v[4:5]
                                        ; implicit-def: $vgpr4
	s_delay_alu instid0(VALU_DEP_2) | instskip(NEXT) | instid1(VALU_DEP_1)
	v_add_f32_e32 v14, v14, v19
	v_add_f32_e32 v14, v18, v14
	s_delay_alu instid0(VALU_DEP_1) | instskip(SKIP_1) | instid1(VALU_DEP_2)
	v_mul_f32_e32 v17, 0xbfb8aa3b, v14
	v_cmp_nlt_f32_e32 vcc_lo, 0x42ce8ed0, v14
	v_fma_f32 v18, 0xbfb8aa3b, v14, -v17
	v_rndne_f32_e32 v19, v17
	s_delay_alu instid0(VALU_DEP_1) | instskip(NEXT) | instid1(VALU_DEP_1)
	v_dual_fmac_f32 v18, 0xb2a5705f, v14 :: v_dual_sub_f32 v17, v17, v19
	v_add_f32_e32 v17, v17, v18
	v_cvt_i32_f32_e32 v18, v19
	s_delay_alu instid0(VALU_DEP_2) | instskip(SKIP_1) | instid1(TRANS32_DEP_1)
	v_exp_f32_e32 v17, v17
	v_nop
	v_ldexp_f32 v17, v17, v18
	s_delay_alu instid0(VALU_DEP_1) | instskip(SKIP_1) | instid1(VALU_DEP_2)
	v_cndmask_b32_e32 v17, 0, v17, vcc_lo
	v_cmp_ngt_f32_e32 vcc_lo, 0xc2b17218, v14
	v_cndmask_b32_e32 v14, 0x7f800000, v17, vcc_lo
	s_delay_alu instid0(VALU_DEP_1) | instskip(NEXT) | instid1(VALU_DEP_1)
	v_add_f32_e32 v14, 1.0, v14
	v_div_scale_f32 v17, null, v14, v14, 1.0
	s_wait_xcnt 0x5
	v_div_scale_f32 v20, vcc_lo, 1.0, v14, 1.0
	s_delay_alu instid0(VALU_DEP_2) | instskip(SKIP_1) | instid1(TRANS32_DEP_1)
	v_rcp_f32_e32 v18, v17
	v_nop
	v_fma_f32 v19, -v17, v18, 1.0
	s_delay_alu instid0(VALU_DEP_1) | instskip(NEXT) | instid1(VALU_DEP_1)
	v_fmac_f32_e32 v18, v19, v18
	v_mul_f32_e32 v19, v20, v18
	s_wait_xcnt 0x4
	s_delay_alu instid0(VALU_DEP_1) | instskip(NEXT) | instid1(VALU_DEP_1)
	v_fma_f32 v21, -v17, v19, v20
	v_fmac_f32_e32 v19, v21, v18
	s_delay_alu instid0(VALU_DEP_1) | instskip(NEXT) | instid1(VALU_DEP_1)
	v_fma_f32 v17, -v17, v19, v20
	v_div_fmas_f32 v17, v17, v18, v19
	s_delay_alu instid0(VALU_DEP_1) | instskip(NEXT) | instid1(VALU_DEP_1)
	v_div_fixup_f32 v14, v17, v14, 1.0
	v_fma_f32 v2, v3, v14, v2
	s_delay_alu instid0(VALU_DEP_1) | instskip(SKIP_2) | instid1(SALU_CYCLE_1)
	v_cmp_ngt_f32_e64 s35, 0x3f200000, |v2|
	s_wait_xcnt 0x0
	s_and_saveexec_b32 s36, s35
	s_xor_b32 s35, exec_lo, s36
	s_cbranch_execz .LBB36_7
; %bb.6:                                ;   in Loop: Header=BB36_3 Depth=1
	v_add_f32_e64 v4, |v2|, |v2|
	s_delay_alu instid0(VALU_DEP_1) | instskip(SKIP_1) | instid1(VALU_DEP_2)
	v_mul_f32_e32 v5, 0x3fb8aa3b, v4
	v_cmp_ngt_f32_e32 vcc_lo, 0xc2ce8ed0, v4
	v_rndne_f32_e32 v17, v5
	v_fma_f32 v18, 0x3fb8aa3b, v4, -v5
	s_delay_alu instid0(VALU_DEP_1) | instskip(SKIP_1) | instid1(VALU_DEP_2)
	v_dual_sub_f32 v5, v5, v17 :: v_dual_fmac_f32 v18, 0x32a5705f, v4
	v_cvt_i32_f32_e32 v17, v17
	v_add_f32_e32 v5, v5, v18
	s_delay_alu instid0(VALU_DEP_1) | instskip(SKIP_1) | instid1(TRANS32_DEP_1)
	v_exp_f32_e32 v5, v5
	v_nop
	v_ldexp_f32 v5, v5, v17
	s_delay_alu instid0(VALU_DEP_1) | instskip(SKIP_1) | instid1(VALU_DEP_2)
	v_cndmask_b32_e32 v5, 0, v5, vcc_lo
	v_cmp_nlt_f32_e32 vcc_lo, 0x42b17218, v4
	v_cndmask_b32_e32 v4, 0x7f800000, v5, vcc_lo
	s_delay_alu instid0(VALU_DEP_1) | instskip(NEXT) | instid1(VALU_DEP_1)
	v_add_f32_e32 v4, 1.0, v4
	v_rcp_f32_e32 v4, v4
	v_nop
	s_delay_alu instid0(TRANS32_DEP_1)
	v_fma_f32 v4, v4, -2.0, 1.0
.LBB36_7:                               ;   in Loop: Header=BB36_3 Depth=1
	s_and_not1_saveexec_b32 s35, s35
	s_cbranch_execz .LBB36_2
; %bb.8:                                ;   in Loop: Header=BB36_3 Depth=1
	v_mul_f32_e32 v4, v2, v2
	s_delay_alu instid0(VALU_DEP_1) | instskip(NEXT) | instid1(VALU_DEP_1)
	v_fmaak_f32 v5, s0, v4, 0x3ca908c9
	v_fmaak_f32 v5, v4, v5, 0xbd5c1c4e
	s_delay_alu instid0(VALU_DEP_1) | instskip(NEXT) | instid1(VALU_DEP_1)
	v_fmaak_f32 v5, v4, v5, 0x3e088382
	v_fmaak_f32 v5, v4, v5, 0xbeaaaa99
	s_delay_alu instid0(VALU_DEP_1) | instskip(NEXT) | instid1(VALU_DEP_1)
	v_mul_f32_e64 v5, |v2|, v5
	v_fma_f32 v4, v4, v5, |v2|
	s_branch .LBB36_2
.LBB36_9:
	s_endpgm
	.section	.rodata,"a",@progbits
	.p2align	6, 0x0
	.amdhsa_kernel _ZN2at6native12_GLOBAL__N_16kernel16gru_cell_forwardIffiLi1EEEvNS_4cuda6detail10TensorInfoIT_T1_EES9_S9_S9_S9_S9_S9_S8_S8_
		.amdhsa_group_segment_fixed_size 0
		.amdhsa_private_segment_fixed_size 0
		.amdhsa_kernarg_size 1776
		.amdhsa_user_sgpr_count 2
		.amdhsa_user_sgpr_dispatch_ptr 0
		.amdhsa_user_sgpr_queue_ptr 0
		.amdhsa_user_sgpr_kernarg_segment_ptr 1
		.amdhsa_user_sgpr_dispatch_id 0
		.amdhsa_user_sgpr_kernarg_preload_length 0
		.amdhsa_user_sgpr_kernarg_preload_offset 0
		.amdhsa_user_sgpr_private_segment_size 0
		.amdhsa_wavefront_size32 1
		.amdhsa_uses_dynamic_stack 0
		.amdhsa_enable_private_segment 0
		.amdhsa_system_sgpr_workgroup_id_x 1
		.amdhsa_system_sgpr_workgroup_id_y 0
		.amdhsa_system_sgpr_workgroup_id_z 0
		.amdhsa_system_sgpr_workgroup_info 0
		.amdhsa_system_vgpr_workitem_id 0
		.amdhsa_next_free_vgpr 26
		.amdhsa_next_free_sgpr 37
		.amdhsa_named_barrier_count 0
		.amdhsa_reserve_vcc 1
		.amdhsa_float_round_mode_32 0
		.amdhsa_float_round_mode_16_64 0
		.amdhsa_float_denorm_mode_32 3
		.amdhsa_float_denorm_mode_16_64 3
		.amdhsa_fp16_overflow 0
		.amdhsa_memory_ordered 1
		.amdhsa_forward_progress 1
		.amdhsa_inst_pref_size 15
		.amdhsa_round_robin_scheduling 0
		.amdhsa_exception_fp_ieee_invalid_op 0
		.amdhsa_exception_fp_denorm_src 0
		.amdhsa_exception_fp_ieee_div_zero 0
		.amdhsa_exception_fp_ieee_overflow 0
		.amdhsa_exception_fp_ieee_underflow 0
		.amdhsa_exception_fp_ieee_inexact 0
		.amdhsa_exception_int_div_zero 0
	.end_amdhsa_kernel
	.section	.text._ZN2at6native12_GLOBAL__N_16kernel16gru_cell_forwardIffiLi1EEEvNS_4cuda6detail10TensorInfoIT_T1_EES9_S9_S9_S9_S9_S9_S8_S8_,"axG",@progbits,_ZN2at6native12_GLOBAL__N_16kernel16gru_cell_forwardIffiLi1EEEvNS_4cuda6detail10TensorInfoIT_T1_EES9_S9_S9_S9_S9_S9_S8_S8_,comdat
.Lfunc_end36:
	.size	_ZN2at6native12_GLOBAL__N_16kernel16gru_cell_forwardIffiLi1EEEvNS_4cuda6detail10TensorInfoIT_T1_EES9_S9_S9_S9_S9_S9_S8_S8_, .Lfunc_end36-_ZN2at6native12_GLOBAL__N_16kernel16gru_cell_forwardIffiLi1EEEvNS_4cuda6detail10TensorInfoIT_T1_EES9_S9_S9_S9_S9_S9_S8_S8_
                                        ; -- End function
	.set _ZN2at6native12_GLOBAL__N_16kernel16gru_cell_forwardIffiLi1EEEvNS_4cuda6detail10TensorInfoIT_T1_EES9_S9_S9_S9_S9_S9_S8_S8_.num_vgpr, 26
	.set _ZN2at6native12_GLOBAL__N_16kernel16gru_cell_forwardIffiLi1EEEvNS_4cuda6detail10TensorInfoIT_T1_EES9_S9_S9_S9_S9_S9_S8_S8_.num_agpr, 0
	.set _ZN2at6native12_GLOBAL__N_16kernel16gru_cell_forwardIffiLi1EEEvNS_4cuda6detail10TensorInfoIT_T1_EES9_S9_S9_S9_S9_S9_S8_S8_.numbered_sgpr, 37
	.set _ZN2at6native12_GLOBAL__N_16kernel16gru_cell_forwardIffiLi1EEEvNS_4cuda6detail10TensorInfoIT_T1_EES9_S9_S9_S9_S9_S9_S8_S8_.num_named_barrier, 0
	.set _ZN2at6native12_GLOBAL__N_16kernel16gru_cell_forwardIffiLi1EEEvNS_4cuda6detail10TensorInfoIT_T1_EES9_S9_S9_S9_S9_S9_S8_S8_.private_seg_size, 0
	.set _ZN2at6native12_GLOBAL__N_16kernel16gru_cell_forwardIffiLi1EEEvNS_4cuda6detail10TensorInfoIT_T1_EES9_S9_S9_S9_S9_S9_S8_S8_.uses_vcc, 1
	.set _ZN2at6native12_GLOBAL__N_16kernel16gru_cell_forwardIffiLi1EEEvNS_4cuda6detail10TensorInfoIT_T1_EES9_S9_S9_S9_S9_S9_S8_S8_.uses_flat_scratch, 0
	.set _ZN2at6native12_GLOBAL__N_16kernel16gru_cell_forwardIffiLi1EEEvNS_4cuda6detail10TensorInfoIT_T1_EES9_S9_S9_S9_S9_S9_S8_S8_.has_dyn_sized_stack, 0
	.set _ZN2at6native12_GLOBAL__N_16kernel16gru_cell_forwardIffiLi1EEEvNS_4cuda6detail10TensorInfoIT_T1_EES9_S9_S9_S9_S9_S9_S8_S8_.has_recursion, 0
	.set _ZN2at6native12_GLOBAL__N_16kernel16gru_cell_forwardIffiLi1EEEvNS_4cuda6detail10TensorInfoIT_T1_EES9_S9_S9_S9_S9_S9_S8_S8_.has_indirect_call, 0
	.section	.AMDGPU.csdata,"",@progbits
; Kernel info:
; codeLenInByte = 1920
; TotalNumSgprs: 39
; NumVgprs: 26
; ScratchSize: 0
; MemoryBound: 0
; FloatMode: 240
; IeeeMode: 1
; LDSByteSize: 0 bytes/workgroup (compile time only)
; SGPRBlocks: 0
; VGPRBlocks: 1
; NumSGPRsForWavesPerEU: 39
; NumVGPRsForWavesPerEU: 26
; NamedBarCnt: 0
; Occupancy: 16
; WaveLimiterHint : 1
; COMPUTE_PGM_RSRC2:SCRATCH_EN: 0
; COMPUTE_PGM_RSRC2:USER_SGPR: 2
; COMPUTE_PGM_RSRC2:TRAP_HANDLER: 0
; COMPUTE_PGM_RSRC2:TGID_X_EN: 1
; COMPUTE_PGM_RSRC2:TGID_Y_EN: 0
; COMPUTE_PGM_RSRC2:TGID_Z_EN: 0
; COMPUTE_PGM_RSRC2:TIDIG_COMP_CNT: 0
	.section	.text._ZN2at6native12_GLOBAL__N_16kernel16gru_cell_forwardIffiLi2EEEvNS_4cuda6detail10TensorInfoIT_T1_EES9_S9_S9_S9_S9_S9_S8_S8_,"axG",@progbits,_ZN2at6native12_GLOBAL__N_16kernel16gru_cell_forwardIffiLi2EEEvNS_4cuda6detail10TensorInfoIT_T1_EES9_S9_S9_S9_S9_S9_S8_S8_,comdat
	.globl	_ZN2at6native12_GLOBAL__N_16kernel16gru_cell_forwardIffiLi2EEEvNS_4cuda6detail10TensorInfoIT_T1_EES9_S9_S9_S9_S9_S9_S8_S8_ ; -- Begin function _ZN2at6native12_GLOBAL__N_16kernel16gru_cell_forwardIffiLi2EEEvNS_4cuda6detail10TensorInfoIT_T1_EES9_S9_S9_S9_S9_S9_S8_S8_
	.p2align	8
	.type	_ZN2at6native12_GLOBAL__N_16kernel16gru_cell_forwardIffiLi2EEEvNS_4cuda6detail10TensorInfoIT_T1_EES9_S9_S9_S9_S9_S9_S8_S8_,@function
_ZN2at6native12_GLOBAL__N_16kernel16gru_cell_forwardIffiLi2EEEvNS_4cuda6detail10TensorInfoIT_T1_EES9_S9_S9_S9_S9_S9_S8_S8_: ; @_ZN2at6native12_GLOBAL__N_16kernel16gru_cell_forwardIffiLi2EEEvNS_4cuda6detail10TensorInfoIT_T1_EES9_S9_S9_S9_S9_S9_S8_S8_
; %bb.0:
	s_clause 0x1
	s_load_b32 s2, s[0:1], 0x5fc
	s_load_b64 s[4:5], s[0:1], 0x5e8
	s_bfe_u32 s3, ttmp6, 0x4000c
	s_and_b32 s6, ttmp6, 15
	s_add_co_i32 s3, s3, 1
	s_getreg_b32 s7, hwreg(HW_REG_IB_STS2, 6, 4)
	s_mul_i32 s3, ttmp9, s3
	s_delay_alu instid0(SALU_CYCLE_1)
	s_add_co_i32 s6, s6, s3
	s_wait_kmcnt 0x0
	s_and_b32 s2, s2, 0xffff
	s_cmp_eq_u32 s7, 0
	s_mov_b32 s7, 0
	s_cselect_b32 s3, ttmp9, s6
	s_delay_alu instid0(SALU_CYCLE_1) | instskip(SKIP_1) | instid1(VALU_DEP_1)
	v_mad_u32 v6, s3, s2, v0
	s_mov_b32 s3, exec_lo
	v_cmpx_gt_i32_e64 s5, v6
	s_cbranch_execz .LBB37_9
; %bb.1:
	s_clause 0x1
	s_load_b64 s[8:9], s[0:1], 0x1b0
	s_load_b32 s3, s[0:1], 0xc
	s_add_nc_u64 s[22:23], s[0:1], 0x5f0
	s_clause 0x5
	s_load_b64 s[10:11], s[0:1], 0x0
	s_load_b64 s[12:13], s[0:1], 0x6c
	;; [unrolled: 1-line block ×3, first 2 shown]
	s_load_b32 s33, s[0:1], 0xe4
	s_load_b64 s[16:17], s[0:1], 0x144
	s_load_b32 s44, s[0:1], 0x21c
	s_load_b32 s50, s[22:23], 0x0
	s_clause 0x3
	s_load_b64 s[18:19], s[0:1], 0x288
	s_load_b32 s45, s[0:1], 0x2f4
	s_load_b64 s[20:21], s[0:1], 0x360
	s_load_b32 s64, s[0:1], 0x36c
	s_wait_xcnt 0x0
	s_clause 0x6
	s_load_b64 s[22:23], s[0:1], 0x3cc
	s_load_b64 s[24:25], s[0:1], 0x438
	s_load_b32 s65, s[0:1], 0x444
	s_load_b64 s[26:27], s[0:1], 0x4a4
	s_load_b64 s[28:29], s[0:1], 0x510
	s_load_b32 s49, s[0:1], 0x51c
	s_load_b64 s[30:31], s[0:1], 0x57c
	s_mov_b32 s35, s7
	s_mov_b32 s39, s7
	;; [unrolled: 1-line block ×5, first 2 shown]
	s_wait_kmcnt 0x0
	s_mul_i32 s50, s50, s2
	s_cmp_lg_u64 s[8:9], 0
	s_cselect_b32 s46, -1, 0
	s_abs_i32 s47, s4
	s_abs_i32 s48, s3
	s_cvt_f32_u32 s6, s47
	s_cvt_f32_u32 s34, s48
	s_abs_i32 s52, s33
	s_abs_i32 s54, s64
	v_rcp_iflag_f32_e32 v0, s6
	v_rcp_iflag_f32_e32 v1, s34
	s_cvt_f32_u32 s0, s52
	s_sub_co_i32 s6, 0, s47
	s_sub_co_i32 s34, 0, s48
	s_abs_i32 s55, s65
	s_abs_i32 s57, s49
	v_readfirstlane_b32 s1, v0
	v_readfirstlane_b32 s2, v1
	v_rcp_iflag_f32_e32 v0, s0
	s_sub_co_i32 s36, 0, s52
	s_sub_co_i32 s37, 0, s54
	s_mul_f32 s0, s1, 0x4f7ffffe
	s_mul_f32 s1, s2, 0x4f7ffffe
	s_cvt_f32_u32 s2, s54
	s_sub_co_i32 s41, 0, s57
	s_cvt_u32_f32 s0, s0
	s_cvt_u32_f32 s1, s1
	v_rcp_iflag_f32_e32 v1, s2
	v_nop
	v_readfirstlane_b32 s2, v0
	s_mul_i32 s6, s6, s0
	s_mul_i32 s34, s34, s1
	s_mul_hi_u32 s6, s0, s6
	s_mul_hi_u32 s34, s1, s34
	s_add_co_i32 s6, s0, s6
	s_mul_f32 s0, s2, 0x4f7ffffe
	s_cvt_f32_u32 s2, s55
	s_add_co_i32 s34, s1, s34
	v_readfirstlane_b32 s1, v1
	s_cvt_u32_f32 s0, s0
	v_rcp_iflag_f32_e32 v0, s2
	s_cvt_f32_u32 s2, s57
	s_ashr_i32 s51, s4, 31
	s_mul_f32 s1, s1, 0x4f7ffffe
	s_mul_i32 s36, s36, s0
	v_rcp_iflag_f32_e32 v1, s2
	s_mul_hi_u32 s36, s0, s36
	v_nop
	v_readfirstlane_b32 s2, v0
	s_cvt_u32_f32 s1, s1
	s_add_co_i32 s36, s0, s36
	s_ashr_i32 s53, s3, 31
	s_ashr_i32 s56, s33, 31
	v_readfirstlane_b32 s40, v1
	s_mul_i32 s0, s37, s1
	s_mul_f32 s2, s2, 0x4f7ffffe
	s_mul_hi_u32 s0, s1, s0
	v_mov_b32_e32 v1, 0
	s_add_co_i32 s38, s1, s0
	s_cvt_u32_f32 s0, s2
	s_mul_f32 s1, s40, 0x4f7ffffe
	s_sub_co_i32 s2, 0, s55
	s_mov_b32 s37, s7
	s_mul_i32 s2, s2, s0
	s_cvt_u32_f32 s1, s1
	s_mul_hi_u32 s2, s0, s2
	s_ashr_i32 s58, s64, 31
	s_add_co_i32 s40, s0, s2
	s_mul_i32 s0, s41, s1
	s_ashr_i32 s59, s65, 31
	s_mul_hi_u32 s0, s1, s0
	s_mov_b32 s41, s7
	s_ashr_i32 s60, s49, 31
	s_add_co_i32 s42, s1, s0
	s_lshl_b32 s61, s4, 1
	s_lshl_b32 s62, s4, 2
	s_sub_co_i32 s63, 0, s4
	s_sub_co_i32 s64, 0, s64
	;; [unrolled: 1-line block ×3, first 2 shown]
	s_branch .LBB37_3
.LBB37_2:                               ;   in Loop: Header=BB37_3 Depth=1
	s_or_b32 exec_lo, exec_lo, s0
	v_mul_u64_e32 v[18:19], s[40:41], v[0:1]
	v_mul_lo_u32 v5, s62, v12
	v_bfi_b32 v2, 0x7fffffff, v4, v2
	v_dual_lshlrev_b32 v8, 2, v8 :: v_dual_lshlrev_b32 v9, 2, v9
	s_delay_alu instid0(VALU_DEP_3) | instskip(SKIP_1) | instid1(VALU_DEP_1)
	v_dual_add_nc_u32 v12, v6, v5 :: v_dual_bitop2_b32 v7, s59, v7 bitop3:0x14
	v_mul_lo_u32 v17, v19, s55
	v_dual_ashrrev_i32 v18, 31, v12 :: v_dual_sub_nc_u32 v17, v0, v17
	s_delay_alu instid0(VALU_DEP_1) | instskip(NEXT) | instid1(VALU_DEP_2)
	v_add3_u32 v12, v18, v5, v6
	v_subrev_nc_u32_e32 v32, s55, v17
	s_delay_alu instid0(VALU_DEP_2) | instskip(NEXT) | instid1(VALU_DEP_1)
	v_xor_b32_e32 v0, v12, v18
	v_mul_u64_e32 v[20:21], s[42:43], v[0:1]
	v_sub_nc_u32_e32 v20, v9, v8
	s_delay_alu instid0(VALU_DEP_2) | instskip(NEXT) | instid1(VALU_DEP_1)
	v_mul_lo_u32 v9, v21, s57
	v_dual_sub_nc_u32 v26, v0, v9 :: v_dual_bitop2_b32 v8, 1, v20 bitop3:0x54
	s_delay_alu instid0(VALU_DEP_1) | instskip(NEXT) | instid1(VALU_DEP_1)
	v_mul_lo_u32 v24, s4, v8
	v_add_nc_u32_e32 v8, v6, v24
	s_delay_alu instid0(VALU_DEP_1) | instskip(NEXT) | instid1(VALU_DEP_1)
	v_ashrrev_i32_e32 v25, 31, v8
	v_add3_u32 v8, v25, v24, v6
	s_delay_alu instid0(VALU_DEP_1) | instskip(NEXT) | instid1(VALU_DEP_1)
	v_xor_b32_e32 v0, v8, v25
	v_mul_u64_e32 v[8:9], s[42:43], v[0:1]
	v_or_b32_e32 v8, 2, v20
	s_delay_alu instid0(VALU_DEP_1) | instskip(NEXT) | instid1(VALU_DEP_1)
	v_mul_lo_u32 v8, s4, v8
	v_add_nc_u32_e32 v12, v6, v8
	s_delay_alu instid0(VALU_DEP_1) | instskip(NEXT) | instid1(VALU_DEP_1)
	v_ashrrev_i32_e32 v27, 31, v12
	v_add3_u32 v12, v27, v8, v6
	v_mul_lo_u32 v22, v9, s57
	s_delay_alu instid0(VALU_DEP_1) | instskip(NEXT) | instid1(VALU_DEP_3)
	v_sub_nc_u32_e32 v28, v0, v22
	v_xor_b32_e32 v0, v12, v27
	v_dual_add_nc_u32 v20, 4, v20 :: v_dual_bitop2_b32 v12, 3, v20 bitop3:0x54
	s_delay_alu instid0(VALU_DEP_2) | instskip(NEXT) | instid1(VALU_DEP_2)
	v_mul_u64_e32 v[22:23], s[42:43], v[0:1]
	v_mul_lo_u32 v22, s4, v12
	v_add_f32_e32 v12, v13, v14
	s_delay_alu instid0(VALU_DEP_4) | instskip(NEXT) | instid1(VALU_DEP_2)
	v_mul_lo_u32 v20, s4, v20
	v_dual_add_f32 v12, v12, v15 :: v_dual_add_nc_u32 v13, v6, v22
	s_delay_alu instid0(VALU_DEP_1) | instskip(NEXT) | instid1(VALU_DEP_1)
	v_dual_add_f32 v14, v12, v16 :: v_dual_ashrrev_i32 v16, 31, v13
	v_add3_u32 v15, v16, v22, v6
	v_mul_lo_u32 v12, v23, s57
	s_delay_alu instid0(VALU_DEP_1) | instskip(NEXT) | instid1(VALU_DEP_3)
	v_sub_nc_u32_e32 v31, v0, v12
	v_xor_b32_e32 v0, v15, v16
	v_mul_f32_e32 v13, 0xbfb8aa3b, v14
	v_cmp_nlt_f32_e32 vcc_lo, 0x42ce8ed0, v14
	s_delay_alu instid0(VALU_DEP_2) | instskip(SKIP_1) | instid1(VALU_DEP_2)
	v_rndne_f32_e32 v30, v13
	v_fma_f32 v29, 0xbfb8aa3b, v14, -v13
	v_sub_f32_e32 v15, v13, v30
	v_mul_u64_e32 v[12:13], s[42:43], v[0:1]
	s_delay_alu instid0(VALU_DEP_3) | instskip(NEXT) | instid1(VALU_DEP_1)
	v_fmac_f32_e32 v29, 0xb2a5705f, v14
	v_add_f32_e32 v12, v15, v29
	v_cvt_i32_f32_e32 v15, v30
	s_delay_alu instid0(VALU_DEP_2) | instskip(SKIP_1) | instid1(TRANS32_DEP_1)
	v_exp_f32_e32 v12, v12
	v_nop
	v_ldexp_f32 v12, v12, v15
	s_delay_alu instid0(VALU_DEP_1) | instskip(SKIP_3) | instid1(VALU_DEP_1)
	v_cndmask_b32_e32 v12, 0, v12, vcc_lo
	v_cmp_ngt_f32_e32 vcc_lo, 0xc2b17218, v14
	v_mul_lo_u32 v15, v13, s57
	v_add_nc_u32_e32 v14, v6, v20
	v_ashrrev_i32_e32 v30, 31, v14
	v_cndmask_b32_e32 v12, 0x7f800000, v12, vcc_lo
	v_cmp_le_u32_e32 vcc_lo, s55, v17
	v_add_nc_u32_e32 v14, 1, v19
	s_delay_alu instid0(VALU_DEP_4) | instskip(NEXT) | instid1(VALU_DEP_2)
	v_add3_u32 v34, v30, v20, v6
	v_dual_cndmask_b32 v17, v17, v32, vcc_lo :: v_dual_cndmask_b32 v19, v19, v14, vcc_lo
	v_sub_nc_u32_e32 v32, v0, v15
	s_delay_alu instid0(VALU_DEP_2) | instskip(NEXT) | instid1(VALU_DEP_3)
	v_cmp_le_u32_e64 s0, s55, v17
	v_dual_add_f32 v12, 1.0, v12 :: v_dual_add_nc_u32 v35, 1, v19
	v_xor_b32_e32 v0, v34, v30
	s_delay_alu instid0(VALU_DEP_2) | instskip(SKIP_1) | instid1(VALU_DEP_2)
	v_div_scale_f32 v29, null, v12, v12, 1.0
	v_div_scale_f32 v36, vcc_lo, 1.0, v12, 1.0
	v_rcp_f32_e32 v33, v29
	v_nop
	s_delay_alu instid0(TRANS32_DEP_1) | instskip(NEXT) | instid1(VALU_DEP_1)
	v_fma_f32 v34, -v29, v33, 1.0
	v_dual_fmac_f32 v33, v34, v33 :: v_dual_cndmask_b32 v17, v19, v35, s0
	v_mul_u64_e32 v[14:15], s[42:43], v[0:1]
	v_xor_b32_e32 v14, s60, v18
	v_subrev_nc_u32_e32 v35, s57, v26
	s_delay_alu instid0(VALU_DEP_4) | instskip(SKIP_3) | instid1(VALU_DEP_4)
	v_mul_f32_e32 v19, v36, v33
	v_xor_b32_e32 v18, s60, v25
	v_dual_add_nc_u32 v27, 1, v21 :: v_dual_bitop2_b32 v25, s60, v27 bitop3:0x14
	v_cmp_le_u32_e64 s0, s57, v26
	v_dual_fma_f32 v34, -v29, v19, v36 :: v_dual_bitop2_b32 v16, s60, v16 bitop3:0x14
	v_xor_b32_e32 v17, v17, v7
	s_delay_alu instid0(VALU_DEP_3) | instskip(SKIP_1) | instid1(VALU_DEP_4)
	v_cndmask_b32_e64 v21, v21, v27, s0
	v_cndmask_b32_e64 v26, v26, v35, s0
	v_fmac_f32_e32 v19, v34, v33
	s_delay_alu instid0(VALU_DEP_4) | instskip(NEXT) | instid1(VALU_DEP_4)
	v_dual_add_nc_u32 v34, 1, v9 :: v_dual_sub_nc_u32 v7, v17, v7
	v_dual_add_nc_u32 v27, 1, v21 :: v_dual_bitop2_b32 v17, s60, v30 bitop3:0x14
	s_delay_alu instid0(VALU_DEP_4) | instskip(SKIP_3) | instid1(VALU_DEP_4)
	v_cmp_le_u32_e64 s0, s57, v26
	v_subrev_nc_u32_e32 v26, s57, v28
	v_fma_f32 v29, -v29, v19, v36
	v_mad_u32 v30, s65, v7, v6
	v_cndmask_b32_e64 v21, v21, v27, s0
	v_cmp_le_u32_e64 s0, s57, v28
	s_delay_alu instid0(VALU_DEP_4)
	v_div_fmas_f32 v19, v29, v33, v19
	v_add_nc_u32_e32 v29, 1, v23
	v_cmp_le_u32_e32 vcc_lo, s57, v31
	v_subrev_nc_u32_e32 v33, s57, v31
	v_cndmask_b32_e64 v9, v9, v34, s0
	v_cndmask_b32_e64 v26, v28, v26, s0
	v_mul_lo_u32 v27, v15, s57
	v_dual_cndmask_b32 v23, v23, v29, vcc_lo :: v_dual_bitop2_b32 v21, v21, v14 bitop3:0x14
	s_delay_alu instid0(VALU_DEP_4) | instskip(NEXT) | instid1(VALU_DEP_4)
	v_add_nc_u32_e32 v28, 1, v9
	v_cmp_le_u32_e64 s0, s57, v26
	v_add_nc_u32_e32 v26, 1, v13
	v_div_fixup_f32 v12, v19, v12, 1.0
	v_mul_lo_u32 v19, v30, s27
	v_sub_nc_u32_e32 v14, v21, v14
	v_dual_cndmask_b32 v9, v9, v28, s0 :: v_dual_cndmask_b32 v28, v31, v33, vcc_lo
	v_sub_nc_u32_e32 v0, v0, v27
	v_cmp_le_u32_e32 vcc_lo, s57, v32
	v_add_nc_u32_e32 v27, 1, v15
	s_delay_alu instid0(VALU_DEP_3)
	v_cmp_le_u32_e64 s0, s57, v0
	v_cndmask_b32_e32 v13, v13, v26, vcc_lo
	v_subrev_nc_u32_e32 v26, s57, v32
	v_subrev_nc_u32_e32 v29, s57, v0
	v_mad_u32 v7, v7, s26, v19
	v_cndmask_b32_e64 v15, v15, v27, s0
	s_delay_alu instid0(VALU_DEP_4) | instskip(SKIP_2) | instid1(VALU_DEP_4)
	v_dual_cndmask_b32 v26, v32, v26 :: v_dual_add_nc_u32 v27, 1, v23
	v_cmp_le_u32_e32 vcc_lo, s57, v28
	v_add_nc_u32_e32 v31, 1, v13
	v_dual_cndmask_b32 v0, v0, v29, s0 :: v_dual_add_nc_u32 v29, 1, v15
	s_delay_alu instid0(VALU_DEP_4) | instskip(SKIP_1) | instid1(VALU_DEP_4)
	v_cndmask_b32_e32 v23, v23, v27, vcc_lo
	v_cmp_le_u32_e32 vcc_lo, s57, v26
	v_cndmask_b32_e32 v13, v13, v31, vcc_lo
	s_delay_alu instid0(VALU_DEP_4) | instskip(SKIP_2) | instid1(VALU_DEP_1)
	v_cmp_le_u32_e32 vcc_lo, s57, v0
	v_cndmask_b32_e32 v0, v15, v29, vcc_lo
	v_xor_b32_e32 v15, v23, v25
	v_dual_sub_nc_u32 v15, v15, v25 :: v_dual_bitop2_b32 v9, v9, v18 bitop3:0x14
	s_delay_alu instid0(VALU_DEP_1) | instskip(SKIP_1) | instid1(VALU_DEP_3)
	v_dual_sub_nc_u32 v9, v9, v18 :: v_dual_bitop2_b32 v0, v0, v17 bitop3:0x14
	v_xor_b32_e32 v13, v13, v16
	v_mul_lo_u32 v18, v15, s49
	s_delay_alu instid0(VALU_DEP_3) | instskip(NEXT) | instid1(VALU_DEP_4)
	v_sub_nc_u32_e32 v0, v0, v17
	v_mul_lo_u32 v17, v9, s49
	s_delay_alu instid0(VALU_DEP_4) | instskip(SKIP_1) | instid1(VALU_DEP_4)
	v_sub_nc_u32_e32 v13, v13, v16
	v_mul_lo_u32 v16, v14, s49
	v_mul_lo_u32 v23, v0, s49
	v_sub_nc_u32_e32 v8, v8, v18
	v_dual_sub_f32 v18, v10, v2 :: v_dual_sub_nc_u32 v4, v24, v17
	v_mul_lo_u32 v21, v13, s49
	s_delay_alu instid0(VALU_DEP_4) | instskip(NEXT) | instid1(VALU_DEP_3)
	v_dual_sub_nc_u32 v5, v5, v16 :: v_dual_sub_nc_u32 v17, v20, v23
	v_add_nc_u32_e32 v4, v6, v4
	s_delay_alu instid0(VALU_DEP_2) | instskip(NEXT) | instid1(VALU_DEP_3)
	v_dual_add_nc_u32 v8, v6, v8 :: v_dual_add_nc_u32 v5, v6, v5
	v_dual_fma_f32 v18, v12, v18, v2 :: v_dual_add_nc_u32 v17, v6, v17
	s_delay_alu instid0(VALU_DEP_3) | instskip(NEXT) | instid1(VALU_DEP_3)
	v_mul_lo_u32 v4, v4, s31
	v_mul_lo_u32 v8, v8, s31
	v_sub_nc_u32_e32 v16, v22, v21
	v_mul_lo_u32 v5, v5, s31
	v_mul_lo_u32 v17, v17, s31
	s_delay_alu instid0(VALU_DEP_3) | instskip(SKIP_1) | instid1(VALU_DEP_2)
	v_dual_add_nc_u32 v16, v6, v16 :: v_dual_add_nc_u32 v6, s50, v6
	v_mad_u32 v4, v9, s30, v4
	v_mul_lo_u32 v16, v16, s31
	v_mad_u32 v8, v15, s30, v8
	v_mad_u32 v5, v14, s30, v5
	;; [unrolled: 1-line block ×3, first 2 shown]
	v_cmp_le_i32_e32 vcc_lo, s5, v6
	global_store_b32 v7, v18, s[24:25] scale_offset
	s_clause 0x2
	global_store_b32 v5, v11, s[28:29] scale_offset
	global_store_b32 v4, v12, s[28:29] scale_offset
	;; [unrolled: 1-line block ×3, first 2 shown]
	v_mad_u32 v9, v13, s30, v16
	s_or_b32 s67, vcc_lo, s67
	s_clause 0x1
	global_store_b32 v9, v10, s[28:29] scale_offset
	global_store_b32 v0, v3, s[28:29] scale_offset
	s_wait_xcnt 0x0
	s_and_not1_b32 exec_lo, exec_lo, s67
	s_cbranch_execz .LBB37_9
.LBB37_3:                               ; =>This Inner Loop Header: Depth=1
	v_dual_sub_nc_u32 v0, 0, v6 :: v_dual_ashrrev_i32 v7, 31, v6
	s_delay_alu instid0(VALU_DEP_1) | instskip(NEXT) | instid1(VALU_DEP_1)
	v_dual_mov_b32 v11, v1 :: v_dual_max_i32 v0, v6, v0
	v_mul_u64_e32 v[2:3], s[6:7], v[0:1]
	s_delay_alu instid0(VALU_DEP_1) | instskip(NEXT) | instid1(VALU_DEP_1)
	v_mul_lo_u32 v2, v3, s47
	v_dual_add_nc_u32 v4, 1, v3 :: v_dual_sub_nc_u32 v2, v0, v2
	s_delay_alu instid0(VALU_DEP_1) | instskip(NEXT) | instid1(VALU_DEP_2)
	v_cmp_le_u32_e32 vcc_lo, s47, v2
	v_cndmask_b32_e32 v3, v3, v4, vcc_lo
	v_subrev_nc_u32_e32 v5, s47, v2
	s_delay_alu instid0(VALU_DEP_1) | instskip(SKIP_1) | instid1(VALU_DEP_2)
	v_dual_add_nc_u32 v4, 1, v3 :: v_dual_cndmask_b32 v2, v2, v5, vcc_lo
	v_mov_b32_e32 v5, v1
	v_cmp_le_u32_e32 vcc_lo, s47, v2
	s_delay_alu instid0(VALU_DEP_3) | instskip(NEXT) | instid1(VALU_DEP_1)
	v_dual_cndmask_b32 v2, v3, v4, vcc_lo :: v_dual_bitop2_b32 v8, s51, v7 bitop3:0x14
	v_dual_lshlrev_b32 v4, 1, v8 :: v_dual_bitop2_b32 v9, v2, v8 bitop3:0x14
	v_mul_u64_e32 v[2:3], s[38:39], v[0:1]
	s_delay_alu instid0(VALU_DEP_2) | instskip(NEXT) | instid1(VALU_DEP_1)
	v_dual_lshlrev_b32 v2, 1, v9 :: v_dual_sub_nc_u32 v12, v9, v8
	v_sub_nc_u32_e32 v2, v2, v4
	s_delay_alu instid0(VALU_DEP_2) | instskip(NEXT) | instid1(VALU_DEP_2)
	v_mul_lo_u32 v13, s61, v12
	v_dual_add_nc_u32 v2, 2, v2 :: v_dual_bitop2_b32 v4, 1, v2 bitop3:0x54
	s_delay_alu instid0(VALU_DEP_1) | instskip(NEXT) | instid1(VALU_DEP_2)
	v_mul_lo_u32 v26, s4, v4
	v_mul_lo_u32 v27, s4, v2
	s_delay_alu instid0(VALU_DEP_1) | instskip(NEXT) | instid1(VALU_DEP_1)
	v_dual_add_nc_u32 v2, v6, v13 :: v_dual_add_nc_u32 v4, v6, v27
	v_ashrrev_i32_e32 v28, 31, v2
	s_delay_alu instid0(VALU_DEP_2) | instskip(NEXT) | instid1(VALU_DEP_1)
	v_dual_add_nc_u32 v2, v6, v26 :: v_dual_ashrrev_i32 v30, 31, v4
	v_ashrrev_i32_e32 v29, 31, v2
	s_delay_alu instid0(VALU_DEP_3) | instskip(SKIP_1) | instid1(VALU_DEP_4)
	v_add3_u32 v10, v28, v13, v6
	v_mul_lo_u32 v2, v3, s54
	v_add3_u32 v14, v30, v27, v6
	s_delay_alu instid0(VALU_DEP_3) | instskip(SKIP_1) | instid1(VALU_DEP_3)
	v_xor_b32_e32 v4, v10, v28
	v_add3_u32 v10, v29, v26, v6
	v_dual_mov_b32 v15, v1 :: v_dual_bitop2_b32 v14, v14, v30 bitop3:0x14
	s_delay_alu instid0(VALU_DEP_3) | instskip(SKIP_1) | instid1(VALU_DEP_4)
	v_mul_u64_e32 v[16:17], s[34:35], v[4:5]
	v_mul_u64_e32 v[18:19], s[36:37], v[4:5]
	v_dual_sub_nc_u32 v5, v0, v2 :: v_dual_bitop2_b32 v10, v10, v29 bitop3:0x14
	v_add_nc_u32_e32 v2, 1, v3
	v_mul_u64_e32 v[22:23], s[34:35], v[14:15]
	s_delay_alu instid0(VALU_DEP_3) | instskip(NEXT) | instid1(VALU_DEP_4)
	v_mul_u64_e32 v[20:21], s[34:35], v[10:11]
	v_cmp_le_u32_e32 vcc_lo, s54, v5
	v_mul_u64_e32 v[24:25], s[36:37], v[10:11]
	v_xor_b32_e32 v24, s56, v30
	v_cndmask_b32_e32 v11, v3, v2, vcc_lo
	v_mul_u64_e32 v[2:3], s[36:37], v[14:15]
	v_subrev_nc_u32_e32 v16, s54, v5
	s_delay_alu instid0(VALU_DEP_1) | instskip(SKIP_1) | instid1(VALU_DEP_2)
	v_dual_cndmask_b32 v2, v5, v16 :: v_dual_add_nc_u32 v5, 1, v11
	v_xor_b32_e32 v16, s53, v29
	v_cmp_le_u32_e32 vcc_lo, s54, v2
	s_delay_alu instid0(VALU_DEP_3)
	v_dual_cndmask_b32 v2, v11, v5, vcc_lo :: v_dual_bitop2_b32 v15, s58, v7 bitop3:0x14
	v_xor_b32_e32 v5, s53, v28
	v_mul_lo_u32 v20, v17, s48
	v_xor_b32_e32 v11, s56, v28
	v_mul_lo_u32 v28, v19, s52
	v_xor_b32_e32 v18, s53, v30
	v_xor_b32_e32 v2, v2, v15
	;; [unrolled: 1-line block ×3, first 2 shown]
	v_add_nc_u32_e32 v29, 1, v17
	v_mul_lo_u32 v31, v21, s48
	v_mul_lo_u32 v33, v23, s48
	v_add_nc_u32_e32 v30, 1, v19
	v_mul_lo_u32 v35, v25, s52
	v_dual_sub_nc_u32 v20, v4, v20 :: v_dual_add_nc_u32 v32, 1, v21
	v_sub_nc_u32_e32 v4, v4, v28
	v_mul_lo_u32 v37, v3, s52
	v_add_nc_u32_e32 v34, 1, v23
	s_delay_alu instid0(VALU_DEP_4)
	v_subrev_nc_u32_e32 v38, s48, v20
	v_cmp_le_u32_e32 vcc_lo, s48, v20
	v_add_nc_u32_e32 v28, 1, v3
	v_cmp_le_u32_e64 s0, s52, v4
	v_sub_nc_u32_e32 v31, v10, v31
	v_dual_cndmask_b32 v17, v17, v29 :: v_dual_sub_nc_u32 v10, v10, v35
	v_cndmask_b32_e32 v20, v20, v38, vcc_lo
	s_delay_alu instid0(VALU_DEP_4)
	v_cndmask_b32_e64 v19, v19, v30, s0
	v_subrev_nc_u32_e32 v29, s52, v4
	v_add_nc_u32_e32 v36, 1, v25
	v_add_nc_u32_e32 v30, 1, v17
	v_cmp_le_u32_e32 vcc_lo, s48, v20
	v_sub_nc_u32_e32 v33, v14, v33
	v_cndmask_b32_e64 v4, v4, v29, s0
	v_dual_sub_nc_u32 v14, v14, v37 :: v_dual_add_nc_u32 v29, 1, v19
	v_cndmask_b32_e32 v17, v17, v30, vcc_lo
	v_cmp_le_u32_e32 vcc_lo, s48, v31
	v_cmp_le_u32_e64 s0, s48, v33
	v_cmp_le_u32_e64 s1, s52, v4
	v_subrev_nc_u32_e32 v30, s48, v33
	v_cmp_le_u32_e64 s2, s52, v14
	s_delay_alu instid0(VALU_DEP_4) | instskip(SKIP_4) | instid1(VALU_DEP_4)
	v_dual_cndmask_b32 v20, v21, v32, vcc_lo :: v_dual_cndmask_b32 v23, v23, v34, s0
	v_subrev_nc_u32_e32 v21, s48, v31
	v_cndmask_b32_e64 v4, v19, v29, s1
	v_cmp_le_u32_e64 s1, s52, v10
	v_dual_cndmask_b32 v3, v3, v28, s2 :: v_dual_bitop2_b32 v17, v17, v5 bitop3:0x14
	v_dual_cndmask_b32 v21, v31, v21, vcc_lo :: v_dual_add_nc_u32 v29, 1, v20
	s_delay_alu instid0(VALU_DEP_3) | instskip(SKIP_4) | instid1(VALU_DEP_4)
	v_cndmask_b32_e64 v19, v25, v36, s1
	v_subrev_nc_u32_e32 v25, s52, v10
	v_subrev_nc_u32_e32 v28, s52, v14
	v_dual_cndmask_b32 v30, v33, v30, s0 :: v_dual_add_nc_u32 v31, 1, v23
	v_cmp_le_u32_e32 vcc_lo, s48, v21
	v_dual_cndmask_b32 v10, v10, v25, s1 :: v_dual_bitop2_b32 v4, v4, v11 bitop3:0x14
	s_delay_alu instid0(VALU_DEP_4)
	v_dual_add_nc_u32 v25, 1, v19 :: v_dual_cndmask_b32 v14, v14, v28, s2
	v_dual_add_nc_u32 v28, 1, v3 :: v_dual_sub_nc_u32 v5, v17, v5
	v_cndmask_b32_e32 v17, v20, v29, vcc_lo
	v_cmp_le_u32_e32 vcc_lo, s48, v30
	v_sub_nc_u32_e32 v2, v2, v15
	v_cndmask_b32_e32 v20, v23, v31, vcc_lo
	v_cmp_le_u32_e32 vcc_lo, s52, v10
	v_dual_sub_nc_u32 v4, v4, v11 :: v_dual_cndmask_b32 v10, v19, v25, vcc_lo
	v_cmp_le_u32_e32 vcc_lo, s52, v14
	s_delay_alu instid0(VALU_DEP_4) | instskip(SKIP_2) | instid1(VALU_DEP_3)
	v_xor_b32_e32 v14, v20, v18
	v_xor_b32_e32 v11, v17, v16
	v_mul_lo_u32 v17, v5, s3
	v_dual_cndmask_b32 v3, v3, v28 :: v_dual_sub_nc_u32 v14, v14, v18
	s_delay_alu instid0(VALU_DEP_3) | instskip(SKIP_1) | instid1(VALU_DEP_3)
	v_dual_sub_nc_u32 v11, v11, v16 :: v_dual_bitop2_b32 v10, v10, v22 bitop3:0x14
	v_mul_lo_u32 v16, v4, s33
	v_xor_b32_e32 v3, v3, v24
	s_delay_alu instid0(VALU_DEP_4) | instskip(NEXT) | instid1(VALU_DEP_4)
	v_mul_lo_u32 v19, v14, s3
	v_sub_nc_u32_e32 v10, v10, v22
	v_mul_lo_u32 v18, v11, s3
	s_delay_alu instid0(VALU_DEP_4) | instskip(SKIP_1) | instid1(VALU_DEP_3)
	v_dual_sub_nc_u32 v17, v13, v17 :: v_dual_sub_nc_u32 v3, v3, v24
	s_and_not1_b32 vcc_lo, exec_lo, s46
	v_mul_lo_u32 v15, v10, s33
	s_delay_alu instid0(VALU_DEP_2) | instskip(NEXT) | instid1(VALU_DEP_3)
	v_mul_lo_u32 v20, v3, s33
	v_dual_sub_nc_u32 v13, v13, v16 :: v_dual_add_nc_u32 v17, v6, v17
	v_dual_sub_nc_u32 v19, v27, v19 :: v_dual_sub_nc_u32 v18, v26, v18
	v_mad_u32 v16, s64, v2, v6
	s_delay_alu instid0(VALU_DEP_3) | instskip(NEXT) | instid1(VALU_DEP_4)
	v_add_nc_u32_e32 v13, v6, v13
	v_mul_lo_u32 v17, v17, s13
	v_sub_nc_u32_e32 v15, v26, v15
	v_dual_add_nc_u32 v18, v6, v18 :: v_dual_add_nc_u32 v19, v6, v19
	v_sub_nc_u32_e32 v20, v27, v20
	v_mul_lo_u32 v13, v13, s17
	s_delay_alu instid0(VALU_DEP_4) | instskip(NEXT) | instid1(VALU_DEP_4)
	v_add_nc_u32_e32 v15, v6, v15
	v_mul_lo_u32 v18, v18, s13
	v_mul_lo_u32 v19, v19, s13
	v_add_nc_u32_e32 v20, v6, v20
	v_mul_lo_u32 v16, v16, s23
	v_mul_lo_u32 v15, v15, s17
	v_mad_u32 v5, v5, s12, v17
	s_delay_alu instid0(VALU_DEP_4)
	v_mul_lo_u32 v20, v20, s17
	v_mad_u32 v4, v4, s16, v13
	v_mad_u32 v17, v11, s12, v18
	;; [unrolled: 1-line block ×3, first 2 shown]
	v_dual_mov_b32 v18, v1 :: v_dual_mov_b32 v19, v1
	v_mad_u32 v10, v10, s16, v15
	v_mad_u32 v15, v2, s22, v16
	v_mov_b32_e32 v16, v1
	v_mad_u32 v3, v3, s16, v20
	s_clause 0x2
	global_load_b32 v11, v5, s[10:11] scale_offset
	global_load_b32 v13, v17, s[10:11] scale_offset
	;; [unrolled: 1-line block ×3, first 2 shown]
	s_clause 0x2
	global_load_b32 v17, v4, s[14:15] scale_offset
	global_load_b32 v14, v10, s[14:15] scale_offset
	;; [unrolled: 1-line block ×4, first 2 shown]
	s_wait_xcnt 0x0
	v_dual_mov_b32 v15, v1 :: v_dual_mov_b32 v4, v1
	v_mov_b32_e32 v5, v1
	s_cbranch_vccnz .LBB37_5
; %bb.4:                                ;   in Loop: Header=BB37_3 Depth=1
	v_sub_nc_u32_e32 v4, v8, v9
	v_mad_u32 v15, s63, v12, v6
	s_delay_alu instid0(VALU_DEP_2) | instskip(SKIP_1) | instid1(VALU_DEP_1)
	v_mul_lo_u32 v5, s4, v4
	v_add_nc_u32_e32 v4, 2, v4
	v_mad_u32 v4, s4, v4, v6
	s_delay_alu instid0(VALU_DEP_4) | instskip(SKIP_2) | instid1(VALU_DEP_1)
	v_mul_lo_u32 v16, v15, s44
	v_mul_lo_u32 v21, v15, s45
	v_add3_u32 v5, v5, s4, v6
	v_mul_lo_u32 v18, v5, s44
	v_mul_lo_u32 v20, v4, s44
	v_mul_lo_u32 v5, v5, s45
	v_mul_lo_u32 v22, v4, s45
	s_clause 0x2
	global_load_b32 v19, v16, s[8:9] scale_offset
	global_load_b32 v15, v18, s[8:9] scale_offset
	;; [unrolled: 1-line block ×3, first 2 shown]
	s_clause 0x2
	global_load_b32 v18, v21, s[18:19] scale_offset
	global_load_b32 v16, v5, s[18:19] scale_offset
	;; [unrolled: 1-line block ×3, first 2 shown]
.LBB37_5:                               ;   in Loop: Header=BB37_3 Depth=1
	s_wait_loadcnt 0x3
	v_add_f32_e32 v11, v11, v17
	s_wait_loadcnt 0x0
	v_pk_add_f32 v[2:3], v[2:3], v[4:5]
                                        ; implicit-def: $vgpr4
	s_delay_alu instid0(VALU_DEP_2) | instskip(NEXT) | instid1(VALU_DEP_1)
	v_add_f32_e32 v11, v11, v19
	v_add_f32_e32 v11, v18, v11
	s_delay_alu instid0(VALU_DEP_1) | instskip(SKIP_1) | instid1(VALU_DEP_2)
	v_mul_f32_e32 v17, 0xbfb8aa3b, v11
	v_cmp_nlt_f32_e32 vcc_lo, 0x42ce8ed0, v11
	v_fma_f32 v18, 0xbfb8aa3b, v11, -v17
	v_rndne_f32_e32 v19, v17
	s_delay_alu instid0(VALU_DEP_2) | instskip(NEXT) | instid1(VALU_DEP_2)
	v_fmac_f32_e32 v18, 0xb2a5705f, v11
	v_sub_f32_e32 v17, v17, v19
	s_delay_alu instid0(VALU_DEP_1) | instskip(SKIP_1) | instid1(VALU_DEP_2)
	v_add_f32_e32 v17, v17, v18
	v_cvt_i32_f32_e32 v18, v19
	v_exp_f32_e32 v17, v17
	v_nop
	s_delay_alu instid0(TRANS32_DEP_1) | instskip(NEXT) | instid1(VALU_DEP_1)
	v_ldexp_f32 v17, v17, v18
	v_cndmask_b32_e32 v17, 0, v17, vcc_lo
	v_cmp_ngt_f32_e32 vcc_lo, 0xc2b17218, v11
	s_delay_alu instid0(VALU_DEP_2) | instskip(NEXT) | instid1(VALU_DEP_1)
	v_cndmask_b32_e32 v11, 0x7f800000, v17, vcc_lo
	v_add_f32_e32 v11, 1.0, v11
	s_delay_alu instid0(VALU_DEP_1) | instskip(SKIP_1) | instid1(VALU_DEP_2)
	v_div_scale_f32 v17, null, v11, v11, 1.0
	v_div_scale_f32 v20, vcc_lo, 1.0, v11, 1.0
	v_rcp_f32_e32 v18, v17
	v_nop
	s_delay_alu instid0(TRANS32_DEP_1) | instskip(NEXT) | instid1(VALU_DEP_1)
	v_fma_f32 v19, -v17, v18, 1.0
	v_fmac_f32_e32 v18, v19, v18
	s_delay_alu instid0(VALU_DEP_1) | instskip(NEXT) | instid1(VALU_DEP_1)
	v_mul_f32_e32 v19, v20, v18
	v_fma_f32 v21, -v17, v19, v20
	s_delay_alu instid0(VALU_DEP_1) | instskip(NEXT) | instid1(VALU_DEP_1)
	v_fmac_f32_e32 v19, v21, v18
	v_fma_f32 v17, -v17, v19, v20
	s_delay_alu instid0(VALU_DEP_1) | instskip(NEXT) | instid1(VALU_DEP_1)
	v_div_fmas_f32 v17, v17, v18, v19
	v_div_fixup_f32 v11, v17, v11, 1.0
	s_delay_alu instid0(VALU_DEP_1) | instskip(NEXT) | instid1(VALU_DEP_1)
	v_fma_f32 v2, v3, v11, v2
	v_cmp_ngt_f32_e64 s0, 0x3f200000, |v2|
	s_wait_xcnt 0x0
	s_and_saveexec_b32 s1, s0
	s_delay_alu instid0(SALU_CYCLE_1)
	s_xor_b32 s0, exec_lo, s1
	s_cbranch_execz .LBB37_7
; %bb.6:                                ;   in Loop: Header=BB37_3 Depth=1
	v_add_f32_e64 v4, |v2|, |v2|
	s_delay_alu instid0(VALU_DEP_1) | instskip(SKIP_1) | instid1(VALU_DEP_2)
	v_mul_f32_e32 v5, 0x3fb8aa3b, v4
	v_cmp_ngt_f32_e32 vcc_lo, 0xc2ce8ed0, v4
	v_rndne_f32_e32 v17, v5
	v_fma_f32 v18, 0x3fb8aa3b, v4, -v5
	s_delay_alu instid0(VALU_DEP_1) | instskip(SKIP_1) | instid1(VALU_DEP_2)
	v_dual_sub_f32 v5, v5, v17 :: v_dual_fmac_f32 v18, 0x32a5705f, v4
	v_cvt_i32_f32_e32 v17, v17
	v_add_f32_e32 v5, v5, v18
	s_delay_alu instid0(VALU_DEP_1) | instskip(SKIP_1) | instid1(TRANS32_DEP_1)
	v_exp_f32_e32 v5, v5
	v_nop
	v_ldexp_f32 v5, v5, v17
	s_delay_alu instid0(VALU_DEP_1) | instskip(SKIP_1) | instid1(VALU_DEP_2)
	v_cndmask_b32_e32 v5, 0, v5, vcc_lo
	v_cmp_nlt_f32_e32 vcc_lo, 0x42b17218, v4
	v_cndmask_b32_e32 v4, 0x7f800000, v5, vcc_lo
	s_delay_alu instid0(VALU_DEP_1) | instskip(NEXT) | instid1(VALU_DEP_1)
	v_add_f32_e32 v4, 1.0, v4
	v_rcp_f32_e32 v4, v4
	v_nop
	s_delay_alu instid0(TRANS32_DEP_1)
	v_fma_f32 v4, v4, -2.0, 1.0
.LBB37_7:                               ;   in Loop: Header=BB37_3 Depth=1
	s_and_not1_saveexec_b32 s0, s0
	s_cbranch_execz .LBB37_2
; %bb.8:                                ;   in Loop: Header=BB37_3 Depth=1
	v_mul_f32_e32 v4, v2, v2
	s_delay_alu instid0(VALU_DEP_1) | instskip(NEXT) | instid1(VALU_DEP_1)
	v_fmaak_f32 v5, s66, v4, 0x3ca908c9
	v_fmaak_f32 v5, v4, v5, 0xbd5c1c4e
	s_delay_alu instid0(VALU_DEP_1) | instskip(NEXT) | instid1(VALU_DEP_1)
	v_fmaak_f32 v5, v4, v5, 0x3e088382
	v_fmaak_f32 v5, v4, v5, 0xbeaaaa99
	s_delay_alu instid0(VALU_DEP_1) | instskip(NEXT) | instid1(VALU_DEP_1)
	v_mul_f32_e64 v5, |v2|, v5
	v_fma_f32 v4, v4, v5, |v2|
	s_branch .LBB37_2
.LBB37_9:
	s_endpgm
	.section	.rodata,"a",@progbits
	.p2align	6, 0x0
	.amdhsa_kernel _ZN2at6native12_GLOBAL__N_16kernel16gru_cell_forwardIffiLi2EEEvNS_4cuda6detail10TensorInfoIT_T1_EES9_S9_S9_S9_S9_S9_S8_S8_
		.amdhsa_group_segment_fixed_size 0
		.amdhsa_private_segment_fixed_size 0
		.amdhsa_kernarg_size 1776
		.amdhsa_user_sgpr_count 2
		.amdhsa_user_sgpr_dispatch_ptr 0
		.amdhsa_user_sgpr_queue_ptr 0
		.amdhsa_user_sgpr_kernarg_segment_ptr 1
		.amdhsa_user_sgpr_dispatch_id 0
		.amdhsa_user_sgpr_kernarg_preload_length 0
		.amdhsa_user_sgpr_kernarg_preload_offset 0
		.amdhsa_user_sgpr_private_segment_size 0
		.amdhsa_wavefront_size32 1
		.amdhsa_uses_dynamic_stack 0
		.amdhsa_enable_private_segment 0
		.amdhsa_system_sgpr_workgroup_id_x 1
		.amdhsa_system_sgpr_workgroup_id_y 0
		.amdhsa_system_sgpr_workgroup_id_z 0
		.amdhsa_system_sgpr_workgroup_info 0
		.amdhsa_system_vgpr_workitem_id 0
		.amdhsa_next_free_vgpr 39
		.amdhsa_next_free_sgpr 68
		.amdhsa_named_barrier_count 0
		.amdhsa_reserve_vcc 1
		.amdhsa_float_round_mode_32 0
		.amdhsa_float_round_mode_16_64 0
		.amdhsa_float_denorm_mode_32 3
		.amdhsa_float_denorm_mode_16_64 3
		.amdhsa_fp16_overflow 0
		.amdhsa_memory_ordered 1
		.amdhsa_forward_progress 1
		.amdhsa_inst_pref_size 31
		.amdhsa_round_robin_scheduling 0
		.amdhsa_exception_fp_ieee_invalid_op 0
		.amdhsa_exception_fp_denorm_src 0
		.amdhsa_exception_fp_ieee_div_zero 0
		.amdhsa_exception_fp_ieee_overflow 0
		.amdhsa_exception_fp_ieee_underflow 0
		.amdhsa_exception_fp_ieee_inexact 0
		.amdhsa_exception_int_div_zero 0
	.end_amdhsa_kernel
	.section	.text._ZN2at6native12_GLOBAL__N_16kernel16gru_cell_forwardIffiLi2EEEvNS_4cuda6detail10TensorInfoIT_T1_EES9_S9_S9_S9_S9_S9_S8_S8_,"axG",@progbits,_ZN2at6native12_GLOBAL__N_16kernel16gru_cell_forwardIffiLi2EEEvNS_4cuda6detail10TensorInfoIT_T1_EES9_S9_S9_S9_S9_S9_S8_S8_,comdat
.Lfunc_end37:
	.size	_ZN2at6native12_GLOBAL__N_16kernel16gru_cell_forwardIffiLi2EEEvNS_4cuda6detail10TensorInfoIT_T1_EES9_S9_S9_S9_S9_S9_S8_S8_, .Lfunc_end37-_ZN2at6native12_GLOBAL__N_16kernel16gru_cell_forwardIffiLi2EEEvNS_4cuda6detail10TensorInfoIT_T1_EES9_S9_S9_S9_S9_S9_S8_S8_
                                        ; -- End function
	.set _ZN2at6native12_GLOBAL__N_16kernel16gru_cell_forwardIffiLi2EEEvNS_4cuda6detail10TensorInfoIT_T1_EES9_S9_S9_S9_S9_S9_S8_S8_.num_vgpr, 39
	.set _ZN2at6native12_GLOBAL__N_16kernel16gru_cell_forwardIffiLi2EEEvNS_4cuda6detail10TensorInfoIT_T1_EES9_S9_S9_S9_S9_S9_S8_S8_.num_agpr, 0
	.set _ZN2at6native12_GLOBAL__N_16kernel16gru_cell_forwardIffiLi2EEEvNS_4cuda6detail10TensorInfoIT_T1_EES9_S9_S9_S9_S9_S9_S8_S8_.numbered_sgpr, 68
	.set _ZN2at6native12_GLOBAL__N_16kernel16gru_cell_forwardIffiLi2EEEvNS_4cuda6detail10TensorInfoIT_T1_EES9_S9_S9_S9_S9_S9_S8_S8_.num_named_barrier, 0
	.set _ZN2at6native12_GLOBAL__N_16kernel16gru_cell_forwardIffiLi2EEEvNS_4cuda6detail10TensorInfoIT_T1_EES9_S9_S9_S9_S9_S9_S8_S8_.private_seg_size, 0
	.set _ZN2at6native12_GLOBAL__N_16kernel16gru_cell_forwardIffiLi2EEEvNS_4cuda6detail10TensorInfoIT_T1_EES9_S9_S9_S9_S9_S9_S8_S8_.uses_vcc, 1
	.set _ZN2at6native12_GLOBAL__N_16kernel16gru_cell_forwardIffiLi2EEEvNS_4cuda6detail10TensorInfoIT_T1_EES9_S9_S9_S9_S9_S9_S8_S8_.uses_flat_scratch, 0
	.set _ZN2at6native12_GLOBAL__N_16kernel16gru_cell_forwardIffiLi2EEEvNS_4cuda6detail10TensorInfoIT_T1_EES9_S9_S9_S9_S9_S9_S8_S8_.has_dyn_sized_stack, 0
	.set _ZN2at6native12_GLOBAL__N_16kernel16gru_cell_forwardIffiLi2EEEvNS_4cuda6detail10TensorInfoIT_T1_EES9_S9_S9_S9_S9_S9_S8_S8_.has_recursion, 0
	.set _ZN2at6native12_GLOBAL__N_16kernel16gru_cell_forwardIffiLi2EEEvNS_4cuda6detail10TensorInfoIT_T1_EES9_S9_S9_S9_S9_S9_S8_S8_.has_indirect_call, 0
	.section	.AMDGPU.csdata,"",@progbits
; Kernel info:
; codeLenInByte = 3864
; TotalNumSgprs: 70
; NumVgprs: 39
; ScratchSize: 0
; MemoryBound: 0
; FloatMode: 240
; IeeeMode: 1
; LDSByteSize: 0 bytes/workgroup (compile time only)
; SGPRBlocks: 0
; VGPRBlocks: 2
; NumSGPRsForWavesPerEU: 70
; NumVGPRsForWavesPerEU: 39
; NamedBarCnt: 0
; Occupancy: 16
; WaveLimiterHint : 1
; COMPUTE_PGM_RSRC2:SCRATCH_EN: 0
; COMPUTE_PGM_RSRC2:USER_SGPR: 2
; COMPUTE_PGM_RSRC2:TRAP_HANDLER: 0
; COMPUTE_PGM_RSRC2:TGID_X_EN: 1
; COMPUTE_PGM_RSRC2:TGID_Y_EN: 0
; COMPUTE_PGM_RSRC2:TGID_Z_EN: 0
; COMPUTE_PGM_RSRC2:TIDIG_COMP_CNT: 0
	.section	.text._ZN2at6native12_GLOBAL__N_16kernel16gru_cell_forwardIfflLi1EEEvNS_4cuda6detail10TensorInfoIT_T1_EES9_S9_S9_S9_S9_S9_S8_S8_,"axG",@progbits,_ZN2at6native12_GLOBAL__N_16kernel16gru_cell_forwardIfflLi1EEEvNS_4cuda6detail10TensorInfoIT_T1_EES9_S9_S9_S9_S9_S9_S8_S8_,comdat
	.globl	_ZN2at6native12_GLOBAL__N_16kernel16gru_cell_forwardIfflLi1EEEvNS_4cuda6detail10TensorInfoIT_T1_EES9_S9_S9_S9_S9_S9_S8_S8_ ; -- Begin function _ZN2at6native12_GLOBAL__N_16kernel16gru_cell_forwardIfflLi1EEEvNS_4cuda6detail10TensorInfoIT_T1_EES9_S9_S9_S9_S9_S9_S8_S8_
	.p2align	8
	.type	_ZN2at6native12_GLOBAL__N_16kernel16gru_cell_forwardIfflLi1EEEvNS_4cuda6detail10TensorInfoIT_T1_EES9_S9_S9_S9_S9_S9_S8_S8_,@function
_ZN2at6native12_GLOBAL__N_16kernel16gru_cell_forwardIfflLi1EEEvNS_4cuda6detail10TensorInfoIT_T1_EES9_S9_S9_S9_S9_S9_S8_S8_: ; @_ZN2at6native12_GLOBAL__N_16kernel16gru_cell_forwardIfflLi1EEEvNS_4cuda6detail10TensorInfoIT_T1_EES9_S9_S9_S9_S9_S9_S8_S8_
; %bb.0:
	s_clause 0x1
	s_load_b32 s2, s[0:1], 0xb7c
	s_load_b128 s[4:7], s[0:1], 0xb60
	s_bfe_u32 s3, ttmp6, 0x4000c
	s_and_b32 s8, ttmp6, 15
	s_add_co_i32 s3, s3, 1
	s_getreg_b32 s9, hwreg(HW_REG_IB_STS2, 6, 4)
	s_mul_i32 s3, ttmp9, s3
	v_mov_b32_e32 v2, 0
	s_add_co_i32 s8, s8, s3
	s_delay_alu instid0(VALU_DEP_1)
	v_mov_b32_e32 v1, v2
	s_wait_kmcnt 0x0
	s_and_b32 s2, s2, 0xffff
	s_cmp_eq_u32 s9, 0
	s_cselect_b32 s3, ttmp9, s8
	s_mov_b32 s8, exec_lo
	v_mad_u32 v0, s3, s2, v0
	s_mov_b32 s3, 0
	s_delay_alu instid0(VALU_DEP_1)
	v_cmpx_gt_i64_e64 s[6:7], v[0:1]
	s_cbranch_execz .LBB38_14
; %bb.1:
	s_clause 0x2
	s_load_b64 s[40:41], s[0:1], 0x750
	s_load_b64 s[42:43], s[0:1], 0x8f0
	;; [unrolled: 1-line block ×3, first 2 shown]
	v_cvt_f32_u32_e32 v3, s4
	s_add_nc_u64 s[16:17], s[0:1], 0xb70
	s_clause 0x2
	s_load_b64 s[10:11], s[0:1], 0x410
	s_load_b64 s[12:13], s[0:1], 0x4e0
	;; [unrolled: 1-line block ×3, first 2 shown]
	s_load_b32 s28, s[16:17], 0x0
	s_load_b64 s[44:45], s[0:1], 0x820
	v_rcp_iflag_f32_e32 v3, v3
	s_mov_b32 s29, s3
	s_sub_nc_u64 s[30:31], 0, s[4:5]
	s_mov_b64 s[34:35], 0xffffffff
	s_mov_b32 s48, 0
	v_nop
	s_delay_alu instid0(TRANS32_DEP_1) | instskip(NEXT) | instid1(VALU_DEP_1)
	v_mul_f32_e32 v3, 0x4f7ffffe, v3
	v_cvt_u32_f32_e32 v3, v3
	s_wait_kmcnt 0x0
	v_mul_u64_e32 v[4:5], s[40:41], v[0:1]
	v_mul_u64_e32 v[6:7], s[42:43], v[0:1]
	s_cmp_lg_u64 s[8:9], 0
	s_cselect_b32 s33, -1, 0
	s_sub_co_i32 s16, 0, s4
	s_mul_i32 s28, s28, s2
	v_mul_lo_u32 v8, s16, v3
	s_clause 0x6
	s_load_b64 s[46:47], s[0:1], 0x680
	s_load_b64 s[16:17], s[0:1], 0x0
	;; [unrolled: 1-line block ×7, first 2 shown]
	s_wait_xcnt 0x0
	s_mul_u64 s[0:1], s[28:29], s[40:41]
	s_mul_u64 s[42:43], s[28:29], s[42:43]
	s_lshl_b64 s[36:37], s[4:5], 1
	s_lshl_b64 s[38:39], s[4:5], 2
	;; [unrolled: 1-line block ×4, first 2 shown]
	s_mov_b32 s1, 0xbbbac73d
	v_mul_hi_u32 v8, v3, v8
	s_delay_alu instid0(VALU_DEP_1)
	v_add_nc_u32_e32 v14, v3, v8
	s_wait_kmcnt 0x0
	v_lshl_add_u64 v[4:5], v[4:5], 2, s[46:47]
	v_lshl_add_u64 v[6:7], v[6:7], 2, s[44:45]
	s_ashr_i32 s44, s5, 31
	s_branch .LBB38_3
.LBB38_2:                               ;   in Loop: Header=BB38_3 Depth=1
	s_or_b32 exec_lo, exec_lo, s0
	v_add_f32_e32 v13, v15, v16
	v_mad_nc_u64_u32 v[22:23], s38, v8, v[0:1]
	v_bfi_b32 v10, 0x7fffffff, v12, v10
	v_add_nc_u64_e32 v[4:5], s[40:41], v[4:5]
	s_delay_alu instid0(VALU_DEP_4) | instskip(NEXT) | instid1(VALU_DEP_1)
	v_add_f32_e32 v13, v13, v18
	v_add_f32_e32 v13, v13, v19
	s_delay_alu instid0(VALU_DEP_1) | instskip(SKIP_1) | instid1(VALU_DEP_2)
	v_mul_f32_e32 v15, 0xbfb8aa3b, v13
	v_cmp_nlt_f32_e32 vcc_lo, 0x42ce8ed0, v13
	v_fma_f32 v16, 0xbfb8aa3b, v13, -v15
	v_rndne_f32_e32 v18, v15
	s_delay_alu instid0(VALU_DEP_1) | instskip(NEXT) | instid1(VALU_DEP_1)
	v_dual_fmac_f32 v16, 0xb2a5705f, v13 :: v_dual_sub_f32 v15, v15, v18
	v_add_f32_e32 v15, v15, v16
	v_cvt_i32_f32_e32 v16, v18
	v_lshlrev_b64_e32 v[18:19], 2, v[8:9]
	v_mad_u32 v8, s39, v8, v23
	s_delay_alu instid0(VALU_DEP_4) | instskip(NEXT) | instid1(VALU_DEP_2)
	v_exp_f32_e32 v15, v15
	v_add_nc_u64_e32 v[20:21], 4, v[18:19]
	v_or_b32_e32 v26, 2, v18
	s_delay_alu instid0(TRANS32_DEP_1) | instskip(SKIP_3) | instid1(VALU_DEP_4)
	v_ldexp_f32 v15, v15, v16
	v_mul_lo_u32 v16, s4, v19
	v_mad_u32 v23, s38, v9, v8
	v_mad_nc_u64_u32 v[24:25], s4, v20, v[0:1]
	v_cndmask_b32_e32 v15, 0, v15, vcc_lo
	v_cmp_ngt_f32_e32 vcc_lo, 0xc2b17218, v13
	s_delay_alu instid0(VALU_DEP_2) | instskip(NEXT) | instid1(VALU_DEP_1)
	v_cndmask_b32_e32 v13, 0x7f800000, v15, vcc_lo
	v_dual_add_f32 v13, 1.0, v13 :: v_dual_bitop2_b32 v15, 1, v18 bitop3:0x54
	s_delay_alu instid0(VALU_DEP_1) | instskip(NEXT) | instid1(VALU_DEP_2)
	v_mul_lo_u32 v31, s5, v15
	v_div_scale_f32 v30, null, v13, v13, 1.0
	v_or_b32_e32 v28, 3, v18
	v_mad_nc_u64_u32 v[18:19], s4, v15, v[0:1]
	v_mad_u32 v15, s5, v20, v25
	s_delay_alu instid0(VALU_DEP_4)
	v_rcp_f32_e32 v32, v30
	v_mul_lo_u32 v20, s5, v26
	v_mad_nc_u64_u32 v[26:27], s4, v26, v[0:1]
	v_mul_lo_u32 v33, s5, v28
	v_mad_nc_u64_u32 v[28:29], s4, v28, v[0:1]
	v_add_nc_u64_e32 v[0:1], s[28:29], v[0:1]
	s_delay_alu instid0(TRANS32_DEP_1) | instskip(SKIP_3) | instid1(VALU_DEP_4)
	v_fma_f32 v8, -v30, v32, 1.0
	v_add3_u32 v19, v31, v19, v16
	v_mad_u32 v25, s4, v21, v15
	v_div_scale_f32 v15, vcc_lo, 1.0, v13, 1.0
	v_fmac_f32_e32 v32, v8, v32
	s_delay_alu instid0(VALU_DEP_4) | instskip(SKIP_4) | instid1(VALU_DEP_3)
	v_mul_u64_e32 v[8:9], s[26:27], v[18:19]
	v_mul_u64_e32 v[18:19], s[26:27], v[22:23]
	v_add3_u32 v27, v20, v27, v16
	v_add3_u32 v29, v33, v29, v16
	v_mul_f32_e32 v16, v15, v32
	v_mul_u64_e32 v[20:21], s[26:27], v[26:27]
	s_delay_alu instid0(VALU_DEP_3) | instskip(NEXT) | instid1(VALU_DEP_3)
	v_mul_u64_e32 v[22:23], s[26:27], v[28:29]
	v_fma_f32 v26, -v30, v16, v15
	v_mul_u64_e32 v[24:25], s[26:27], v[24:25]
	s_delay_alu instid0(VALU_DEP_2) | instskip(NEXT) | instid1(VALU_DEP_1)
	v_fmac_f32_e32 v16, v26, v32
	v_fma_f32 v15, -v30, v16, v15
	s_delay_alu instid0(VALU_DEP_1) | instskip(SKIP_2) | instid1(VALU_DEP_3)
	v_div_fmas_f32 v12, v15, v32, v16
	v_sub_f32_e32 v15, v3, v10
	v_cmp_le_i64_e32 vcc_lo, s[6:7], v[0:1]
	v_div_fixup_f32 v16, v12, v13, 1.0
	v_lshl_add_u64 v[8:9], v[8:9], 2, s[24:25]
	v_lshl_add_u64 v[12:13], v[18:19], 2, s[24:25]
	s_delay_alu instid0(VALU_DEP_3)
	v_fma_f32 v15, v16, v15, v10
	s_or_b32 s48, vcc_lo, s48
	global_store_b32 v[6:7], v15, off
	global_store_b32 v[12:13], v17, off
	s_wait_xcnt 0x1
	v_add_nc_u64_e32 v[6:7], s[42:43], v[6:7]
	v_lshl_add_u64 v[18:19], v[20:21], 2, s[24:25]
	v_lshl_add_u64 v[20:21], v[22:23], 2, s[24:25]
	s_wait_xcnt 0x0
	v_lshl_add_u64 v[12:13], v[24:25], 2, s[24:25]
	s_clause 0x3
	global_store_b32 v[8:9], v16, off
	global_store_b32 v[18:19], v10, off
	;; [unrolled: 1-line block ×4, first 2 shown]
	s_wait_xcnt 0x0
	s_and_not1_b32 exec_lo, exec_lo, s48
	s_cbranch_execz .LBB38_14
.LBB38_3:                               ; =>This Inner Loop Header: Depth=1
	v_or_b32_e32 v3, s5, v1
                                        ; implicit-def: $vgpr8_vgpr9
	s_mov_b32 s0, exec_lo
	s_delay_alu instid0(VALU_DEP_1)
	v_cmpx_ne_u64_e32 0, v[2:3]
	s_xor_b32 s49, exec_lo, s0
	s_cbranch_execz .LBB38_5
; %bb.4:                                ;   in Loop: Header=BB38_3 Depth=1
	s_mov_b32 s45, s44
	v_dual_mov_b32 v13, v2 :: v_dual_ashrrev_i32 v8, 31, v1
	s_add_nc_u64 s[46:47], s[4:5], s[44:45]
	v_mov_b32_e32 v23, v2
	s_xor_b64 s[46:47], s[46:47], s[44:45]
	s_delay_alu instid0(VALU_DEP_2) | instskip(SKIP_3) | instid1(VALU_DEP_1)
	v_mov_b32_e32 v9, v8
	s_cvt_f32_u32 s0, s46
	s_cvt_f32_u32 s2, s47
	s_sub_nc_u64 s[52:53], 0, s[46:47]
	v_add_nc_u64_e32 v[10:11], v[0:1], v[8:9]
	s_delay_alu instid0(SALU_CYCLE_1) | instskip(SKIP_1) | instid1(SALU_CYCLE_2)
	s_fmamk_f32 s0, s2, 0x4f800000, s0
	v_mov_b32_e32 v19, v2
	v_s_rcp_f32 s0, s0
	s_delay_alu instid0(VALU_DEP_2) | instskip(NEXT) | instid1(VALU_DEP_3)
	v_xor_b32_e32 v12, v10, v8
	v_xor_b32_e32 v18, v11, v8
	;; [unrolled: 1-line block ×3, first 2 shown]
	s_delay_alu instid0(TRANS32_DEP_1) | instskip(NEXT) | instid1(SALU_CYCLE_3)
	s_mul_f32 s0, s0, 0x5f7ffffc
	s_mul_f32 s2, s0, 0x2f800000
	s_delay_alu instid0(SALU_CYCLE_3) | instskip(NEXT) | instid1(SALU_CYCLE_3)
	s_trunc_f32 s2, s2
	s_fmamk_f32 s0, s2, 0xcf800000, s0
	s_cvt_u32_f32 s51, s2
	s_delay_alu instid0(SALU_CYCLE_2) | instskip(NEXT) | instid1(SALU_CYCLE_3)
	s_cvt_u32_f32 s50, s0
	s_mul_u64 s[54:55], s[52:53], s[50:51]
	s_delay_alu instid0(SALU_CYCLE_1)
	s_mul_hi_u32 s57, s50, s55
	s_mul_i32 s56, s50, s55
	s_mul_hi_u32 s2, s50, s54
	s_mul_i32 s45, s51, s54
	s_add_nc_u64 s[56:57], s[2:3], s[56:57]
	s_mul_hi_u32 s0, s51, s54
	s_mul_hi_u32 s58, s51, s55
	s_add_co_u32 s2, s56, s45
	s_add_co_ci_u32 s2, s57, s0
	s_mul_i32 s54, s51, s55
	s_add_co_ci_u32 s55, s58, 0
	s_delay_alu instid0(SALU_CYCLE_1) | instskip(NEXT) | instid1(SALU_CYCLE_1)
	s_add_nc_u64 s[54:55], s[2:3], s[54:55]
	s_add_co_u32 s50, s50, s54
	s_cselect_b32 s0, -1, 0
	s_delay_alu instid0(SALU_CYCLE_1) | instskip(SKIP_1) | instid1(SALU_CYCLE_1)
	s_cmp_lg_u32 s0, 0
	s_add_co_ci_u32 s51, s51, s55
	s_mul_u64 s[52:53], s[52:53], s[50:51]
	s_delay_alu instid0(SALU_CYCLE_1)
	s_mul_hi_u32 s55, s50, s53
	s_mul_i32 s54, s50, s53
	s_mul_hi_u32 s2, s50, s52
	s_mul_i32 s45, s51, s52
	s_add_nc_u64 s[54:55], s[2:3], s[54:55]
	s_mul_hi_u32 s0, s51, s52
	s_mul_hi_u32 s56, s51, s53
	s_add_co_u32 s2, s54, s45
	s_add_co_ci_u32 s2, s55, s0
	s_mul_i32 s52, s51, s53
	s_add_co_ci_u32 s53, s56, 0
	s_delay_alu instid0(SALU_CYCLE_1) | instskip(NEXT) | instid1(SALU_CYCLE_1)
	s_add_nc_u64 s[52:53], s[2:3], s[52:53]
	s_add_co_u32 s0, s50, s52
	s_cselect_b32 s2, -1, 0
	v_mul_hi_u32 v22, v12, s0
	s_cmp_lg_u32 s2, 0
	s_add_co_ci_u32 s2, s51, s53
	s_and_b64 s[50:51], s[0:1], s[34:35]
	v_mul_u64_e32 v[16:17], s[2:3], v[12:13]
	v_mul_u64_e32 v[10:11], s[50:51], v[18:19]
	v_mul_u64_e32 v[20:21], s[2:3], v[18:19]
	s_delay_alu instid0(VALU_DEP_3) | instskip(NEXT) | instid1(VALU_DEP_1)
	v_add_nc_u64_e32 v[16:17], v[22:23], v[16:17]
	v_add_co_u32 v3, vcc_lo, v16, v10
	s_delay_alu instid0(VALU_DEP_2) | instskip(NEXT) | instid1(VALU_DEP_4)
	v_add_co_ci_u32_e32 v22, vcc_lo, v17, v11, vcc_lo
	v_add_co_ci_u32_e32 v21, vcc_lo, 0, v21, vcc_lo
	s_delay_alu instid0(VALU_DEP_1) | instskip(NEXT) | instid1(VALU_DEP_1)
	v_add_nc_u64_e32 v[10:11], v[22:23], v[20:21]
	v_mul_u64_e32 v[16:17], s[46:47], v[10:11]
	s_delay_alu instid0(VALU_DEP_1) | instskip(NEXT) | instid1(VALU_DEP_2)
	v_sub_nc_u32_e32 v3, v18, v17
	v_sub_co_u32 v9, vcc_lo, v12, v16
	s_delay_alu instid0(VALU_DEP_1) | instskip(NEXT) | instid1(VALU_DEP_3)
	v_sub_co_ci_u32_e64 v15, null, v18, v17, vcc_lo
	v_subrev_co_ci_u32_e64 v3, null, s47, v3, vcc_lo
	s_delay_alu instid0(VALU_DEP_3) | instskip(SKIP_1) | instid1(VALU_DEP_3)
	v_sub_co_u32 v12, s0, v9, s46
	v_add_nc_u64_e32 v[16:17], 1, v[10:11]
	v_subrev_co_ci_u32_e64 v3, null, 0, v3, s0
	s_delay_alu instid0(VALU_DEP_3) | instskip(SKIP_1) | instid1(VALU_DEP_3)
	v_cmp_le_u32_e32 vcc_lo, s46, v12
	v_cndmask_b32_e64 v12, 0, -1, vcc_lo
	v_cmp_le_u32_e32 vcc_lo, s47, v3
	v_cndmask_b32_e64 v13, 0, -1, vcc_lo
	;; [unrolled: 2-line block ×4, first 2 shown]
	v_cmp_eq_u32_e32 vcc_lo, s47, v3
	v_cndmask_b32_e32 v3, v13, v12, vcc_lo
	v_cmp_eq_u32_e32 vcc_lo, s47, v15
	v_add_nc_u64_e32 v[12:13], 2, v[10:11]
	v_cndmask_b32_e32 v9, v18, v9, vcc_lo
	s_delay_alu instid0(VALU_DEP_4) | instskip(NEXT) | instid1(VALU_DEP_2)
	v_cmp_ne_u32_e32 vcc_lo, 0, v3
	v_cmp_ne_u32_e64 s0, 0, v9
	s_delay_alu instid0(VALU_DEP_4) | instskip(NEXT) | instid1(VALU_DEP_1)
	v_dual_cndmask_b32 v3, v17, v13, vcc_lo :: v_dual_cndmask_b32 v9, v16, v12, vcc_lo
	v_dual_cndmask_b32 v10, v10, v9, s0 :: v_dual_mov_b32 v9, v8
	s_delay_alu instid0(VALU_DEP_1) | instskip(NEXT) | instid1(VALU_DEP_1)
	v_dual_cndmask_b32 v3, v11, v3, s0 :: v_dual_bitop2_b32 v10, v10, v8 bitop3:0x14
	v_xor_b32_e32 v11, v3, v8
	s_delay_alu instid0(VALU_DEP_1)
	v_sub_nc_u64_e32 v[8:9], v[10:11], v[8:9]
.LBB38_5:                               ;   in Loop: Header=BB38_3 Depth=1
	s_and_not1_saveexec_b32 s0, s49
	s_cbranch_execz .LBB38_7
; %bb.6:                                ;   in Loop: Header=BB38_3 Depth=1
	v_mul_hi_u32 v3, v0, v14
	s_delay_alu instid0(VALU_DEP_1) | instskip(NEXT) | instid1(VALU_DEP_1)
	v_mul_lo_u32 v8, v3, s4
	v_dual_add_nc_u32 v9, 1, v3 :: v_dual_sub_nc_u32 v8, v0, v8
	s_delay_alu instid0(VALU_DEP_1) | instskip(SKIP_1) | instid1(VALU_DEP_2)
	v_subrev_nc_u32_e32 v10, s4, v8
	v_cmp_le_u32_e32 vcc_lo, s4, v8
	v_dual_cndmask_b32 v8, v8, v10 :: v_dual_cndmask_b32 v3, v3, v9
	s_delay_alu instid0(VALU_DEP_1) | instskip(NEXT) | instid1(VALU_DEP_2)
	v_cmp_le_u32_e32 vcc_lo, s4, v8
	v_add_nc_u32_e32 v9, 1, v3
	s_delay_alu instid0(VALU_DEP_1)
	v_dual_cndmask_b32 v8, v3, v9 :: v_dual_mov_b32 v9, v2
.LBB38_7:                               ;   in Loop: Header=BB38_3 Depth=1
	s_or_b32 exec_lo, exec_lo, s0
	s_delay_alu instid0(VALU_DEP_1) | instskip(SKIP_2) | instid1(VALU_DEP_2)
	v_lshlrev_b64_e32 v[10:11], 1, v[8:9]
	v_mad_nc_u64_u32 v[16:17], s36, v8, v[0:1]
	s_and_not1_b32 vcc_lo, exec_lo, s33
	v_add_nc_u64_e32 v[12:13], 2, v[10:11]
	v_or_b32_e32 v3, 1, v10
	s_delay_alu instid0(VALU_DEP_3) | instskip(NEXT) | instid1(VALU_DEP_2)
	v_mad_u32 v10, s37, v8, v17
	v_mad_nc_u64_u32 v[18:19], s4, v3, v[0:1]
	s_delay_alu instid0(VALU_DEP_4) | instskip(NEXT) | instid1(VALU_DEP_3)
	v_mad_nc_u64_u32 v[20:21], s4, v12, v[0:1]
	v_mad_u32 v17, s36, v9, v10
	s_delay_alu instid0(VALU_DEP_3) | instskip(NEXT) | instid1(VALU_DEP_3)
	v_mad_u32 v3, s5, v3, v19
	v_mad_u32 v12, s5, v12, v21
	s_delay_alu instid0(VALU_DEP_2) | instskip(NEXT) | instid1(VALU_DEP_2)
	v_mad_u32 v19, s4, v11, v3
	v_mad_u32 v21, s4, v13, v12
	v_mul_u64_e32 v[10:11], s[18:19], v[16:17]
	v_mul_u64_e32 v[12:13], s[22:23], v[16:17]
	s_delay_alu instid0(VALU_DEP_4) | instskip(NEXT) | instid1(VALU_DEP_4)
	v_mul_u64_e32 v[16:17], s[18:19], v[18:19]
	v_mul_u64_e32 v[22:23], s[18:19], v[20:21]
	;; [unrolled: 1-line block ×4, first 2 shown]
	v_lshl_add_u64 v[24:25], v[10:11], 2, s[16:17]
	v_lshl_add_u64 v[12:13], v[12:13], 2, s[20:21]
	;; [unrolled: 1-line block ×6, first 2 shown]
	s_clause 0x2
	global_load_b32 v17, v[24:25], off
	global_load_b32 v15, v[26:27], off
	;; [unrolled: 1-line block ×3, first 2 shown]
	s_clause 0x2
	global_load_b32 v20, v[12:13], off
	global_load_b32 v16, v[18:19], off
	;; [unrolled: 1-line block ×4, first 2 shown]
	s_cbranch_vccnz .LBB38_9
; %bb.8:                                ;   in Loop: Header=BB38_3 Depth=1
	s_wait_xcnt 0x3
	v_sub_nc_u64_e32 v[12:13], 1, v[8:9]
	s_wait_xcnt 0x2
	v_sub_nc_u64_e32 v[18:19], 2, v[8:9]
	v_mad_nc_u64_u32 v[22:23], s30, v8, v[0:1]
	s_delay_alu instid0(VALU_DEP_3) | instskip(NEXT) | instid1(VALU_DEP_3)
	v_mad_nc_u64_u32 v[24:25], s4, v12, v[0:1]
	v_mad_nc_u64_u32 v[26:27], s4, v18, v[0:1]
	s_delay_alu instid0(VALU_DEP_3) | instskip(NEXT) | instid1(VALU_DEP_3)
	v_mad_u32 v21, s31, v8, v23
	v_mad_u32 v12, s5, v12, v25
	s_delay_alu instid0(VALU_DEP_3) | instskip(NEXT) | instid1(VALU_DEP_3)
	v_mad_u32 v18, s5, v18, v27
	v_mad_u32 v23, s30, v9, v21
	;; [unrolled: 3-line block ×3, first 2 shown]
	s_delay_alu instid0(VALU_DEP_3) | instskip(SKIP_1) | instid1(VALU_DEP_4)
	v_mul_u64_e32 v[12:13], s[10:11], v[22:23]
	v_mul_u64_e32 v[18:19], s[14:15], v[22:23]
	;; [unrolled: 1-line block ×3, first 2 shown]
	s_wait_xcnt 0x1
	s_delay_alu instid0(VALU_DEP_4)
	v_mul_u64_e32 v[28:29], s[10:11], v[26:27]
	v_mul_u64_e32 v[24:25], s[14:15], v[24:25]
	;; [unrolled: 1-line block ×3, first 2 shown]
	v_lshl_add_u64 v[30:31], v[12:13], 2, s[8:9]
	v_lshl_add_u64 v[32:33], v[18:19], 2, s[12:13]
	;; [unrolled: 1-line block ×6, first 2 shown]
	s_clause 0x2
	global_load_b32 v22, v[30:31], off
	global_load_b32 v18, v[34:35], off
	;; [unrolled: 1-line block ×3, first 2 shown]
	s_clause 0x2
	global_load_b32 v21, v[32:33], off
	global_load_b32 v19, v[24:25], off
	;; [unrolled: 1-line block ×3, first 2 shown]
	s_branch .LBB38_10
.LBB38_9:                               ;   in Loop: Header=BB38_3 Depth=1
	s_wait_xcnt 0x2
	v_dual_mov_b32 v18, 0 :: v_dual_mov_b32 v21, 0
	v_dual_mov_b32 v19, 0 :: v_dual_mov_b32 v22, 0
	s_delay_alu instid0(VALU_DEP_2)
	v_dual_mov_b32 v12, 0 :: v_dual_mov_b32 v13, v18
.LBB38_10:                              ;   in Loop: Header=BB38_3 Depth=1
	s_wait_loadcnt 0x3
	v_add_f32_e32 v17, v17, v20
	s_wait_loadcnt 0x0
	s_delay_alu instid0(VALU_DEP_2) | instskip(NEXT) | instid1(VALU_DEP_2)
	v_pk_add_f32 v[10:11], v[10:11], v[12:13]
                                        ; implicit-def: $vgpr12
	v_add_f32_e32 v17, v17, v22
	s_delay_alu instid0(VALU_DEP_1) | instskip(NEXT) | instid1(VALU_DEP_1)
	v_add_f32_e32 v17, v21, v17
	v_mul_f32_e32 v20, 0xbfb8aa3b, v17
	v_cmp_nlt_f32_e32 vcc_lo, 0x42ce8ed0, v17
	s_delay_alu instid0(VALU_DEP_2) | instskip(SKIP_1) | instid1(VALU_DEP_1)
	v_fma_f32 v21, 0xbfb8aa3b, v17, -v20
	v_rndne_f32_e32 v22, v20
	v_dual_fmac_f32 v21, 0xb2a5705f, v17 :: v_dual_sub_f32 v20, v20, v22
	s_delay_alu instid0(VALU_DEP_1) | instskip(SKIP_1) | instid1(VALU_DEP_2)
	v_add_f32_e32 v20, v20, v21
	v_cvt_i32_f32_e32 v21, v22
	v_exp_f32_e32 v20, v20
	v_nop
	s_delay_alu instid0(TRANS32_DEP_1) | instskip(NEXT) | instid1(VALU_DEP_1)
	v_ldexp_f32 v20, v20, v21
	v_cndmask_b32_e32 v20, 0, v20, vcc_lo
	v_cmp_ngt_f32_e32 vcc_lo, 0xc2b17218, v17
	s_delay_alu instid0(VALU_DEP_2) | instskip(NEXT) | instid1(VALU_DEP_1)
	v_cndmask_b32_e32 v17, 0x7f800000, v20, vcc_lo
	v_add_f32_e32 v17, 1.0, v17
	s_delay_alu instid0(VALU_DEP_1) | instskip(SKIP_1) | instid1(VALU_DEP_2)
	v_div_scale_f32 v20, null, v17, v17, 1.0
	v_div_scale_f32 v23, vcc_lo, 1.0, v17, 1.0
	v_rcp_f32_e32 v21, v20
	v_nop
	s_delay_alu instid0(TRANS32_DEP_1) | instskip(NEXT) | instid1(VALU_DEP_1)
	v_fma_f32 v22, -v20, v21, 1.0
	v_fmac_f32_e32 v21, v22, v21
	s_delay_alu instid0(VALU_DEP_1) | instskip(SKIP_1) | instid1(VALU_DEP_1)
	v_mul_f32_e32 v22, v23, v21
	s_wait_xcnt 0x1
	v_fma_f32 v24, -v20, v22, v23
	s_delay_alu instid0(VALU_DEP_1) | instskip(NEXT) | instid1(VALU_DEP_1)
	v_fmac_f32_e32 v22, v24, v21
	v_fma_f32 v20, -v20, v22, v23
	s_delay_alu instid0(VALU_DEP_1) | instskip(NEXT) | instid1(VALU_DEP_1)
	v_div_fmas_f32 v20, v20, v21, v22
	v_div_fixup_f32 v17, v20, v17, 1.0
	s_delay_alu instid0(VALU_DEP_1) | instskip(NEXT) | instid1(VALU_DEP_1)
	v_fma_f32 v10, v11, v17, v10
	v_cmp_ngt_f32_e64 s0, 0x3f200000, |v10|
	s_wait_xcnt 0x0
	s_and_saveexec_b32 s2, s0
	s_delay_alu instid0(SALU_CYCLE_1)
	s_xor_b32 s0, exec_lo, s2
	s_cbranch_execz .LBB38_12
; %bb.11:                               ;   in Loop: Header=BB38_3 Depth=1
	v_add_f32_e64 v12, |v10|, |v10|
	s_delay_alu instid0(VALU_DEP_1) | instskip(SKIP_1) | instid1(VALU_DEP_2)
	v_mul_f32_e32 v13, 0x3fb8aa3b, v12
	v_cmp_ngt_f32_e32 vcc_lo, 0xc2ce8ed0, v12
	v_rndne_f32_e32 v20, v13
	v_fma_f32 v21, 0x3fb8aa3b, v12, -v13
	s_delay_alu instid0(VALU_DEP_2) | instskip(NEXT) | instid1(VALU_DEP_2)
	v_sub_f32_e32 v13, v13, v20
	v_fmac_f32_e32 v21, 0x32a5705f, v12
	v_cvt_i32_f32_e32 v20, v20
	s_delay_alu instid0(VALU_DEP_2) | instskip(NEXT) | instid1(VALU_DEP_1)
	v_add_f32_e32 v13, v13, v21
	v_exp_f32_e32 v13, v13
	v_nop
	s_delay_alu instid0(TRANS32_DEP_1) | instskip(NEXT) | instid1(VALU_DEP_1)
	v_ldexp_f32 v13, v13, v20
	v_cndmask_b32_e32 v13, 0, v13, vcc_lo
	v_cmp_nlt_f32_e32 vcc_lo, 0x42b17218, v12
	s_delay_alu instid0(VALU_DEP_2) | instskip(NEXT) | instid1(VALU_DEP_1)
	v_cndmask_b32_e32 v12, 0x7f800000, v13, vcc_lo
	v_add_f32_e32 v12, 1.0, v12
	s_delay_alu instid0(VALU_DEP_1) | instskip(SKIP_1) | instid1(TRANS32_DEP_1)
	v_rcp_f32_e32 v12, v12
	v_nop
	v_fma_f32 v12, v12, -2.0, 1.0
.LBB38_12:                              ;   in Loop: Header=BB38_3 Depth=1
	s_and_not1_saveexec_b32 s0, s0
	s_cbranch_execz .LBB38_2
; %bb.13:                               ;   in Loop: Header=BB38_3 Depth=1
	v_mul_f32_e32 v12, v10, v10
	s_delay_alu instid0(VALU_DEP_1) | instskip(NEXT) | instid1(VALU_DEP_1)
	v_fmaak_f32 v13, s1, v12, 0x3ca908c9
	v_fmaak_f32 v13, v12, v13, 0xbd5c1c4e
	s_delay_alu instid0(VALU_DEP_1) | instskip(NEXT) | instid1(VALU_DEP_1)
	v_fmaak_f32 v13, v12, v13, 0x3e088382
	v_fmaak_f32 v13, v12, v13, 0xbeaaaa99
	s_delay_alu instid0(VALU_DEP_1) | instskip(NEXT) | instid1(VALU_DEP_1)
	v_mul_f32_e64 v13, |v10|, v13
	v_fma_f32 v12, v12, v13, |v10|
	s_branch .LBB38_2
.LBB38_14:
	s_endpgm
	.section	.rodata,"a",@progbits
	.p2align	6, 0x0
	.amdhsa_kernel _ZN2at6native12_GLOBAL__N_16kernel16gru_cell_forwardIfflLi1EEEvNS_4cuda6detail10TensorInfoIT_T1_EES9_S9_S9_S9_S9_S9_S8_S8_
		.amdhsa_group_segment_fixed_size 0
		.amdhsa_private_segment_fixed_size 0
		.amdhsa_kernarg_size 3184
		.amdhsa_user_sgpr_count 2
		.amdhsa_user_sgpr_dispatch_ptr 0
		.amdhsa_user_sgpr_queue_ptr 0
		.amdhsa_user_sgpr_kernarg_segment_ptr 1
		.amdhsa_user_sgpr_dispatch_id 0
		.amdhsa_user_sgpr_kernarg_preload_length 0
		.amdhsa_user_sgpr_kernarg_preload_offset 0
		.amdhsa_user_sgpr_private_segment_size 0
		.amdhsa_wavefront_size32 1
		.amdhsa_uses_dynamic_stack 0
		.amdhsa_enable_private_segment 0
		.amdhsa_system_sgpr_workgroup_id_x 1
		.amdhsa_system_sgpr_workgroup_id_y 0
		.amdhsa_system_sgpr_workgroup_id_z 0
		.amdhsa_system_sgpr_workgroup_info 0
		.amdhsa_system_vgpr_workitem_id 0
		.amdhsa_next_free_vgpr 36
		.amdhsa_next_free_sgpr 59
		.amdhsa_named_barrier_count 0
		.amdhsa_reserve_vcc 1
		.amdhsa_float_round_mode_32 0
		.amdhsa_float_round_mode_16_64 0
		.amdhsa_float_denorm_mode_32 3
		.amdhsa_float_denorm_mode_16_64 3
		.amdhsa_fp16_overflow 0
		.amdhsa_memory_ordered 1
		.amdhsa_forward_progress 1
		.amdhsa_inst_pref_size 22
		.amdhsa_round_robin_scheduling 0
		.amdhsa_exception_fp_ieee_invalid_op 0
		.amdhsa_exception_fp_denorm_src 0
		.amdhsa_exception_fp_ieee_div_zero 0
		.amdhsa_exception_fp_ieee_overflow 0
		.amdhsa_exception_fp_ieee_underflow 0
		.amdhsa_exception_fp_ieee_inexact 0
		.amdhsa_exception_int_div_zero 0
	.end_amdhsa_kernel
	.section	.text._ZN2at6native12_GLOBAL__N_16kernel16gru_cell_forwardIfflLi1EEEvNS_4cuda6detail10TensorInfoIT_T1_EES9_S9_S9_S9_S9_S9_S8_S8_,"axG",@progbits,_ZN2at6native12_GLOBAL__N_16kernel16gru_cell_forwardIfflLi1EEEvNS_4cuda6detail10TensorInfoIT_T1_EES9_S9_S9_S9_S9_S9_S8_S8_,comdat
.Lfunc_end38:
	.size	_ZN2at6native12_GLOBAL__N_16kernel16gru_cell_forwardIfflLi1EEEvNS_4cuda6detail10TensorInfoIT_T1_EES9_S9_S9_S9_S9_S9_S8_S8_, .Lfunc_end38-_ZN2at6native12_GLOBAL__N_16kernel16gru_cell_forwardIfflLi1EEEvNS_4cuda6detail10TensorInfoIT_T1_EES9_S9_S9_S9_S9_S9_S8_S8_
                                        ; -- End function
	.set _ZN2at6native12_GLOBAL__N_16kernel16gru_cell_forwardIfflLi1EEEvNS_4cuda6detail10TensorInfoIT_T1_EES9_S9_S9_S9_S9_S9_S8_S8_.num_vgpr, 36
	.set _ZN2at6native12_GLOBAL__N_16kernel16gru_cell_forwardIfflLi1EEEvNS_4cuda6detail10TensorInfoIT_T1_EES9_S9_S9_S9_S9_S9_S8_S8_.num_agpr, 0
	.set _ZN2at6native12_GLOBAL__N_16kernel16gru_cell_forwardIfflLi1EEEvNS_4cuda6detail10TensorInfoIT_T1_EES9_S9_S9_S9_S9_S9_S8_S8_.numbered_sgpr, 59
	.set _ZN2at6native12_GLOBAL__N_16kernel16gru_cell_forwardIfflLi1EEEvNS_4cuda6detail10TensorInfoIT_T1_EES9_S9_S9_S9_S9_S9_S8_S8_.num_named_barrier, 0
	.set _ZN2at6native12_GLOBAL__N_16kernel16gru_cell_forwardIfflLi1EEEvNS_4cuda6detail10TensorInfoIT_T1_EES9_S9_S9_S9_S9_S9_S8_S8_.private_seg_size, 0
	.set _ZN2at6native12_GLOBAL__N_16kernel16gru_cell_forwardIfflLi1EEEvNS_4cuda6detail10TensorInfoIT_T1_EES9_S9_S9_S9_S9_S9_S8_S8_.uses_vcc, 1
	.set _ZN2at6native12_GLOBAL__N_16kernel16gru_cell_forwardIfflLi1EEEvNS_4cuda6detail10TensorInfoIT_T1_EES9_S9_S9_S9_S9_S9_S8_S8_.uses_flat_scratch, 0
	.set _ZN2at6native12_GLOBAL__N_16kernel16gru_cell_forwardIfflLi1EEEvNS_4cuda6detail10TensorInfoIT_T1_EES9_S9_S9_S9_S9_S9_S8_S8_.has_dyn_sized_stack, 0
	.set _ZN2at6native12_GLOBAL__N_16kernel16gru_cell_forwardIfflLi1EEEvNS_4cuda6detail10TensorInfoIT_T1_EES9_S9_S9_S9_S9_S9_S8_S8_.has_recursion, 0
	.set _ZN2at6native12_GLOBAL__N_16kernel16gru_cell_forwardIfflLi1EEEvNS_4cuda6detail10TensorInfoIT_T1_EES9_S9_S9_S9_S9_S9_S8_S8_.has_indirect_call, 0
	.section	.AMDGPU.csdata,"",@progbits
; Kernel info:
; codeLenInByte = 2764
; TotalNumSgprs: 61
; NumVgprs: 36
; ScratchSize: 0
; MemoryBound: 0
; FloatMode: 240
; IeeeMode: 1
; LDSByteSize: 0 bytes/workgroup (compile time only)
; SGPRBlocks: 0
; VGPRBlocks: 2
; NumSGPRsForWavesPerEU: 61
; NumVGPRsForWavesPerEU: 36
; NamedBarCnt: 0
; Occupancy: 16
; WaveLimiterHint : 1
; COMPUTE_PGM_RSRC2:SCRATCH_EN: 0
; COMPUTE_PGM_RSRC2:USER_SGPR: 2
; COMPUTE_PGM_RSRC2:TRAP_HANDLER: 0
; COMPUTE_PGM_RSRC2:TGID_X_EN: 1
; COMPUTE_PGM_RSRC2:TGID_Y_EN: 0
; COMPUTE_PGM_RSRC2:TGID_Z_EN: 0
; COMPUTE_PGM_RSRC2:TIDIG_COMP_CNT: 0
	.section	.text._ZN2at6native12_GLOBAL__N_16kernel16gru_cell_forwardIfflLi2EEEvNS_4cuda6detail10TensorInfoIT_T1_EES9_S9_S9_S9_S9_S9_S8_S8_,"axG",@progbits,_ZN2at6native12_GLOBAL__N_16kernel16gru_cell_forwardIfflLi2EEEvNS_4cuda6detail10TensorInfoIT_T1_EES9_S9_S9_S9_S9_S9_S8_S8_,comdat
	.globl	_ZN2at6native12_GLOBAL__N_16kernel16gru_cell_forwardIfflLi2EEEvNS_4cuda6detail10TensorInfoIT_T1_EES9_S9_S9_S9_S9_S9_S8_S8_ ; -- Begin function _ZN2at6native12_GLOBAL__N_16kernel16gru_cell_forwardIfflLi2EEEvNS_4cuda6detail10TensorInfoIT_T1_EES9_S9_S9_S9_S9_S9_S8_S8_
	.p2align	8
	.type	_ZN2at6native12_GLOBAL__N_16kernel16gru_cell_forwardIfflLi2EEEvNS_4cuda6detail10TensorInfoIT_T1_EES9_S9_S9_S9_S9_S9_S8_S8_,@function
_ZN2at6native12_GLOBAL__N_16kernel16gru_cell_forwardIfflLi2EEEvNS_4cuda6detail10TensorInfoIT_T1_EES9_S9_S9_S9_S9_S9_S8_S8_: ; @_ZN2at6native12_GLOBAL__N_16kernel16gru_cell_forwardIfflLi2EEEvNS_4cuda6detail10TensorInfoIT_T1_EES9_S9_S9_S9_S9_S9_S8_S8_
; %bb.0:
	s_clause 0x1
	s_load_b32 s2, s[0:1], 0xb7c
	s_load_b128 s[4:7], s[0:1], 0xb60
	s_bfe_u32 s3, ttmp6, 0x4000c
	s_and_b32 s8, ttmp6, 15
	s_add_co_i32 s3, s3, 1
	s_getreg_b32 s9, hwreg(HW_REG_IB_STS2, 6, 4)
	s_mul_i32 s3, ttmp9, s3
	v_mov_b32_e32 v2, 0
	s_add_co_i32 s8, s8, s3
	s_delay_alu instid0(VALU_DEP_1)
	v_mov_b32_e32 v1, v2
	s_wait_kmcnt 0x0
	s_and_b32 s2, s2, 0xffff
	s_cmp_eq_u32 s9, 0
	s_cselect_b32 s3, ttmp9, s8
	s_mov_b32 s8, exec_lo
	v_mad_u32 v0, s3, s2, v0
	s_mov_b32 s3, 0
	s_delay_alu instid0(VALU_DEP_1)
	v_cmpx_gt_i64_e64 s[6:7], v[0:1]
	s_cbranch_execz .LBB39_66
; %bb.1:
	s_add_nc_u64 s[20:21], s[0:1], 0xb70
	v_cvt_f32_u32_e32 v3, s4
	s_clause 0x4
	s_load_b64 s[28:29], s[0:1], 0x0
	s_load_b64 s[30:31], s[0:1], 0x10
	;; [unrolled: 1-line block ×3, first 2 shown]
	s_load_b128 s[8:11], s[0:1], 0xd0
	s_load_b64 s[36:37], s[0:1], 0x1a0
	s_load_b32 s33, s[20:21], 0x0
	s_clause 0x9
	s_load_b64 s[38:39], s[0:1], 0x1b0
	s_load_b128 s[12:15], s[0:1], 0x270
	s_load_b64 s[40:41], s[0:1], 0x680
	s_load_b64 s[42:43], s[0:1], 0x690
	;; [unrolled: 1-line block ×6, first 2 shown]
	s_load_b128 s[16:19], s[0:1], 0x750
	; meta instruction
	s_load_b64 s[52:53], s[0:1], 0x820
	s_wait_xcnt 0x0
	s_clause 0x3
	s_load_b128 s[20:23], s[0:1], 0x8f0
	s_load_b64 s[54:55], s[0:1], 0x9c0
	s_load_b64 s[56:57], s[0:1], 0x9d0
	s_load_b128 s[24:27], s[0:1], 0xa90
	s_mov_b32 s59, s3
	s_sub_nc_u64 s[64:65], 0, s[4:5]
	v_rcp_iflag_f32_e32 v3, v3
	s_wait_kmcnt 0x0
	s_cmp_lg_u64 s[34:35], 0
	s_mov_b64 s[68:69], 0xffffffff
	s_cselect_b32 s1, -1, 0
	s_mul_i32 s58, s33, s2
	s_lshl_b64 s[60:61], s[4:5], 1
	s_lshl_b64 s[62:63], s[4:5], 2
	v_nop
	v_mul_f32_e32 v3, 0x4f7ffffe, v3
	s_sub_nc_u64 s[66:67], 0, s[42:43]
	s_mov_b32 s33, 0xbbbac73d
	s_ashr_i32 s72, s5, 31
	s_mov_b32 s78, 0
	v_cvt_u32_f32_e32 v30, v3
	s_sub_nc_u64 s[70:71], 0, s[50:51]
	s_branch .LBB39_3
.LBB39_2:                               ;   in Loop: Header=BB39_3 Depth=1
	s_or_b32 exec_lo, exec_lo, s0
	s_delay_alu instid0(VALU_DEP_1) | instskip(NEXT) | instid1(VALU_DEP_1)
	v_mul_u64_e32 v[8:9], s[56:57], v[10:11]
	v_sub_nc_u64_e32 v[4:5], v[4:5], v[8:9]
	v_mul_u64_e32 v[8:9], s[24:25], v[10:11]
	s_delay_alu instid0(VALU_DEP_2) | instskip(SKIP_1) | instid1(VALU_DEP_2)
	v_add_nc_u64_e32 v[4:5], v[0:1], v[4:5]
	v_add_nc_u64_e32 v[0:1], s[58:59], v[0:1]
	v_mul_u64_e32 v[4:5], s[26:27], v[4:5]
	s_delay_alu instid0(VALU_DEP_2) | instskip(SKIP_2) | instid1(VALU_DEP_1)
	v_cmp_le_i64_e32 vcc_lo, s[6:7], v[0:1]
	s_or_b32 s78, vcc_lo, s78
	v_lshl_add_u64 v[8:9], v[8:9], 2, s[54:55]
	v_lshl_add_u64 v[4:5], v[4:5], 2, v[8:9]
	global_store_b32 v[4:5], v7, off
	s_wait_xcnt 0x0
	s_and_not1_b32 exec_lo, exec_lo, s78
	s_cbranch_execz .LBB39_66
.LBB39_3:                               ; =>This Inner Loop Header: Depth=1
	v_dual_ashrrev_i32 v6, 31, v1 :: v_dual_bitop2_b32 v3, s5, v1 bitop3:0x54
                                        ; implicit-def: $vgpr4_vgpr5
	s_mov_b32 s0, exec_lo
	s_delay_alu instid0(VALU_DEP_1)
	v_cmpx_ne_u64_e32 0, v[2:3]
	s_xor_b32 s76, exec_lo, s0
	s_cbranch_execz .LBB39_5
; %bb.4:                                ;   in Loop: Header=BB39_3 Depth=1
	s_mov_b32 s73, s72
	v_dual_mov_b32 v7, v6 :: v_dual_mov_b32 v9, v2
	s_add_nc_u64 s[74:75], s[4:5], s[72:73]
	v_mov_b32_e32 v13, v2
	s_xor_b64 s[74:75], s[74:75], s[72:73]
	s_delay_alu instid0(VALU_DEP_2) | instskip(SKIP_4) | instid1(SALU_CYCLE_1)
	v_add_nc_u64_e32 v[4:5], v[0:1], v[6:7]
	s_cvt_f32_u32 s0, s74
	s_cvt_f32_u32 s2, s75
	s_sub_nc_u64 s[82:83], 0, s[74:75]
	v_mov_b32_e32 v17, v2
	s_fmamk_f32 s0, s2, 0x4f800000, s0
	s_delay_alu instid0(VALU_DEP_2) | instskip(SKIP_1) | instid1(SALU_CYCLE_1)
	v_xor_b32_e32 v8, v4, v6
	v_xor_b32_e32 v12, v5, v6
	v_s_rcp_f32 s0, s0
	s_delay_alu instid0(TRANS32_DEP_1) | instskip(NEXT) | instid1(SALU_CYCLE_3)
	s_mul_f32 s0, s0, 0x5f7ffffc
	s_mul_f32 s2, s0, 0x2f800000
	s_delay_alu instid0(SALU_CYCLE_3) | instskip(NEXT) | instid1(SALU_CYCLE_3)
	s_trunc_f32 s2, s2
	s_fmamk_f32 s0, s2, 0xcf800000, s0
	s_cvt_u32_f32 s81, s2
	s_delay_alu instid0(SALU_CYCLE_2) | instskip(NEXT) | instid1(SALU_CYCLE_3)
	s_cvt_u32_f32 s80, s0
	s_mul_u64 s[84:85], s[82:83], s[80:81]
	s_delay_alu instid0(SALU_CYCLE_1)
	s_mul_hi_u32 s87, s80, s85
	s_mul_i32 s86, s80, s85
	s_mul_hi_u32 s2, s80, s84
	s_mul_i32 s73, s81, s84
	s_add_nc_u64 s[86:87], s[2:3], s[86:87]
	s_mul_hi_u32 s0, s81, s84
	s_mul_hi_u32 s77, s81, s85
	s_add_co_u32 s2, s86, s73
	s_add_co_ci_u32 s2, s87, s0
	s_mul_i32 s84, s81, s85
	s_add_co_ci_u32 s85, s77, 0
	s_delay_alu instid0(SALU_CYCLE_1) | instskip(NEXT) | instid1(SALU_CYCLE_1)
	s_add_nc_u64 s[84:85], s[2:3], s[84:85]
	s_add_co_u32 s80, s80, s84
	s_cselect_b32 s0, -1, 0
	s_delay_alu instid0(SALU_CYCLE_1) | instskip(SKIP_1) | instid1(SALU_CYCLE_1)
	s_cmp_lg_u32 s0, 0
	s_add_co_ci_u32 s81, s81, s85
	s_mul_u64 s[82:83], s[82:83], s[80:81]
	s_delay_alu instid0(SALU_CYCLE_1)
	s_mul_hi_u32 s85, s80, s83
	s_mul_i32 s84, s80, s83
	s_mul_hi_u32 s2, s80, s82
	s_mul_i32 s73, s81, s82
	s_add_nc_u64 s[84:85], s[2:3], s[84:85]
	s_mul_hi_u32 s0, s81, s82
	s_mul_hi_u32 s77, s81, s83
	s_add_co_u32 s2, s84, s73
	s_add_co_ci_u32 s2, s85, s0
	s_mul_i32 s82, s81, s83
	s_add_co_ci_u32 s83, s77, 0
	s_delay_alu instid0(SALU_CYCLE_1) | instskip(NEXT) | instid1(SALU_CYCLE_1)
	s_add_nc_u64 s[82:83], s[2:3], s[82:83]
	s_add_co_u32 s0, s80, s82
	s_cselect_b32 s2, -1, 0
	v_nop
	v_mul_hi_u32 v16, v8, s0
	s_cmp_lg_u32 s2, 0
	s_add_co_ci_u32 s2, s81, s83
	s_and_b64 s[80:81], s[0:1], s[68:69]
	v_mul_u64_e32 v[10:11], s[2:3], v[8:9]
	v_mul_u64_e32 v[4:5], s[80:81], v[12:13]
	;; [unrolled: 1-line block ×3, first 2 shown]
	s_delay_alu instid0(VALU_DEP_3) | instskip(NEXT) | instid1(VALU_DEP_1)
	v_add_nc_u64_e32 v[10:11], v[16:17], v[10:11]
	v_add_co_u32 v3, vcc_lo, v10, v4
	s_delay_alu instid0(VALU_DEP_2) | instskip(NEXT) | instid1(VALU_DEP_4)
	v_add_co_ci_u32_e32 v16, vcc_lo, v11, v5, vcc_lo
	v_add_co_ci_u32_e32 v15, vcc_lo, 0, v15, vcc_lo
	s_delay_alu instid0(VALU_DEP_1) | instskip(NEXT) | instid1(VALU_DEP_1)
	v_add_nc_u64_e32 v[4:5], v[16:17], v[14:15]
	v_mul_u64_e32 v[10:11], s[74:75], v[4:5]
	s_delay_alu instid0(VALU_DEP_1) | instskip(NEXT) | instid1(VALU_DEP_2)
	v_sub_nc_u32_e32 v3, v12, v11
	v_sub_co_u32 v7, vcc_lo, v8, v10
	s_delay_alu instid0(VALU_DEP_1) | instskip(NEXT) | instid1(VALU_DEP_3)
	v_sub_co_ci_u32_e64 v12, null, v12, v11, vcc_lo
	v_subrev_co_ci_u32_e64 v3, null, s75, v3, vcc_lo
	s_delay_alu instid0(VALU_DEP_3) | instskip(SKIP_1) | instid1(VALU_DEP_3)
	v_sub_co_u32 v8, s0, v7, s74
	v_add_nc_u64_e32 v[10:11], 1, v[4:5]
	v_subrev_co_ci_u32_e64 v3, null, 0, v3, s0
	s_delay_alu instid0(VALU_DEP_3) | instskip(SKIP_1) | instid1(VALU_DEP_3)
	v_cmp_le_u32_e32 vcc_lo, s74, v8
	v_cndmask_b32_e64 v8, 0, -1, vcc_lo
	v_cmp_le_u32_e32 vcc_lo, s75, v3
	v_cndmask_b32_e64 v9, 0, -1, vcc_lo
	;; [unrolled: 2-line block ×4, first 2 shown]
	v_cmp_eq_u32_e32 vcc_lo, s75, v3
	v_cndmask_b32_e32 v3, v9, v8, vcc_lo
	v_cmp_eq_u32_e32 vcc_lo, s75, v12
	v_add_nc_u64_e32 v[8:9], 2, v[4:5]
	v_cndmask_b32_e32 v7, v13, v7, vcc_lo
	s_delay_alu instid0(VALU_DEP_4) | instskip(NEXT) | instid1(VALU_DEP_3)
	v_cmp_ne_u32_e32 vcc_lo, 0, v3
	v_cndmask_b32_e32 v3, v11, v9, vcc_lo
	s_delay_alu instid0(VALU_DEP_3) | instskip(SKIP_1) | instid1(VALU_DEP_1)
	v_cmp_ne_u32_e64 s0, 0, v7
	v_dual_cndmask_b32 v7, v10, v8, vcc_lo :: v_dual_bitop2_b32 v8, s72, v6 bitop3:0x14
	v_dual_cndmask_b32 v3, v5, v3, s0 :: v_dual_mov_b32 v9, v8
	s_delay_alu instid0(VALU_DEP_1) | instskip(NEXT) | instid1(VALU_DEP_1)
	v_dual_cndmask_b32 v4, v4, v7, s0 :: v_dual_bitop2_b32 v5, v3, v8 bitop3:0x14
	v_xor_b32_e32 v4, v4, v8
	s_delay_alu instid0(VALU_DEP_1)
	v_sub_nc_u64_e32 v[4:5], v[4:5], v[8:9]
.LBB39_5:                               ;   in Loop: Header=BB39_3 Depth=1
	s_and_not1_saveexec_b32 s0, s76
	s_cbranch_execz .LBB39_7
; %bb.6:                                ;   in Loop: Header=BB39_3 Depth=1
	s_sub_co_i32 s2, 0, s4
	s_delay_alu instid0(SALU_CYCLE_1) | instskip(NEXT) | instid1(VALU_DEP_1)
	v_mul_lo_u32 v3, s2, v30
	v_mul_hi_u32 v3, v30, v3
	s_delay_alu instid0(VALU_DEP_1) | instskip(NEXT) | instid1(VALU_DEP_1)
	v_add_nc_u32_e32 v3, v30, v3
	v_mul_hi_u32 v3, v0, v3
	s_delay_alu instid0(VALU_DEP_1) | instskip(NEXT) | instid1(VALU_DEP_1)
	v_mul_lo_u32 v4, v3, s4
	v_dual_add_nc_u32 v5, 1, v3 :: v_dual_sub_nc_u32 v4, v0, v4
	s_delay_alu instid0(VALU_DEP_1) | instskip(SKIP_1) | instid1(VALU_DEP_2)
	v_subrev_nc_u32_e32 v7, s4, v4
	v_cmp_le_u32_e32 vcc_lo, s4, v4
	v_dual_cndmask_b32 v4, v4, v7 :: v_dual_cndmask_b32 v3, v3, v5
	s_delay_alu instid0(VALU_DEP_1) | instskip(NEXT) | instid1(VALU_DEP_2)
	v_cmp_le_u32_e32 vcc_lo, s4, v4
	v_add_nc_u32_e32 v5, 1, v3
	s_delay_alu instid0(VALU_DEP_1)
	v_dual_cndmask_b32 v4, v3, v5 :: v_dual_mov_b32 v5, v2
.LBB39_7:                               ;   in Loop: Header=BB39_3 Depth=1
	s_or_b32 exec_lo, exec_lo, s0
	s_delay_alu instid0(VALU_DEP_1) | instskip(SKIP_1) | instid1(VALU_DEP_1)
	v_mul_u64_e32 v[10:11], s[60:61], v[4:5]
                                        ; implicit-def: $vgpr8_vgpr9
	s_mov_b32 s0, exec_lo
	v_add_nc_u64_e32 v[22:23], v[0:1], v[10:11]
	s_delay_alu instid0(VALU_DEP_1) | instskip(NEXT) | instid1(VALU_DEP_1)
	v_dual_ashrrev_i32 v16, 31, v23 :: v_dual_bitop2_b32 v3, s31, v23 bitop3:0x54
	v_cmpx_ne_u64_e32 0, v[2:3]
	s_xor_b32 s73, exec_lo, s0
	s_cbranch_execz .LBB39_9
; %bb.8:                                ;   in Loop: Header=BB39_3 Depth=1
	s_ashr_i32 s74, s31, 31
	v_dual_mov_b32 v17, v16 :: v_dual_mov_b32 v13, v2
	s_mov_b32 s75, s74
	v_mov_b32_e32 v19, v2
	s_add_nc_u64 s[76:77], s[30:31], s[74:75]
	s_delay_alu instid0(VALU_DEP_2)
	v_add_nc_u64_e32 v[8:9], v[22:23], v[16:17]
	s_xor_b64 s[76:77], s[76:77], s[74:75]
	v_mov_b32_e32 v25, v2
	s_cvt_f32_u32 s0, s76
	s_cvt_f32_u32 s2, s77
	s_sub_nc_u64 s[82:83], 0, s[76:77]
	s_delay_alu instid0(VALU_DEP_2) | instskip(NEXT) | instid1(SALU_CYCLE_1)
	v_xor_b32_e32 v12, v8, v16
	s_fmamk_f32 s0, s2, 0x4f800000, s0
	v_xor_b32_e32 v18, v9, v16
	s_delay_alu instid0(SALU_CYCLE_2) | instskip(NEXT) | instid1(TRANS32_DEP_1)
	v_s_rcp_f32 s0, s0
	s_mul_f32 s0, s0, 0x5f7ffffc
	s_delay_alu instid0(SALU_CYCLE_3) | instskip(NEXT) | instid1(SALU_CYCLE_3)
	s_mul_f32 s2, s0, 0x2f800000
	s_trunc_f32 s2, s2
	s_delay_alu instid0(SALU_CYCLE_3) | instskip(SKIP_1) | instid1(SALU_CYCLE_2)
	s_fmamk_f32 s0, s2, 0xcf800000, s0
	s_cvt_u32_f32 s81, s2
	s_cvt_u32_f32 s80, s0
	s_delay_alu instid0(SALU_CYCLE_3) | instskip(NEXT) | instid1(SALU_CYCLE_1)
	s_mul_u64 s[84:85], s[82:83], s[80:81]
	s_mul_hi_u32 s87, s80, s85
	s_mul_i32 s86, s80, s85
	s_mul_hi_u32 s2, s80, s84
	s_mul_i32 s75, s81, s84
	s_add_nc_u64 s[86:87], s[2:3], s[86:87]
	s_mul_hi_u32 s0, s81, s84
	s_mul_hi_u32 s79, s81, s85
	s_add_co_u32 s2, s86, s75
	s_add_co_ci_u32 s2, s87, s0
	s_mul_i32 s84, s81, s85
	s_add_co_ci_u32 s85, s79, 0
	s_delay_alu instid0(SALU_CYCLE_1) | instskip(NEXT) | instid1(SALU_CYCLE_1)
	s_add_nc_u64 s[84:85], s[2:3], s[84:85]
	s_add_co_u32 s80, s80, s84
	s_cselect_b32 s0, -1, 0
	s_delay_alu instid0(SALU_CYCLE_1) | instskip(SKIP_1) | instid1(SALU_CYCLE_1)
	s_cmp_lg_u32 s0, 0
	s_add_co_ci_u32 s81, s81, s85
	s_mul_u64 s[82:83], s[82:83], s[80:81]
	s_delay_alu instid0(SALU_CYCLE_1)
	s_mul_hi_u32 s85, s80, s83
	s_mul_i32 s84, s80, s83
	s_mul_hi_u32 s2, s80, s82
	s_mul_i32 s75, s81, s82
	s_add_nc_u64 s[84:85], s[2:3], s[84:85]
	s_mul_hi_u32 s0, s81, s82
	s_mul_hi_u32 s79, s81, s83
	s_add_co_u32 s2, s84, s75
	s_add_co_ci_u32 s2, s85, s0
	s_mul_i32 s82, s81, s83
	s_add_co_ci_u32 s83, s79, 0
	s_delay_alu instid0(SALU_CYCLE_1) | instskip(NEXT) | instid1(SALU_CYCLE_1)
	s_add_nc_u64 s[82:83], s[2:3], s[82:83]
	s_add_co_u32 s0, s80, s82
	s_cselect_b32 s2, -1, 0
	v_nop
	v_mul_hi_u32 v24, v12, s0
	s_cmp_lg_u32 s2, 0
	s_add_co_ci_u32 s2, s81, s83
	s_and_b64 s[80:81], s[0:1], s[68:69]
	v_mul_u64_e32 v[14:15], s[2:3], v[12:13]
	v_mul_u64_e32 v[8:9], s[80:81], v[18:19]
	;; [unrolled: 1-line block ×3, first 2 shown]
	s_delay_alu instid0(VALU_DEP_3) | instskip(NEXT) | instid1(VALU_DEP_1)
	v_add_nc_u64_e32 v[14:15], v[24:25], v[14:15]
	v_add_co_u32 v3, vcc_lo, v14, v8
	s_delay_alu instid0(VALU_DEP_2) | instskip(NEXT) | instid1(VALU_DEP_4)
	v_add_co_ci_u32_e32 v24, vcc_lo, v15, v9, vcc_lo
	v_add_co_ci_u32_e32 v21, vcc_lo, 0, v21, vcc_lo
	s_delay_alu instid0(VALU_DEP_1) | instskip(NEXT) | instid1(VALU_DEP_1)
	v_add_nc_u64_e32 v[8:9], v[24:25], v[20:21]
	v_mul_u64_e32 v[14:15], s[76:77], v[8:9]
	s_delay_alu instid0(VALU_DEP_1) | instskip(NEXT) | instid1(VALU_DEP_2)
	v_sub_nc_u32_e32 v3, v18, v15
	v_sub_co_u32 v7, vcc_lo, v12, v14
	s_delay_alu instid0(VALU_DEP_1) | instskip(NEXT) | instid1(VALU_DEP_3)
	v_sub_co_ci_u32_e64 v17, null, v18, v15, vcc_lo
	v_subrev_co_ci_u32_e64 v3, null, s77, v3, vcc_lo
	s_delay_alu instid0(VALU_DEP_3) | instskip(SKIP_1) | instid1(VALU_DEP_3)
	v_sub_co_u32 v12, s0, v7, s76
	v_add_nc_u64_e32 v[14:15], 1, v[8:9]
	v_subrev_co_ci_u32_e64 v3, null, 0, v3, s0
	s_delay_alu instid0(VALU_DEP_3) | instskip(SKIP_1) | instid1(VALU_DEP_3)
	v_cmp_le_u32_e32 vcc_lo, s76, v12
	v_cndmask_b32_e64 v12, 0, -1, vcc_lo
	v_cmp_le_u32_e32 vcc_lo, s77, v3
	v_cndmask_b32_e64 v13, 0, -1, vcc_lo
	;; [unrolled: 2-line block ×4, first 2 shown]
	v_cmp_eq_u32_e32 vcc_lo, s77, v3
	v_cndmask_b32_e32 v3, v13, v12, vcc_lo
	v_cmp_eq_u32_e32 vcc_lo, s77, v17
	v_add_nc_u64_e32 v[12:13], 2, v[8:9]
	v_cndmask_b32_e32 v7, v18, v7, vcc_lo
	s_delay_alu instid0(VALU_DEP_4) | instskip(NEXT) | instid1(VALU_DEP_2)
	v_cmp_ne_u32_e32 vcc_lo, 0, v3
	v_cmp_ne_u32_e64 s0, 0, v7
	s_delay_alu instid0(VALU_DEP_4) | instskip(NEXT) | instid1(VALU_DEP_1)
	v_dual_cndmask_b32 v3, v15, v13, vcc_lo :: v_dual_cndmask_b32 v7, v14, v12, vcc_lo
	v_dual_cndmask_b32 v3, v9, v3, s0 :: v_dual_bitop2_b32 v12, s74, v16 bitop3:0x14
	s_delay_alu instid0(VALU_DEP_1) | instskip(NEXT) | instid1(VALU_DEP_2)
	v_mov_b32_e32 v13, v12
	v_dual_cndmask_b32 v7, v8, v7, s0 :: v_dual_bitop2_b32 v9, v3, v12 bitop3:0x14
	s_delay_alu instid0(VALU_DEP_1) | instskip(NEXT) | instid1(VALU_DEP_1)
	v_xor_b32_e32 v8, v7, v12
	v_sub_nc_u64_e32 v[8:9], v[8:9], v[12:13]
.LBB39_9:                               ;   in Loop: Header=BB39_3 Depth=1
	s_or_saveexec_b32 s0, s73
	v_cvt_f32_u32_e32 v7, s30
	s_xor_b32 exec_lo, exec_lo, s0
	s_cbranch_execz .LBB39_11
; %bb.10:                               ;   in Loop: Header=BB39_3 Depth=1
	s_delay_alu instid0(VALU_DEP_1) | instskip(SKIP_2) | instid1(TRANS32_DEP_1)
	v_rcp_iflag_f32_e32 v3, v7
	s_sub_co_i32 s2, 0, s30
	v_nop
	v_mul_f32_e32 v3, 0x4f7ffffe, v3
	s_delay_alu instid0(VALU_DEP_1) | instskip(NEXT) | instid1(VALU_DEP_1)
	v_cvt_u32_f32_e32 v3, v3
	v_mul_lo_u32 v8, s2, v3
	s_delay_alu instid0(VALU_DEP_1) | instskip(NEXT) | instid1(VALU_DEP_1)
	v_mul_hi_u32 v8, v3, v8
	v_add_nc_u32_e32 v3, v3, v8
	s_delay_alu instid0(VALU_DEP_1) | instskip(NEXT) | instid1(VALU_DEP_1)
	v_mul_hi_u32 v3, v22, v3
	v_mul_lo_u32 v8, v3, s30
	s_delay_alu instid0(VALU_DEP_1) | instskip(NEXT) | instid1(VALU_DEP_1)
	v_sub_nc_u32_e32 v8, v22, v8
	v_subrev_nc_u32_e32 v12, s30, v8
	v_cmp_le_u32_e32 vcc_lo, s30, v8
	s_delay_alu instid0(VALU_DEP_2) | instskip(NEXT) | instid1(VALU_DEP_1)
	v_dual_cndmask_b32 v8, v8, v12 :: v_dual_add_nc_u32 v9, 1, v3
	v_cndmask_b32_e32 v3, v3, v9, vcc_lo
	s_delay_alu instid0(VALU_DEP_2) | instskip(NEXT) | instid1(VALU_DEP_2)
	v_cmp_le_u32_e32 vcc_lo, s30, v8
	v_add_nc_u32_e32 v9, 1, v3
	s_delay_alu instid0(VALU_DEP_1)
	v_dual_cndmask_b32 v8, v3, v9 :: v_dual_mov_b32 v9, v2
.LBB39_11:                              ;   in Loop: Header=BB39_3 Depth=1
	s_or_b32 exec_lo, exec_lo, s0
	s_delay_alu instid0(VALU_DEP_1) | instskip(SKIP_2) | instid1(VALU_DEP_2)
	v_mul_u64_e32 v[12:13], s[30:31], v[8:9]
	v_mul_u64_e32 v[8:9], s[8:9], v[8:9]
                                        ; implicit-def: $vgpr14_vgpr15
	s_mov_b32 s0, exec_lo
	v_sub_nc_u64_e32 v[12:13], v[10:11], v[12:13]
	s_delay_alu instid0(VALU_DEP_2) | instskip(NEXT) | instid1(VALU_DEP_2)
	v_lshl_add_u64 v[8:9], v[8:9], 2, s[28:29]
	v_add_nc_u64_e32 v[12:13], v[0:1], v[12:13]
	s_delay_alu instid0(VALU_DEP_1) | instskip(NEXT) | instid1(VALU_DEP_1)
	v_mul_u64_e32 v[12:13], s[10:11], v[12:13]
	v_lshl_add_u64 v[8:9], v[12:13], 2, v[8:9]
	global_load_b32 v31, v[8:9], off
	s_wait_xcnt 0x0
	v_lshlrev_b64_e32 v[8:9], 1, v[4:5]
	s_delay_alu instid0(VALU_DEP_1) | instskip(NEXT) | instid1(VALU_DEP_1)
	v_mad_nc_u64_u32 v[12:13], s4, v8, s[4:5]
	v_mad_u32 v3, s5, v8, v13
	v_alignbit_b32 v13, v5, v4, 31
	s_delay_alu instid0(VALU_DEP_1) | instskip(NEXT) | instid1(VALU_DEP_1)
	v_mad_u32 v13, s4, v13, v3
	v_add_nc_u64_e32 v[26:27], v[0:1], v[12:13]
	s_delay_alu instid0(VALU_DEP_1) | instskip(NEXT) | instid1(VALU_DEP_1)
	v_dual_ashrrev_i32 v20, 31, v27 :: v_dual_bitop2_b32 v3, s31, v27 bitop3:0x54
	v_cmpx_ne_u64_e32 0, v[2:3]
	s_xor_b32 s73, exec_lo, s0
	s_cbranch_execz .LBB39_13
; %bb.12:                               ;   in Loop: Header=BB39_3 Depth=1
	s_ashr_i32 s74, s31, 31
	v_dual_mov_b32 v21, v20 :: v_dual_mov_b32 v19, v2
	s_mov_b32 s75, s74
	v_mov_b32_e32 v35, v2
	s_add_nc_u64 s[76:77], s[30:31], s[74:75]
	s_delay_alu instid0(VALU_DEP_2)
	v_add_nc_u64_e32 v[14:15], v[26:27], v[20:21]
	s_xor_b64 s[76:77], s[76:77], s[74:75]
	v_mov_b32_e32 v29, v2
	s_cvt_f32_u32 s0, s76
	s_cvt_f32_u32 s2, s77
	s_sub_nc_u64 s[82:83], 0, s[76:77]
	s_delay_alu instid0(VALU_DEP_2) | instskip(NEXT) | instid1(SALU_CYCLE_1)
	v_xor_b32_e32 v28, v15, v20
	s_fmamk_f32 s0, s2, 0x4f800000, s0
	v_xor_b32_e32 v18, v14, v20
	s_delay_alu instid0(SALU_CYCLE_2) | instskip(NEXT) | instid1(TRANS32_DEP_1)
	v_s_rcp_f32 s0, s0
	s_mul_f32 s0, s0, 0x5f7ffffc
	s_delay_alu instid0(SALU_CYCLE_3) | instskip(NEXT) | instid1(SALU_CYCLE_3)
	s_mul_f32 s2, s0, 0x2f800000
	s_trunc_f32 s2, s2
	s_delay_alu instid0(SALU_CYCLE_3) | instskip(SKIP_1) | instid1(SALU_CYCLE_2)
	s_fmamk_f32 s0, s2, 0xcf800000, s0
	s_cvt_u32_f32 s81, s2
	s_cvt_u32_f32 s80, s0
	s_delay_alu instid0(SALU_CYCLE_3) | instskip(NEXT) | instid1(SALU_CYCLE_1)
	s_mul_u64 s[84:85], s[82:83], s[80:81]
	s_mul_hi_u32 s87, s80, s85
	s_mul_i32 s86, s80, s85
	s_mul_hi_u32 s2, s80, s84
	s_mul_i32 s75, s81, s84
	s_add_nc_u64 s[86:87], s[2:3], s[86:87]
	s_mul_hi_u32 s0, s81, s84
	s_mul_hi_u32 s79, s81, s85
	s_add_co_u32 s2, s86, s75
	s_add_co_ci_u32 s2, s87, s0
	s_mul_i32 s84, s81, s85
	s_add_co_ci_u32 s85, s79, 0
	s_delay_alu instid0(SALU_CYCLE_1) | instskip(NEXT) | instid1(SALU_CYCLE_1)
	s_add_nc_u64 s[84:85], s[2:3], s[84:85]
	s_add_co_u32 s80, s80, s84
	s_cselect_b32 s0, -1, 0
	s_delay_alu instid0(SALU_CYCLE_1) | instskip(SKIP_1) | instid1(SALU_CYCLE_1)
	s_cmp_lg_u32 s0, 0
	s_add_co_ci_u32 s81, s81, s85
	s_mul_u64 s[82:83], s[82:83], s[80:81]
	s_delay_alu instid0(SALU_CYCLE_1)
	s_mul_hi_u32 s85, s80, s83
	s_mul_i32 s84, s80, s83
	s_mul_hi_u32 s2, s80, s82
	s_mul_i32 s75, s81, s82
	s_add_nc_u64 s[84:85], s[2:3], s[84:85]
	s_mul_hi_u32 s0, s81, s82
	s_mul_hi_u32 s79, s81, s83
	s_add_co_u32 s2, s84, s75
	s_add_co_ci_u32 s2, s85, s0
	s_mul_i32 s82, s81, s83
	s_add_co_ci_u32 s83, s79, 0
	s_delay_alu instid0(SALU_CYCLE_1) | instskip(NEXT) | instid1(SALU_CYCLE_1)
	s_add_nc_u64 s[82:83], s[2:3], s[82:83]
	s_add_co_u32 s0, s80, s82
	s_cselect_b32 s2, -1, 0
	v_nop
	v_mul_hi_u32 v34, v18, s0
	s_cmp_lg_u32 s2, 0
	s_add_co_ci_u32 s2, s81, s83
	s_and_b64 s[80:81], s[0:1], s[68:69]
	v_mul_u64_e32 v[24:25], s[2:3], v[18:19]
	v_mul_u64_e32 v[14:15], s[80:81], v[28:29]
	;; [unrolled: 1-line block ×3, first 2 shown]
	s_delay_alu instid0(VALU_DEP_3) | instskip(NEXT) | instid1(VALU_DEP_1)
	v_add_nc_u64_e32 v[24:25], v[34:35], v[24:25]
	v_add_co_u32 v3, vcc_lo, v24, v14
	s_delay_alu instid0(VALU_DEP_2) | instskip(NEXT) | instid1(VALU_DEP_4)
	v_add_co_ci_u32_e32 v34, vcc_lo, v25, v15, vcc_lo
	v_add_co_ci_u32_e32 v33, vcc_lo, 0, v33, vcc_lo
	s_delay_alu instid0(VALU_DEP_1) | instskip(NEXT) | instid1(VALU_DEP_1)
	v_add_nc_u64_e32 v[14:15], v[34:35], v[32:33]
	v_mul_u64_e32 v[24:25], s[76:77], v[14:15]
	s_delay_alu instid0(VALU_DEP_1) | instskip(NEXT) | instid1(VALU_DEP_2)
	v_sub_nc_u32_e32 v3, v28, v25
	v_sub_co_u32 v17, vcc_lo, v18, v24
	s_delay_alu instid0(VALU_DEP_1) | instskip(NEXT) | instid1(VALU_DEP_3)
	v_sub_co_ci_u32_e64 v21, null, v28, v25, vcc_lo
	v_subrev_co_ci_u32_e64 v3, null, s77, v3, vcc_lo
	s_delay_alu instid0(VALU_DEP_3) | instskip(SKIP_1) | instid1(VALU_DEP_3)
	v_sub_co_u32 v18, s0, v17, s76
	v_add_nc_u64_e32 v[24:25], 1, v[14:15]
	v_subrev_co_ci_u32_e64 v3, null, 0, v3, s0
	s_delay_alu instid0(VALU_DEP_3) | instskip(SKIP_1) | instid1(VALU_DEP_3)
	v_cmp_le_u32_e32 vcc_lo, s76, v18
	v_cndmask_b32_e64 v18, 0, -1, vcc_lo
	v_cmp_le_u32_e32 vcc_lo, s77, v3
	v_cndmask_b32_e64 v19, 0, -1, vcc_lo
	;; [unrolled: 2-line block ×4, first 2 shown]
	v_cmp_eq_u32_e32 vcc_lo, s77, v3
	v_cndmask_b32_e32 v3, v19, v18, vcc_lo
	v_cmp_eq_u32_e32 vcc_lo, s77, v21
	v_add_nc_u64_e32 v[18:19], 2, v[14:15]
	v_cndmask_b32_e32 v17, v28, v17, vcc_lo
	s_delay_alu instid0(VALU_DEP_4) | instskip(NEXT) | instid1(VALU_DEP_3)
	v_cmp_ne_u32_e32 vcc_lo, 0, v3
	v_cndmask_b32_e32 v3, v25, v19, vcc_lo
	s_delay_alu instid0(VALU_DEP_3) | instskip(SKIP_1) | instid1(VALU_DEP_1)
	v_cmp_ne_u32_e64 s0, 0, v17
	v_dual_cndmask_b32 v17, v24, v18, vcc_lo :: v_dual_bitop2_b32 v18, s74, v20 bitop3:0x14
	v_dual_cndmask_b32 v3, v15, v3, s0 :: v_dual_cndmask_b32 v14, v14, v17, s0
	s_delay_alu instid0(VALU_DEP_1) | instskip(NEXT) | instid1(VALU_DEP_2)
	v_dual_mov_b32 v19, v18 :: v_dual_bitop2_b32 v15, v3, v18 bitop3:0x14
	v_xor_b32_e32 v14, v14, v18
	s_delay_alu instid0(VALU_DEP_1)
	v_sub_nc_u64_e32 v[14:15], v[14:15], v[18:19]
.LBB39_13:                              ;   in Loop: Header=BB39_3 Depth=1
	s_and_not1_saveexec_b32 s0, s73
	s_cbranch_execz .LBB39_15
; %bb.14:                               ;   in Loop: Header=BB39_3 Depth=1
	v_rcp_iflag_f32_e32 v3, v7
	s_sub_co_i32 s2, 0, s30
	v_nop
	s_delay_alu instid0(TRANS32_DEP_1) | instskip(NEXT) | instid1(VALU_DEP_1)
	v_mul_f32_e32 v3, 0x4f7ffffe, v3
	v_cvt_u32_f32_e32 v3, v3
	s_delay_alu instid0(VALU_DEP_1) | instskip(NEXT) | instid1(VALU_DEP_1)
	v_mul_lo_u32 v14, s2, v3
	v_mul_hi_u32 v14, v3, v14
	s_delay_alu instid0(VALU_DEP_1) | instskip(NEXT) | instid1(VALU_DEP_1)
	v_add_nc_u32_e32 v3, v3, v14
	v_mul_hi_u32 v3, v26, v3
	s_delay_alu instid0(VALU_DEP_1) | instskip(NEXT) | instid1(VALU_DEP_1)
	v_mul_lo_u32 v14, v3, s30
	v_dual_add_nc_u32 v15, 1, v3 :: v_dual_sub_nc_u32 v14, v26, v14
	s_delay_alu instid0(VALU_DEP_1) | instskip(SKIP_1) | instid1(VALU_DEP_2)
	v_subrev_nc_u32_e32 v17, s30, v14
	v_cmp_le_u32_e32 vcc_lo, s30, v14
	v_dual_cndmask_b32 v14, v14, v17 :: v_dual_cndmask_b32 v3, v3, v15
	s_delay_alu instid0(VALU_DEP_1) | instskip(NEXT) | instid1(VALU_DEP_2)
	v_cmp_le_u32_e32 vcc_lo, s30, v14
	v_add_nc_u32_e32 v15, 1, v3
	s_delay_alu instid0(VALU_DEP_1)
	v_dual_cndmask_b32 v14, v3, v15 :: v_dual_mov_b32 v15, v2
.LBB39_15:                              ;   in Loop: Header=BB39_3 Depth=1
	s_or_b32 exec_lo, exec_lo, s0
	s_delay_alu instid0(VALU_DEP_1) | instskip(SKIP_3) | instid1(VALU_DEP_3)
	v_mul_u64_e32 v[18:19], s[30:31], v[14:15]
	v_mul_u64_e32 v[14:15], s[8:9], v[14:15]
	v_add_nc_u64_e32 v[8:9], 2, v[8:9]
	s_mov_b32 s0, exec_lo
	v_sub_nc_u64_e32 v[18:19], v[12:13], v[18:19]
	s_delay_alu instid0(VALU_DEP_3) | instskip(NEXT) | instid1(VALU_DEP_2)
	v_lshl_add_u64 v[14:15], v[14:15], 2, s[28:29]
	v_add_nc_u64_e32 v[18:19], v[0:1], v[18:19]
	s_delay_alu instid0(VALU_DEP_1) | instskip(NEXT) | instid1(VALU_DEP_1)
	v_mul_u64_e32 v[18:19], s[10:11], v[18:19]
	v_lshl_add_u64 v[14:15], v[18:19], 2, v[14:15]
	global_load_b32 v32, v[14:15], off
	s_wait_xcnt 0x0
	v_mul_u64_e32 v[14:15], s[4:5], v[8:9]
                                        ; implicit-def: $vgpr8_vgpr9
	s_delay_alu instid0(VALU_DEP_1) | instskip(NEXT) | instid1(VALU_DEP_1)
	v_add_nc_u64_e32 v[24:25], v[0:1], v[14:15]
	v_dual_ashrrev_i32 v18, 31, v25 :: v_dual_bitop2_b32 v3, s31, v25 bitop3:0x54
	s_delay_alu instid0(VALU_DEP_1)
	v_cmpx_ne_u64_e32 0, v[2:3]
	s_xor_b32 s73, exec_lo, s0
	s_cbranch_execz .LBB39_17
; %bb.16:                               ;   in Loop: Header=BB39_3 Depth=1
	s_ashr_i32 s74, s31, 31
	v_dual_mov_b32 v19, v18 :: v_dual_mov_b32 v29, v2
	s_mov_b32 s75, s74
	v_mov_b32_e32 v37, v2
	s_add_nc_u64 s[76:77], s[30:31], s[74:75]
	s_delay_alu instid0(VALU_DEP_2)
	v_add_nc_u64_e32 v[8:9], v[24:25], v[18:19]
	s_xor_b64 s[76:77], s[76:77], s[74:75]
	v_mov_b32_e32 v41, v2
	s_cvt_f32_u32 s0, s76
	s_cvt_f32_u32 s2, s77
	s_sub_nc_u64 s[82:83], 0, s[76:77]
	s_delay_alu instid0(VALU_DEP_2) | instskip(NEXT) | instid1(SALU_CYCLE_1)
	v_xor_b32_e32 v28, v8, v18
	s_fmamk_f32 s0, s2, 0x4f800000, s0
	v_xor_b32_e32 v36, v9, v18
	s_delay_alu instid0(SALU_CYCLE_2) | instskip(NEXT) | instid1(TRANS32_DEP_1)
	v_s_rcp_f32 s0, s0
	s_mul_f32 s0, s0, 0x5f7ffffc
	s_delay_alu instid0(SALU_CYCLE_3) | instskip(NEXT) | instid1(SALU_CYCLE_3)
	s_mul_f32 s2, s0, 0x2f800000
	s_trunc_f32 s2, s2
	s_delay_alu instid0(SALU_CYCLE_3) | instskip(SKIP_1) | instid1(SALU_CYCLE_2)
	s_fmamk_f32 s0, s2, 0xcf800000, s0
	s_cvt_u32_f32 s81, s2
	s_cvt_u32_f32 s80, s0
	s_delay_alu instid0(SALU_CYCLE_3) | instskip(NEXT) | instid1(SALU_CYCLE_1)
	s_mul_u64 s[84:85], s[82:83], s[80:81]
	s_mul_hi_u32 s87, s80, s85
	s_mul_i32 s86, s80, s85
	s_mul_hi_u32 s2, s80, s84
	s_mul_i32 s75, s81, s84
	s_add_nc_u64 s[86:87], s[2:3], s[86:87]
	s_mul_hi_u32 s0, s81, s84
	s_mul_hi_u32 s79, s81, s85
	s_add_co_u32 s2, s86, s75
	s_add_co_ci_u32 s2, s87, s0
	s_mul_i32 s84, s81, s85
	s_add_co_ci_u32 s85, s79, 0
	s_delay_alu instid0(SALU_CYCLE_1) | instskip(NEXT) | instid1(SALU_CYCLE_1)
	s_add_nc_u64 s[84:85], s[2:3], s[84:85]
	s_add_co_u32 s80, s80, s84
	s_cselect_b32 s0, -1, 0
	s_delay_alu instid0(SALU_CYCLE_1) | instskip(SKIP_1) | instid1(SALU_CYCLE_1)
	s_cmp_lg_u32 s0, 0
	s_add_co_ci_u32 s81, s81, s85
	s_mul_u64 s[82:83], s[82:83], s[80:81]
	s_delay_alu instid0(SALU_CYCLE_1)
	s_mul_hi_u32 s85, s80, s83
	s_mul_i32 s84, s80, s83
	s_mul_hi_u32 s2, s80, s82
	s_mul_i32 s75, s81, s82
	s_add_nc_u64 s[84:85], s[2:3], s[84:85]
	s_mul_hi_u32 s0, s81, s82
	s_mul_hi_u32 s79, s81, s83
	s_add_co_u32 s2, s84, s75
	s_add_co_ci_u32 s2, s85, s0
	s_mul_i32 s82, s81, s83
	s_add_co_ci_u32 s83, s79, 0
	s_delay_alu instid0(SALU_CYCLE_1) | instskip(NEXT) | instid1(SALU_CYCLE_1)
	s_add_nc_u64 s[82:83], s[2:3], s[82:83]
	s_add_co_u32 s0, s80, s82
	s_cselect_b32 s2, -1, 0
	v_nop
	v_mul_hi_u32 v40, v28, s0
	s_cmp_lg_u32 s2, 0
	s_add_co_ci_u32 s2, s81, s83
	s_and_b64 s[80:81], s[0:1], s[68:69]
	v_mul_u64_e32 v[34:35], s[2:3], v[28:29]
	v_mul_u64_e32 v[8:9], s[80:81], v[36:37]
	;; [unrolled: 1-line block ×3, first 2 shown]
	s_delay_alu instid0(VALU_DEP_3) | instskip(NEXT) | instid1(VALU_DEP_1)
	v_add_nc_u64_e32 v[34:35], v[40:41], v[34:35]
	v_add_co_u32 v3, vcc_lo, v34, v8
	s_delay_alu instid0(VALU_DEP_2) | instskip(NEXT) | instid1(VALU_DEP_4)
	v_add_co_ci_u32_e32 v40, vcc_lo, v35, v9, vcc_lo
	v_add_co_ci_u32_e32 v39, vcc_lo, 0, v39, vcc_lo
	s_delay_alu instid0(VALU_DEP_1) | instskip(NEXT) | instid1(VALU_DEP_1)
	v_add_nc_u64_e32 v[8:9], v[40:41], v[38:39]
	v_mul_u64_e32 v[34:35], s[76:77], v[8:9]
	s_delay_alu instid0(VALU_DEP_1) | instskip(SKIP_1) | instid1(VALU_DEP_3)
	v_sub_co_u32 v7, vcc_lo, v28, v34
	v_add_nc_u64_e32 v[28:29], 2, v[8:9]
	v_sub_nc_u32_e32 v3, v36, v35
	v_sub_co_ci_u32_e64 v19, null, v36, v35, vcc_lo
	s_delay_alu instid0(VALU_DEP_4) | instskip(NEXT) | instid1(VALU_DEP_3)
	v_sub_co_u32 v17, s0, v7, s76
	v_subrev_co_ci_u32_e64 v3, null, s77, v3, vcc_lo
	v_add_nc_u64_e32 v[34:35], 1, v[8:9]
	s_delay_alu instid0(VALU_DEP_3) | instskip(NEXT) | instid1(VALU_DEP_3)
	v_cmp_le_u32_e32 vcc_lo, s76, v17
	v_subrev_co_ci_u32_e64 v3, null, 0, v3, s0
	v_cndmask_b32_e64 v17, 0, -1, vcc_lo
	s_delay_alu instid0(VALU_DEP_2)
	v_cmp_le_u32_e32 vcc_lo, s77, v3
	v_cndmask_b32_e64 v21, 0, -1, vcc_lo
	v_cmp_le_u32_e32 vcc_lo, s76, v7
	v_cndmask_b32_e64 v7, 0, -1, vcc_lo
	;; [unrolled: 2-line block ×3, first 2 shown]
	v_cmp_eq_u32_e32 vcc_lo, s77, v3
	v_cndmask_b32_e32 v3, v21, v17, vcc_lo
	v_cmp_eq_u32_e32 vcc_lo, s77, v19
	s_delay_alu instid0(VALU_DEP_4) | instskip(NEXT) | instid1(VALU_DEP_3)
	v_cndmask_b32_e32 v7, v33, v7, vcc_lo
	v_cmp_ne_u32_e32 vcc_lo, 0, v3
	v_cndmask_b32_e32 v3, v35, v29, vcc_lo
	s_delay_alu instid0(VALU_DEP_3) | instskip(SKIP_1) | instid1(VALU_DEP_1)
	v_cmp_ne_u32_e64 s0, 0, v7
	v_dual_cndmask_b32 v7, v34, v28, vcc_lo :: v_dual_bitop2_b32 v28, s74, v18 bitop3:0x14
	v_dual_cndmask_b32 v3, v9, v3, s0 :: v_dual_mov_b32 v29, v28
	s_delay_alu instid0(VALU_DEP_1) | instskip(NEXT) | instid1(VALU_DEP_1)
	v_dual_cndmask_b32 v7, v8, v7, s0 :: v_dual_bitop2_b32 v9, v3, v28 bitop3:0x14
	v_xor_b32_e32 v8, v7, v28
                                        ; implicit-def: $vgpr7
	s_delay_alu instid0(VALU_DEP_1)
	v_sub_nc_u64_e32 v[8:9], v[8:9], v[28:29]
.LBB39_17:                              ;   in Loop: Header=BB39_3 Depth=1
	s_and_not1_saveexec_b32 s0, s73
	s_cbranch_execz .LBB39_19
; %bb.18:                               ;   in Loop: Header=BB39_3 Depth=1
	v_rcp_iflag_f32_e32 v3, v7
	s_sub_co_i32 s2, 0, s30
	v_nop
	s_delay_alu instid0(TRANS32_DEP_1) | instskip(NEXT) | instid1(VALU_DEP_1)
	v_mul_f32_e32 v3, 0x4f7ffffe, v3
	v_cvt_u32_f32_e32 v3, v3
	s_delay_alu instid0(VALU_DEP_1) | instskip(NEXT) | instid1(VALU_DEP_1)
	v_mul_lo_u32 v7, s2, v3
	v_mul_hi_u32 v7, v3, v7
	s_delay_alu instid0(VALU_DEP_1) | instskip(NEXT) | instid1(VALU_DEP_1)
	v_add_nc_u32_e32 v3, v3, v7
	v_mul_hi_u32 v3, v24, v3
	s_delay_alu instid0(VALU_DEP_1) | instskip(NEXT) | instid1(VALU_DEP_1)
	v_mul_lo_u32 v7, v3, s30
	v_sub_nc_u32_e32 v7, v24, v7
	s_delay_alu instid0(VALU_DEP_1) | instskip(SKIP_1) | instid1(VALU_DEP_2)
	v_subrev_nc_u32_e32 v9, s30, v7
	v_cmp_le_u32_e32 vcc_lo, s30, v7
	v_dual_cndmask_b32 v7, v7, v9 :: v_dual_add_nc_u32 v8, 1, v3
	s_delay_alu instid0(VALU_DEP_1) | instskip(NEXT) | instid1(VALU_DEP_2)
	v_dual_cndmask_b32 v3, v3, v8, vcc_lo :: v_dual_mov_b32 v9, v2
	v_cmp_le_u32_e32 vcc_lo, s30, v7
	s_delay_alu instid0(VALU_DEP_2) | instskip(NEXT) | instid1(VALU_DEP_1)
	v_add_nc_u32_e32 v8, 1, v3
	v_cndmask_b32_e32 v8, v3, v8, vcc_lo
.LBB39_19:                              ;   in Loop: Header=BB39_3 Depth=1
	s_or_b32 exec_lo, exec_lo, s0
	s_delay_alu instid0(VALU_DEP_1) | instskip(SKIP_3) | instid1(VALU_DEP_3)
	v_mul_u64_e32 v[28:29], s[30:31], v[8:9]
	v_mul_u64_e32 v[8:9], s[8:9], v[8:9]
	v_or_b32_e32 v3, s39, v23
	s_mov_b32 s0, exec_lo
	v_sub_nc_u64_e32 v[28:29], v[14:15], v[28:29]
	s_delay_alu instid0(VALU_DEP_3) | instskip(NEXT) | instid1(VALU_DEP_2)
	v_lshl_add_u64 v[8:9], v[8:9], 2, s[28:29]
	v_add_nc_u64_e32 v[28:29], v[0:1], v[28:29]
	s_delay_alu instid0(VALU_DEP_1) | instskip(NEXT) | instid1(VALU_DEP_1)
	v_mul_u64_e32 v[28:29], s[10:11], v[28:29]
	v_lshl_add_u64 v[8:9], v[28:29], 2, v[8:9]
                                        ; implicit-def: $vgpr28_vgpr29
	global_load_b32 v8, v[8:9], off
	s_wait_xcnt 0x0
	v_cmpx_ne_u64_e32 0, v[2:3]
	s_xor_b32 s73, exec_lo, s0
	s_cbranch_execz .LBB39_21
; %bb.20:                               ;   in Loop: Header=BB39_3 Depth=1
	s_ashr_i32 s74, s39, 31
	v_dual_mov_b32 v17, v16 :: v_dual_mov_b32 v29, v2
	s_mov_b32 s75, s74
	v_mov_b32_e32 v41, v2
	s_add_nc_u64 s[76:77], s[38:39], s[74:75]
	s_delay_alu instid0(VALU_DEP_2)
	v_add_nc_u64_e32 v[22:23], v[22:23], v[16:17]
	s_xor_b64 s[76:77], s[76:77], s[74:75]
	v_mov_b32_e32 v37, v2
	s_cvt_f32_u32 s0, s76
	s_cvt_f32_u32 s2, s77
	s_sub_nc_u64 s[82:83], 0, s[76:77]
	s_delay_alu instid0(VALU_DEP_2) | instskip(NEXT) | instid1(SALU_CYCLE_1)
	v_xor_b32_e32 v36, v23, v16
	s_fmamk_f32 s0, s2, 0x4f800000, s0
	v_xor_b32_e32 v28, v22, v16
	s_delay_alu instid0(SALU_CYCLE_2) | instskip(NEXT) | instid1(TRANS32_DEP_1)
	v_s_rcp_f32 s0, s0
	s_mul_f32 s0, s0, 0x5f7ffffc
	s_delay_alu instid0(SALU_CYCLE_3) | instskip(NEXT) | instid1(SALU_CYCLE_3)
	s_mul_f32 s2, s0, 0x2f800000
	s_trunc_f32 s2, s2
	s_delay_alu instid0(SALU_CYCLE_3) | instskip(SKIP_1) | instid1(SALU_CYCLE_2)
	s_fmamk_f32 s0, s2, 0xcf800000, s0
	s_cvt_u32_f32 s81, s2
	s_cvt_u32_f32 s80, s0
	s_delay_alu instid0(SALU_CYCLE_3) | instskip(NEXT) | instid1(SALU_CYCLE_1)
	s_mul_u64 s[84:85], s[82:83], s[80:81]
	s_mul_hi_u32 s87, s80, s85
	s_mul_i32 s86, s80, s85
	s_mul_hi_u32 s2, s80, s84
	s_mul_i32 s75, s81, s84
	s_add_nc_u64 s[86:87], s[2:3], s[86:87]
	s_mul_hi_u32 s0, s81, s84
	s_mul_hi_u32 s79, s81, s85
	s_add_co_u32 s2, s86, s75
	s_add_co_ci_u32 s2, s87, s0
	s_mul_i32 s84, s81, s85
	s_add_co_ci_u32 s85, s79, 0
	s_delay_alu instid0(SALU_CYCLE_1) | instskip(NEXT) | instid1(SALU_CYCLE_1)
	s_add_nc_u64 s[84:85], s[2:3], s[84:85]
	s_add_co_u32 s80, s80, s84
	s_cselect_b32 s0, -1, 0
	s_delay_alu instid0(SALU_CYCLE_1) | instskip(SKIP_1) | instid1(SALU_CYCLE_1)
	s_cmp_lg_u32 s0, 0
	s_add_co_ci_u32 s81, s81, s85
	s_mul_u64 s[82:83], s[82:83], s[80:81]
	s_delay_alu instid0(SALU_CYCLE_1)
	s_mul_hi_u32 s85, s80, s83
	s_mul_i32 s84, s80, s83
	s_mul_hi_u32 s2, s80, s82
	s_mul_i32 s75, s81, s82
	s_add_nc_u64 s[84:85], s[2:3], s[84:85]
	s_mul_hi_u32 s0, s81, s82
	s_mul_hi_u32 s79, s81, s83
	s_add_co_u32 s2, s84, s75
	s_add_co_ci_u32 s2, s85, s0
	s_mul_i32 s82, s81, s83
	s_add_co_ci_u32 s83, s79, 0
	s_delay_alu instid0(SALU_CYCLE_1) | instskip(NEXT) | instid1(SALU_CYCLE_1)
	s_add_nc_u64 s[82:83], s[2:3], s[82:83]
	s_add_co_u32 s0, s80, s82
	s_cselect_b32 s2, -1, 0
	v_nop
	v_mul_hi_u32 v40, v28, s0
	s_cmp_lg_u32 s2, 0
	s_add_co_ci_u32 s2, s81, s83
	s_and_b64 s[80:81], s[0:1], s[68:69]
	v_mul_u64_e32 v[34:35], s[2:3], v[28:29]
	v_mul_u64_e32 v[22:23], s[80:81], v[36:37]
	;; [unrolled: 1-line block ×3, first 2 shown]
	s_delay_alu instid0(VALU_DEP_3) | instskip(NEXT) | instid1(VALU_DEP_1)
	v_add_nc_u64_e32 v[34:35], v[40:41], v[34:35]
	v_add_co_u32 v3, vcc_lo, v34, v22
	s_delay_alu instid0(VALU_DEP_2) | instskip(NEXT) | instid1(VALU_DEP_4)
	v_add_co_ci_u32_e32 v40, vcc_lo, v35, v23, vcc_lo
	v_add_co_ci_u32_e32 v39, vcc_lo, 0, v39, vcc_lo
	s_delay_alu instid0(VALU_DEP_1) | instskip(NEXT) | instid1(VALU_DEP_1)
	v_add_nc_u64_e32 v[22:23], v[40:41], v[38:39]
	v_mul_u64_e32 v[34:35], s[76:77], v[22:23]
	s_delay_alu instid0(VALU_DEP_1) | instskip(NEXT) | instid1(VALU_DEP_2)
	v_sub_nc_u32_e32 v3, v36, v35
	v_sub_co_u32 v7, vcc_lo, v28, v34
	s_delay_alu instid0(VALU_DEP_1) | instskip(NEXT) | instid1(VALU_DEP_3)
	v_sub_co_ci_u32_e64 v17, null, v36, v35, vcc_lo
	v_subrev_co_ci_u32_e64 v3, null, s77, v3, vcc_lo
	s_delay_alu instid0(VALU_DEP_3) | instskip(SKIP_1) | instid1(VALU_DEP_3)
	v_sub_co_u32 v9, s0, v7, s76
	v_add_nc_u64_e32 v[28:29], 2, v[22:23]
	v_subrev_co_ci_u32_e64 v3, null, 0, v3, s0
	s_delay_alu instid0(VALU_DEP_3) | instskip(SKIP_2) | instid1(VALU_DEP_4)
	v_cmp_le_u32_e32 vcc_lo, s76, v9
	v_add_nc_u64_e32 v[34:35], 1, v[22:23]
	v_cndmask_b32_e64 v9, 0, -1, vcc_lo
	v_cmp_le_u32_e32 vcc_lo, s77, v3
	v_cndmask_b32_e64 v19, 0, -1, vcc_lo
	v_cmp_le_u32_e32 vcc_lo, s76, v7
	;; [unrolled: 2-line block ×3, first 2 shown]
	v_cndmask_b32_e64 v21, 0, -1, vcc_lo
	v_cmp_eq_u32_e32 vcc_lo, s77, v3
	v_cndmask_b32_e32 v3, v19, v9, vcc_lo
	v_cmp_eq_u32_e32 vcc_lo, s77, v17
	s_delay_alu instid0(VALU_DEP_4) | instskip(NEXT) | instid1(VALU_DEP_3)
	v_cndmask_b32_e32 v7, v21, v7, vcc_lo
	v_cmp_ne_u32_e32 vcc_lo, 0, v3
	v_cndmask_b32_e32 v3, v35, v29, vcc_lo
	s_delay_alu instid0(VALU_DEP_3) | instskip(NEXT) | instid1(VALU_DEP_1)
	v_cmp_ne_u32_e64 s0, 0, v7
	v_dual_cndmask_b32 v7, v34, v28, vcc_lo :: v_dual_cndmask_b32 v3, v23, v3, s0
	s_delay_alu instid0(VALU_DEP_1) | instskip(NEXT) | instid1(VALU_DEP_1)
	v_dual_cndmask_b32 v7, v22, v7, s0 :: v_dual_bitop2_b32 v16, s74, v16 bitop3:0x14
	v_dual_mov_b32 v17, v16 :: v_dual_bitop2_b32 v23, v3, v16 bitop3:0x14
	s_delay_alu instid0(VALU_DEP_2) | instskip(NEXT) | instid1(VALU_DEP_1)
	v_xor_b32_e32 v22, v7, v16
	v_sub_nc_u64_e32 v[28:29], v[22:23], v[16:17]
                                        ; implicit-def: $vgpr22_vgpr23
.LBB39_21:                              ;   in Loop: Header=BB39_3 Depth=1
	s_or_saveexec_b32 s0, s73
	v_cvt_f32_u32_e32 v7, s38
	s_xor_b32 exec_lo, exec_lo, s0
	s_cbranch_execz .LBB39_23
; %bb.22:                               ;   in Loop: Header=BB39_3 Depth=1
	s_delay_alu instid0(VALU_DEP_1) | instskip(SKIP_2) | instid1(TRANS32_DEP_1)
	v_rcp_iflag_f32_e32 v3, v7
	s_sub_co_i32 s2, 0, s38
	v_mov_b32_e32 v29, v2
	v_mul_f32_e32 v3, 0x4f7ffffe, v3
	s_delay_alu instid0(VALU_DEP_1) | instskip(NEXT) | instid1(VALU_DEP_1)
	v_cvt_u32_f32_e32 v3, v3
	v_mul_lo_u32 v9, s2, v3
	s_delay_alu instid0(VALU_DEP_1) | instskip(NEXT) | instid1(VALU_DEP_1)
	v_mul_hi_u32 v9, v3, v9
	v_add_nc_u32_e32 v3, v3, v9
	s_delay_alu instid0(VALU_DEP_1) | instskip(NEXT) | instid1(VALU_DEP_1)
	v_mul_hi_u32 v3, v22, v3
	v_mul_lo_u32 v9, v3, s38
	s_delay_alu instid0(VALU_DEP_1) | instskip(NEXT) | instid1(VALU_DEP_1)
	v_sub_nc_u32_e32 v9, v22, v9
	v_subrev_nc_u32_e32 v17, s38, v9
	v_cmp_le_u32_e32 vcc_lo, s38, v9
	s_delay_alu instid0(VALU_DEP_2) | instskip(NEXT) | instid1(VALU_DEP_1)
	v_dual_cndmask_b32 v9, v9, v17 :: v_dual_add_nc_u32 v16, 1, v3
	v_cndmask_b32_e32 v3, v3, v16, vcc_lo
	s_delay_alu instid0(VALU_DEP_2) | instskip(NEXT) | instid1(VALU_DEP_2)
	v_cmp_le_u32_e32 vcc_lo, s38, v9
	v_add_nc_u32_e32 v16, 1, v3
	s_delay_alu instid0(VALU_DEP_1)
	v_cndmask_b32_e32 v28, v3, v16, vcc_lo
.LBB39_23:                              ;   in Loop: Header=BB39_3 Depth=1
	s_or_b32 exec_lo, exec_lo, s0
	s_delay_alu instid0(VALU_DEP_1) | instskip(SKIP_2) | instid1(VALU_DEP_2)
	v_mul_u64_e32 v[16:17], s[38:39], v[28:29]
	v_or_b32_e32 v3, s39, v27
	s_mov_b32 s0, exec_lo
	v_sub_nc_u64_e32 v[10:11], v[10:11], v[16:17]
	v_mul_u64_e32 v[16:17], s[12:13], v[28:29]
	s_delay_alu instid0(VALU_DEP_2) | instskip(NEXT) | instid1(VALU_DEP_1)
	v_add_nc_u64_e32 v[10:11], v[0:1], v[10:11]
	v_mul_u64_e32 v[10:11], s[14:15], v[10:11]
	s_delay_alu instid0(VALU_DEP_3) | instskip(NEXT) | instid1(VALU_DEP_1)
	v_lshl_add_u64 v[16:17], v[16:17], 2, s[36:37]
	v_lshl_add_u64 v[10:11], v[10:11], 2, v[16:17]
	global_load_b32 v16, v[10:11], off
                                        ; implicit-def: $vgpr10_vgpr11
	s_wait_xcnt 0x0
	v_cmpx_ne_u64_e32 0, v[2:3]
	s_xor_b32 s73, exec_lo, s0
	s_cbranch_execz .LBB39_25
; %bb.24:                               ;   in Loop: Header=BB39_3 Depth=1
	s_ashr_i32 s74, s39, 31
	v_dual_mov_b32 v21, v20 :: v_dual_mov_b32 v23, v2
	s_mov_b32 s75, s74
	v_mov_b32_e32 v37, v2
	s_add_nc_u64 s[76:77], s[38:39], s[74:75]
	s_delay_alu instid0(VALU_DEP_2)
	v_add_nc_u64_e32 v[10:11], v[26:27], v[20:21]
	s_xor_b64 s[76:77], s[76:77], s[74:75]
	v_mov_b32_e32 v29, v2
	s_cvt_f32_u32 s0, s76
	s_cvt_f32_u32 s2, s77
	s_sub_nc_u64 s[82:83], 0, s[76:77]
	s_delay_alu instid0(VALU_DEP_2) | instskip(NEXT) | instid1(SALU_CYCLE_1)
	v_xor_b32_e32 v28, v11, v20
	s_fmamk_f32 s0, s2, 0x4f800000, s0
	v_xor_b32_e32 v22, v10, v20
	v_xor_b32_e32 v20, s74, v20
	s_delay_alu instid0(SALU_CYCLE_1) | instskip(NEXT) | instid1(TRANS32_DEP_1)
	v_s_rcp_f32 s0, s0
	s_mul_f32 s0, s0, 0x5f7ffffc
	s_delay_alu instid0(SALU_CYCLE_3) | instskip(NEXT) | instid1(SALU_CYCLE_3)
	s_mul_f32 s2, s0, 0x2f800000
	s_trunc_f32 s2, s2
	s_delay_alu instid0(SALU_CYCLE_3) | instskip(SKIP_1) | instid1(SALU_CYCLE_2)
	s_fmamk_f32 s0, s2, 0xcf800000, s0
	s_cvt_u32_f32 s81, s2
	s_cvt_u32_f32 s80, s0
	s_delay_alu instid0(SALU_CYCLE_3) | instskip(NEXT) | instid1(SALU_CYCLE_1)
	s_mul_u64 s[84:85], s[82:83], s[80:81]
	s_mul_hi_u32 s87, s80, s85
	s_mul_i32 s86, s80, s85
	s_mul_hi_u32 s2, s80, s84
	s_mul_i32 s75, s81, s84
	s_add_nc_u64 s[86:87], s[2:3], s[86:87]
	s_mul_hi_u32 s0, s81, s84
	s_mul_hi_u32 s79, s81, s85
	s_add_co_u32 s2, s86, s75
	s_add_co_ci_u32 s2, s87, s0
	s_mul_i32 s84, s81, s85
	s_add_co_ci_u32 s85, s79, 0
	s_delay_alu instid0(SALU_CYCLE_1) | instskip(NEXT) | instid1(SALU_CYCLE_1)
	s_add_nc_u64 s[84:85], s[2:3], s[84:85]
	s_add_co_u32 s80, s80, s84
	s_cselect_b32 s0, -1, 0
	s_delay_alu instid0(SALU_CYCLE_1) | instskip(SKIP_1) | instid1(SALU_CYCLE_1)
	s_cmp_lg_u32 s0, 0
	s_add_co_ci_u32 s81, s81, s85
	s_mul_u64 s[82:83], s[82:83], s[80:81]
	s_delay_alu instid0(SALU_CYCLE_1)
	s_mul_hi_u32 s85, s80, s83
	s_mul_i32 s84, s80, s83
	s_mul_hi_u32 s2, s80, s82
	s_mul_i32 s75, s81, s82
	s_add_nc_u64 s[84:85], s[2:3], s[84:85]
	s_mul_hi_u32 s0, s81, s82
	s_mul_hi_u32 s79, s81, s83
	s_add_co_u32 s2, s84, s75
	s_add_co_ci_u32 s2, s85, s0
	s_mul_i32 s82, s81, s83
	s_add_co_ci_u32 s83, s79, 0
	s_delay_alu instid0(SALU_CYCLE_1) | instskip(NEXT) | instid1(SALU_CYCLE_1)
	s_add_nc_u64 s[82:83], s[2:3], s[82:83]
	s_add_co_u32 s0, s80, s82
	s_cselect_b32 s2, -1, 0
	v_nop
	v_mul_hi_u32 v36, v22, s0
	s_cmp_lg_u32 s2, 0
	s_add_co_ci_u32 s2, s81, s83
	s_and_b64 s[80:81], s[0:1], s[68:69]
	v_mul_u64_e32 v[26:27], s[2:3], v[22:23]
	v_mul_u64_e32 v[10:11], s[80:81], v[28:29]
	v_mul_u64_e32 v[34:35], s[2:3], v[28:29]
	s_delay_alu instid0(VALU_DEP_3) | instskip(NEXT) | instid1(VALU_DEP_1)
	v_add_nc_u64_e32 v[26:27], v[36:37], v[26:27]
	v_add_co_u32 v3, vcc_lo, v26, v10
	s_delay_alu instid0(VALU_DEP_2) | instskip(NEXT) | instid1(VALU_DEP_4)
	v_add_co_ci_u32_e32 v36, vcc_lo, v27, v11, vcc_lo
	v_add_co_ci_u32_e32 v35, vcc_lo, 0, v35, vcc_lo
	s_delay_alu instid0(VALU_DEP_1) | instskip(NEXT) | instid1(VALU_DEP_1)
	v_add_nc_u64_e32 v[10:11], v[36:37], v[34:35]
	v_mul_u64_e32 v[26:27], s[76:77], v[10:11]
	s_delay_alu instid0(VALU_DEP_1) | instskip(NEXT) | instid1(VALU_DEP_2)
	v_sub_nc_u32_e32 v3, v28, v27
	v_sub_co_u32 v9, vcc_lo, v22, v26
	s_delay_alu instid0(VALU_DEP_1) | instskip(NEXT) | instid1(VALU_DEP_3)
	v_sub_co_ci_u32_e64 v19, null, v28, v27, vcc_lo
	v_subrev_co_ci_u32_e64 v3, null, s77, v3, vcc_lo
	s_delay_alu instid0(VALU_DEP_3) | instskip(SKIP_1) | instid1(VALU_DEP_3)
	v_sub_co_u32 v17, s0, v9, s76
	v_add_nc_u64_e32 v[22:23], 2, v[10:11]
	v_subrev_co_ci_u32_e64 v3, null, 0, v3, s0
	s_delay_alu instid0(VALU_DEP_3) | instskip(SKIP_2) | instid1(VALU_DEP_4)
	v_cmp_le_u32_e32 vcc_lo, s76, v17
	v_add_nc_u64_e32 v[26:27], 1, v[10:11]
	v_cndmask_b32_e64 v17, 0, -1, vcc_lo
	v_cmp_le_u32_e32 vcc_lo, s77, v3
	v_cndmask_b32_e64 v21, 0, -1, vcc_lo
	v_cmp_le_u32_e32 vcc_lo, s76, v9
	;; [unrolled: 2-line block ×3, first 2 shown]
	v_cndmask_b32_e64 v28, 0, -1, vcc_lo
	v_cmp_eq_u32_e32 vcc_lo, s77, v3
	v_cndmask_b32_e32 v3, v21, v17, vcc_lo
	v_cmp_eq_u32_e32 vcc_lo, s77, v19
	s_delay_alu instid0(VALU_DEP_4) | instskip(NEXT) | instid1(VALU_DEP_3)
	v_cndmask_b32_e32 v9, v28, v9, vcc_lo
	v_cmp_ne_u32_e32 vcc_lo, 0, v3
	v_cndmask_b32_e32 v3, v27, v23, vcc_lo
	s_delay_alu instid0(VALU_DEP_3) | instskip(SKIP_1) | instid1(VALU_DEP_1)
	v_cmp_ne_u32_e64 s0, 0, v9
	v_cndmask_b32_e32 v9, v26, v22, vcc_lo
                                        ; implicit-def: $vgpr26_vgpr27
	v_dual_cndmask_b32 v3, v11, v3, s0 :: v_dual_cndmask_b32 v9, v10, v9, s0
	s_delay_alu instid0(VALU_DEP_1) | instskip(NEXT) | instid1(VALU_DEP_2)
	v_dual_mov_b32 v21, v20 :: v_dual_bitop2_b32 v11, v3, v20 bitop3:0x14
	v_xor_b32_e32 v10, v9, v20
	s_delay_alu instid0(VALU_DEP_1)
	v_sub_nc_u64_e32 v[10:11], v[10:11], v[20:21]
.LBB39_25:                              ;   in Loop: Header=BB39_3 Depth=1
	s_and_not1_saveexec_b32 s0, s73
	s_cbranch_execz .LBB39_27
; %bb.26:                               ;   in Loop: Header=BB39_3 Depth=1
	v_rcp_iflag_f32_e32 v3, v7
	s_sub_co_i32 s2, 0, s38
	v_nop
	s_delay_alu instid0(TRANS32_DEP_1) | instskip(NEXT) | instid1(VALU_DEP_1)
	v_mul_f32_e32 v3, 0x4f7ffffe, v3
	v_cvt_u32_f32_e32 v3, v3
	s_delay_alu instid0(VALU_DEP_1) | instskip(NEXT) | instid1(VALU_DEP_1)
	v_mul_lo_u32 v9, s2, v3
	v_mul_hi_u32 v9, v3, v9
	s_delay_alu instid0(VALU_DEP_1) | instskip(NEXT) | instid1(VALU_DEP_1)
	v_add_nc_u32_e32 v3, v3, v9
	v_mul_hi_u32 v3, v26, v3
	s_delay_alu instid0(VALU_DEP_1) | instskip(NEXT) | instid1(VALU_DEP_1)
	v_mul_lo_u32 v9, v3, s38
	v_dual_add_nc_u32 v10, 1, v3 :: v_dual_sub_nc_u32 v9, v26, v9
	s_delay_alu instid0(VALU_DEP_1) | instskip(SKIP_1) | instid1(VALU_DEP_2)
	v_subrev_nc_u32_e32 v11, s38, v9
	v_cmp_le_u32_e32 vcc_lo, s38, v9
	v_dual_cndmask_b32 v9, v9, v11, vcc_lo :: v_dual_mov_b32 v11, v2
	s_delay_alu instid0(VALU_DEP_4) | instskip(NEXT) | instid1(VALU_DEP_2)
	v_cndmask_b32_e32 v3, v3, v10, vcc_lo
	v_cmp_le_u32_e32 vcc_lo, s38, v9
	s_delay_alu instid0(VALU_DEP_2) | instskip(NEXT) | instid1(VALU_DEP_1)
	v_add_nc_u32_e32 v10, 1, v3
	v_cndmask_b32_e32 v10, v3, v10, vcc_lo
.LBB39_27:                              ;   in Loop: Header=BB39_3 Depth=1
	s_or_b32 exec_lo, exec_lo, s0
	s_delay_alu instid0(VALU_DEP_1) | instskip(SKIP_3) | instid1(VALU_DEP_3)
	v_mul_u64_e32 v[20:21], s[38:39], v[10:11]
	v_mul_u64_e32 v[10:11], s[12:13], v[10:11]
	v_or_b32_e32 v3, s39, v25
	s_mov_b32 s0, exec_lo
	v_sub_nc_u64_e32 v[12:13], v[12:13], v[20:21]
	s_delay_alu instid0(VALU_DEP_3) | instskip(NEXT) | instid1(VALU_DEP_2)
	v_lshl_add_u64 v[10:11], v[10:11], 2, s[36:37]
	v_add_nc_u64_e32 v[12:13], v[0:1], v[12:13]
	s_delay_alu instid0(VALU_DEP_1) | instskip(NEXT) | instid1(VALU_DEP_1)
	v_mul_u64_e32 v[12:13], s[14:15], v[12:13]
	v_lshl_add_u64 v[10:11], v[12:13], 2, v[10:11]
	global_load_b32 v17, v[10:11], off
                                        ; implicit-def: $vgpr10_vgpr11
	s_wait_xcnt 0x0
	v_cmpx_ne_u64_e32 0, v[2:3]
	s_xor_b32 s73, exec_lo, s0
	s_cbranch_execz .LBB39_29
; %bb.28:                               ;   in Loop: Header=BB39_3 Depth=1
	s_ashr_i32 s74, s39, 31
	v_dual_mov_b32 v19, v18 :: v_dual_mov_b32 v13, v2
	s_mov_b32 s75, s74
	v_mov_b32_e32 v27, v2
	s_add_nc_u64 s[76:77], s[38:39], s[74:75]
	s_delay_alu instid0(VALU_DEP_2)
	v_add_nc_u64_e32 v[10:11], v[24:25], v[18:19]
	s_xor_b64 s[76:77], s[76:77], s[74:75]
	v_mov_b32_e32 v23, v2
	s_cvt_f32_u32 s0, s76
	s_cvt_f32_u32 s2, s77
	s_sub_nc_u64 s[82:83], 0, s[76:77]
	s_delay_alu instid0(VALU_DEP_2) | instskip(NEXT) | instid1(SALU_CYCLE_1)
	v_xor_b32_e32 v12, v10, v18
	s_fmamk_f32 s0, s2, 0x4f800000, s0
	v_xor_b32_e32 v22, v11, v18
	s_delay_alu instid0(SALU_CYCLE_2) | instskip(NEXT) | instid1(TRANS32_DEP_1)
	v_s_rcp_f32 s0, s0
	s_mul_f32 s0, s0, 0x5f7ffffc
	s_delay_alu instid0(SALU_CYCLE_3) | instskip(NEXT) | instid1(SALU_CYCLE_3)
	s_mul_f32 s2, s0, 0x2f800000
	s_trunc_f32 s2, s2
	s_delay_alu instid0(SALU_CYCLE_3) | instskip(SKIP_1) | instid1(SALU_CYCLE_2)
	s_fmamk_f32 s0, s2, 0xcf800000, s0
	s_cvt_u32_f32 s81, s2
	s_cvt_u32_f32 s80, s0
	s_delay_alu instid0(SALU_CYCLE_3) | instskip(NEXT) | instid1(SALU_CYCLE_1)
	s_mul_u64 s[84:85], s[82:83], s[80:81]
	s_mul_hi_u32 s87, s80, s85
	s_mul_i32 s86, s80, s85
	s_mul_hi_u32 s2, s80, s84
	s_mul_i32 s75, s81, s84
	s_add_nc_u64 s[86:87], s[2:3], s[86:87]
	s_mul_hi_u32 s0, s81, s84
	s_mul_hi_u32 s79, s81, s85
	s_add_co_u32 s2, s86, s75
	s_add_co_ci_u32 s2, s87, s0
	s_mul_i32 s84, s81, s85
	s_add_co_ci_u32 s85, s79, 0
	s_delay_alu instid0(SALU_CYCLE_1) | instskip(NEXT) | instid1(SALU_CYCLE_1)
	s_add_nc_u64 s[84:85], s[2:3], s[84:85]
	s_add_co_u32 s80, s80, s84
	s_cselect_b32 s0, -1, 0
	s_delay_alu instid0(SALU_CYCLE_1) | instskip(SKIP_1) | instid1(SALU_CYCLE_1)
	s_cmp_lg_u32 s0, 0
	s_add_co_ci_u32 s81, s81, s85
	s_mul_u64 s[82:83], s[82:83], s[80:81]
	s_delay_alu instid0(SALU_CYCLE_1)
	s_mul_hi_u32 s85, s80, s83
	s_mul_i32 s84, s80, s83
	s_mul_hi_u32 s2, s80, s82
	s_mul_i32 s75, s81, s82
	s_add_nc_u64 s[84:85], s[2:3], s[84:85]
	s_mul_hi_u32 s0, s81, s82
	s_mul_hi_u32 s79, s81, s83
	s_add_co_u32 s2, s84, s75
	s_add_co_ci_u32 s2, s85, s0
	s_mul_i32 s82, s81, s83
	s_add_co_ci_u32 s83, s79, 0
	s_delay_alu instid0(SALU_CYCLE_1) | instskip(NEXT) | instid1(SALU_CYCLE_1)
	s_add_nc_u64 s[82:83], s[2:3], s[82:83]
	s_add_co_u32 s0, s80, s82
	s_cselect_b32 s2, -1, 0
	v_nop
	v_mul_hi_u32 v26, v12, s0
	s_cmp_lg_u32 s2, 0
	s_add_co_ci_u32 s2, s81, s83
	s_and_b64 s[80:81], s[0:1], s[68:69]
	v_mul_u64_e32 v[20:21], s[2:3], v[12:13]
	v_mul_u64_e32 v[10:11], s[80:81], v[22:23]
	;; [unrolled: 1-line block ×3, first 2 shown]
	s_delay_alu instid0(VALU_DEP_3) | instskip(NEXT) | instid1(VALU_DEP_1)
	v_add_nc_u64_e32 v[20:21], v[26:27], v[20:21]
	v_add_co_u32 v3, vcc_lo, v20, v10
	s_delay_alu instid0(VALU_DEP_2) | instskip(NEXT) | instid1(VALU_DEP_4)
	v_add_co_ci_u32_e32 v26, vcc_lo, v21, v11, vcc_lo
	v_add_co_ci_u32_e32 v25, vcc_lo, 0, v25, vcc_lo
	s_delay_alu instid0(VALU_DEP_1) | instskip(NEXT) | instid1(VALU_DEP_1)
	v_add_nc_u64_e32 v[10:11], v[26:27], v[24:25]
                                        ; implicit-def: $vgpr24_vgpr25
	v_mul_u64_e32 v[20:21], s[76:77], v[10:11]
	s_delay_alu instid0(VALU_DEP_1) | instskip(NEXT) | instid1(VALU_DEP_2)
	v_sub_nc_u32_e32 v3, v22, v21
	v_sub_co_u32 v7, vcc_lo, v12, v20
	s_delay_alu instid0(VALU_DEP_1) | instskip(NEXT) | instid1(VALU_DEP_3)
	v_sub_co_ci_u32_e64 v19, null, v22, v21, vcc_lo
	v_subrev_co_ci_u32_e64 v3, null, s77, v3, vcc_lo
	s_delay_alu instid0(VALU_DEP_3) | instskip(SKIP_1) | instid1(VALU_DEP_3)
	v_sub_co_u32 v9, s0, v7, s76
	v_add_nc_u64_e32 v[20:21], 1, v[10:11]
	v_subrev_co_ci_u32_e64 v3, null, 0, v3, s0
	s_delay_alu instid0(VALU_DEP_3) | instskip(SKIP_1) | instid1(VALU_DEP_3)
	v_cmp_le_u32_e32 vcc_lo, s76, v9
	v_cndmask_b32_e64 v9, 0, -1, vcc_lo
	v_cmp_le_u32_e32 vcc_lo, s77, v3
	v_cndmask_b32_e64 v12, 0, -1, vcc_lo
	;; [unrolled: 2-line block ×4, first 2 shown]
	v_cmp_eq_u32_e32 vcc_lo, s77, v3
	v_cndmask_b32_e32 v3, v12, v9, vcc_lo
	v_cmp_eq_u32_e32 vcc_lo, s77, v19
	v_add_nc_u64_e32 v[12:13], 2, v[10:11]
	v_cndmask_b32_e32 v7, v22, v7, vcc_lo
	s_delay_alu instid0(VALU_DEP_4) | instskip(NEXT) | instid1(VALU_DEP_2)
	v_cmp_ne_u32_e32 vcc_lo, 0, v3
	v_cmp_ne_u32_e64 s0, 0, v7
	s_delay_alu instid0(VALU_DEP_4) | instskip(NEXT) | instid1(VALU_DEP_1)
	v_dual_cndmask_b32 v3, v21, v13, vcc_lo :: v_dual_cndmask_b32 v7, v20, v12, vcc_lo
	v_dual_cndmask_b32 v3, v11, v3, s0 :: v_dual_bitop2_b32 v12, s74, v18 bitop3:0x14
	s_delay_alu instid0(VALU_DEP_1) | instskip(NEXT) | instid1(VALU_DEP_2)
	v_dual_mov_b32 v13, v12 :: v_dual_cndmask_b32 v7, v10, v7, s0
	v_xor_b32_e32 v11, v3, v12
	s_delay_alu instid0(VALU_DEP_2) | instskip(NEXT) | instid1(VALU_DEP_1)
	v_xor_b32_e32 v10, v7, v12
                                        ; implicit-def: $vgpr7
	v_sub_nc_u64_e32 v[10:11], v[10:11], v[12:13]
.LBB39_29:                              ;   in Loop: Header=BB39_3 Depth=1
	s_and_not1_saveexec_b32 s0, s73
	s_cbranch_execz .LBB39_31
; %bb.30:                               ;   in Loop: Header=BB39_3 Depth=1
	v_rcp_iflag_f32_e32 v3, v7
	s_sub_co_i32 s2, 0, s38
	v_mov_b32_e32 v11, v2
	s_delay_alu instid0(TRANS32_DEP_1) | instskip(NEXT) | instid1(VALU_DEP_1)
	v_mul_f32_e32 v3, 0x4f7ffffe, v3
	v_cvt_u32_f32_e32 v3, v3
	s_delay_alu instid0(VALU_DEP_1) | instskip(NEXT) | instid1(VALU_DEP_1)
	v_mul_lo_u32 v7, s2, v3
	v_mul_hi_u32 v7, v3, v7
	s_delay_alu instid0(VALU_DEP_1) | instskip(NEXT) | instid1(VALU_DEP_1)
	v_add_nc_u32_e32 v3, v3, v7
	v_mul_hi_u32 v3, v24, v3
	s_delay_alu instid0(VALU_DEP_1) | instskip(NEXT) | instid1(VALU_DEP_1)
	v_mul_lo_u32 v7, v3, s38
	v_sub_nc_u32_e32 v7, v24, v7
	s_delay_alu instid0(VALU_DEP_1) | instskip(SKIP_1) | instid1(VALU_DEP_2)
	v_subrev_nc_u32_e32 v10, s38, v7
	v_cmp_le_u32_e32 vcc_lo, s38, v7
	v_dual_add_nc_u32 v9, 1, v3 :: v_dual_cndmask_b32 v7, v7, v10, vcc_lo
	s_delay_alu instid0(VALU_DEP_1) | instskip(NEXT) | instid1(VALU_DEP_2)
	v_cndmask_b32_e32 v3, v3, v9, vcc_lo
	v_cmp_le_u32_e32 vcc_lo, s38, v7
	s_delay_alu instid0(VALU_DEP_2) | instskip(NEXT) | instid1(VALU_DEP_1)
	v_add_nc_u32_e32 v9, 1, v3
	v_cndmask_b32_e32 v10, v3, v9, vcc_lo
.LBB39_31:                              ;   in Loop: Header=BB39_3 Depth=1
	s_or_b32 exec_lo, exec_lo, s0
	s_delay_alu instid0(VALU_DEP_1) | instskip(SKIP_3) | instid1(VALU_DEP_3)
	v_mul_u64_e32 v[12:13], s[38:39], v[10:11]
	v_mul_u64_e32 v[10:11], s[12:13], v[10:11]
	v_or_b32_e32 v3, s43, v1
	s_mov_b32 s0, exec_lo
	v_sub_nc_u64_e32 v[12:13], v[14:15], v[12:13]
	s_delay_alu instid0(VALU_DEP_3) | instskip(NEXT) | instid1(VALU_DEP_2)
	v_lshl_add_u64 v[10:11], v[10:11], 2, s[36:37]
	v_add_nc_u64_e32 v[12:13], v[0:1], v[12:13]
	s_delay_alu instid0(VALU_DEP_1) | instskip(NEXT) | instid1(VALU_DEP_1)
	v_mul_u64_e32 v[12:13], s[14:15], v[12:13]
	v_lshl_add_u64 v[10:11], v[12:13], 2, v[10:11]
	global_load_b32 v9, v[10:11], off
                                        ; implicit-def: $vgpr10_vgpr11
	s_wait_xcnt 0x0
	v_cmpx_ne_u64_e32 0, v[2:3]
	s_xor_b32 s73, exec_lo, s0
	s_cbranch_execz .LBB39_33
; %bb.32:                               ;   in Loop: Header=BB39_3 Depth=1
	s_ashr_i32 s74, s43, 31
	v_dual_mov_b32 v7, v6 :: v_dual_mov_b32 v13, v2
	s_mov_b32 s75, s74
	v_mov_b32_e32 v23, v2
	s_add_nc_u64 s[76:77], s[42:43], s[74:75]
	s_delay_alu instid0(VALU_DEP_2)
	v_add_nc_u64_e32 v[10:11], v[0:1], v[6:7]
	s_xor_b64 s[76:77], s[76:77], s[74:75]
	v_mov_b32_e32 v19, v2
	s_cvt_f32_u32 s0, s76
	s_cvt_f32_u32 s2, s77
	s_sub_nc_u64 s[82:83], 0, s[76:77]
	s_delay_alu instid0(VALU_DEP_2) | instskip(NEXT) | instid1(SALU_CYCLE_1)
	v_xor_b32_e32 v12, v10, v6
	s_fmamk_f32 s0, s2, 0x4f800000, s0
	v_xor_b32_e32 v18, v11, v6
	s_delay_alu instid0(SALU_CYCLE_2) | instskip(NEXT) | instid1(TRANS32_DEP_1)
	v_s_rcp_f32 s0, s0
	s_mul_f32 s0, s0, 0x5f7ffffc
	s_delay_alu instid0(SALU_CYCLE_3) | instskip(NEXT) | instid1(SALU_CYCLE_3)
	s_mul_f32 s2, s0, 0x2f800000
	s_trunc_f32 s2, s2
	s_delay_alu instid0(SALU_CYCLE_3) | instskip(SKIP_1) | instid1(SALU_CYCLE_2)
	s_fmamk_f32 s0, s2, 0xcf800000, s0
	s_cvt_u32_f32 s81, s2
	s_cvt_u32_f32 s80, s0
	s_delay_alu instid0(SALU_CYCLE_3) | instskip(NEXT) | instid1(SALU_CYCLE_1)
	s_mul_u64 s[84:85], s[82:83], s[80:81]
	s_mul_hi_u32 s87, s80, s85
	s_mul_i32 s86, s80, s85
	s_mul_hi_u32 s2, s80, s84
	s_mul_i32 s75, s81, s84
	s_add_nc_u64 s[86:87], s[2:3], s[86:87]
	s_mul_hi_u32 s0, s81, s84
	s_mul_hi_u32 s79, s81, s85
	s_add_co_u32 s2, s86, s75
	s_add_co_ci_u32 s2, s87, s0
	s_mul_i32 s84, s81, s85
	s_add_co_ci_u32 s85, s79, 0
	s_delay_alu instid0(SALU_CYCLE_1) | instskip(NEXT) | instid1(SALU_CYCLE_1)
	s_add_nc_u64 s[84:85], s[2:3], s[84:85]
	s_add_co_u32 s80, s80, s84
	s_cselect_b32 s0, -1, 0
	s_delay_alu instid0(SALU_CYCLE_1) | instskip(SKIP_1) | instid1(SALU_CYCLE_1)
	s_cmp_lg_u32 s0, 0
	s_add_co_ci_u32 s81, s81, s85
	s_mul_u64 s[82:83], s[82:83], s[80:81]
	s_delay_alu instid0(SALU_CYCLE_1)
	s_mul_hi_u32 s85, s80, s83
	s_mul_i32 s84, s80, s83
	s_mul_hi_u32 s2, s80, s82
	s_mul_i32 s75, s81, s82
	s_add_nc_u64 s[84:85], s[2:3], s[84:85]
	s_mul_hi_u32 s0, s81, s82
	s_mul_hi_u32 s79, s81, s83
	s_add_co_u32 s2, s84, s75
	s_add_co_ci_u32 s2, s85, s0
	s_mul_i32 s82, s81, s83
	s_add_co_ci_u32 s83, s79, 0
	s_delay_alu instid0(SALU_CYCLE_1) | instskip(NEXT) | instid1(SALU_CYCLE_1)
	s_add_nc_u64 s[82:83], s[2:3], s[82:83]
	s_add_co_u32 s0, s80, s82
	s_cselect_b32 s2, -1, 0
	v_nop
	v_mul_hi_u32 v22, v12, s0
	s_cmp_lg_u32 s2, 0
	s_add_co_ci_u32 s2, s81, s83
	s_and_b64 s[80:81], s[0:1], s[68:69]
	v_mul_u64_e32 v[14:15], s[2:3], v[12:13]
	v_mul_u64_e32 v[10:11], s[80:81], v[18:19]
	;; [unrolled: 1-line block ×3, first 2 shown]
	s_delay_alu instid0(VALU_DEP_3) | instskip(NEXT) | instid1(VALU_DEP_1)
	v_add_nc_u64_e32 v[14:15], v[22:23], v[14:15]
	v_add_co_u32 v3, vcc_lo, v14, v10
	s_delay_alu instid0(VALU_DEP_2) | instskip(NEXT) | instid1(VALU_DEP_4)
	v_add_co_ci_u32_e32 v22, vcc_lo, v15, v11, vcc_lo
	v_add_co_ci_u32_e32 v21, vcc_lo, 0, v21, vcc_lo
	s_delay_alu instid0(VALU_DEP_1) | instskip(NEXT) | instid1(VALU_DEP_1)
	v_add_nc_u64_e32 v[10:11], v[22:23], v[20:21]
	v_mul_u64_e32 v[14:15], s[76:77], v[10:11]
	s_delay_alu instid0(VALU_DEP_1) | instskip(NEXT) | instid1(VALU_DEP_2)
	v_sub_nc_u32_e32 v3, v18, v15
	v_sub_co_u32 v7, vcc_lo, v12, v14
	s_delay_alu instid0(VALU_DEP_1) | instskip(NEXT) | instid1(VALU_DEP_3)
	v_sub_co_ci_u32_e64 v18, null, v18, v15, vcc_lo
	v_subrev_co_ci_u32_e64 v3, null, s77, v3, vcc_lo
	s_delay_alu instid0(VALU_DEP_3) | instskip(SKIP_1) | instid1(VALU_DEP_3)
	v_sub_co_u32 v12, s0, v7, s76
	v_add_nc_u64_e32 v[14:15], 1, v[10:11]
	v_subrev_co_ci_u32_e64 v3, null, 0, v3, s0
	s_delay_alu instid0(VALU_DEP_3) | instskip(SKIP_1) | instid1(VALU_DEP_3)
	v_cmp_le_u32_e32 vcc_lo, s76, v12
	v_cndmask_b32_e64 v12, 0, -1, vcc_lo
	v_cmp_le_u32_e32 vcc_lo, s77, v3
	v_cndmask_b32_e64 v13, 0, -1, vcc_lo
	v_cmp_le_u32_e32 vcc_lo, s76, v7
	v_cndmask_b32_e64 v7, 0, -1, vcc_lo
	v_cmp_le_u32_e32 vcc_lo, s77, v18
	v_cndmask_b32_e64 v19, 0, -1, vcc_lo
	v_cmp_eq_u32_e32 vcc_lo, s77, v3
	v_cndmask_b32_e32 v3, v13, v12, vcc_lo
	v_cmp_eq_u32_e32 vcc_lo, s77, v18
	v_add_nc_u64_e32 v[12:13], 2, v[10:11]
	v_cndmask_b32_e32 v7, v19, v7, vcc_lo
	s_delay_alu instid0(VALU_DEP_4) | instskip(NEXT) | instid1(VALU_DEP_2)
	v_cmp_ne_u32_e32 vcc_lo, 0, v3
	v_cmp_ne_u32_e64 s0, 0, v7
	s_delay_alu instid0(VALU_DEP_4) | instskip(NEXT) | instid1(VALU_DEP_1)
	v_dual_cndmask_b32 v3, v15, v13, vcc_lo :: v_dual_cndmask_b32 v7, v14, v12, vcc_lo
	v_dual_cndmask_b32 v3, v11, v3, s0 :: v_dual_bitop2_b32 v12, s74, v6 bitop3:0x14
	s_delay_alu instid0(VALU_DEP_1) | instskip(NEXT) | instid1(VALU_DEP_2)
	v_dual_mov_b32 v13, v12 :: v_dual_cndmask_b32 v7, v10, v7, s0
	v_xor_b32_e32 v11, v3, v12
	s_delay_alu instid0(VALU_DEP_2) | instskip(NEXT) | instid1(VALU_DEP_1)
	v_xor_b32_e32 v10, v7, v12
	v_sub_nc_u64_e32 v[10:11], v[10:11], v[12:13]
.LBB39_33:                              ;   in Loop: Header=BB39_3 Depth=1
	s_and_not1_saveexec_b32 s0, s73
	s_cbranch_execz .LBB39_35
; %bb.34:                               ;   in Loop: Header=BB39_3 Depth=1
	v_cvt_f32_u32_e32 v3, s42
	s_sub_co_i32 s2, 0, s42
	s_delay_alu instid0(VALU_DEP_1) | instskip(SKIP_1) | instid1(TRANS32_DEP_1)
	v_rcp_iflag_f32_e32 v3, v3
	v_nop
	v_mul_f32_e32 v3, 0x4f7ffffe, v3
	s_delay_alu instid0(VALU_DEP_1) | instskip(NEXT) | instid1(VALU_DEP_1)
	v_cvt_u32_f32_e32 v3, v3
	v_mul_lo_u32 v7, s2, v3
	s_delay_alu instid0(VALU_DEP_1) | instskip(NEXT) | instid1(VALU_DEP_1)
	v_mul_hi_u32 v7, v3, v7
	v_add_nc_u32_e32 v3, v3, v7
	s_delay_alu instid0(VALU_DEP_1) | instskip(NEXT) | instid1(VALU_DEP_1)
	v_mul_hi_u32 v3, v0, v3
	v_mul_lo_u32 v7, v3, s42
	v_add_nc_u32_e32 v10, 1, v3
	s_delay_alu instid0(VALU_DEP_2) | instskip(NEXT) | instid1(VALU_DEP_1)
	v_sub_nc_u32_e32 v7, v0, v7
	v_subrev_nc_u32_e32 v11, s42, v7
	v_cmp_le_u32_e32 vcc_lo, s42, v7
	s_delay_alu instid0(VALU_DEP_2) | instskip(SKIP_1) | instid1(VALU_DEP_2)
	v_dual_cndmask_b32 v7, v7, v11, vcc_lo :: v_dual_mov_b32 v11, v2
	v_cndmask_b32_e32 v3, v3, v10, vcc_lo
	v_cmp_le_u32_e32 vcc_lo, s42, v7
	s_delay_alu instid0(VALU_DEP_2) | instskip(NEXT) | instid1(VALU_DEP_1)
	v_add_nc_u32_e32 v10, 1, v3
	v_cndmask_b32_e32 v10, v3, v10, vcc_lo
.LBB39_35:                              ;   in Loop: Header=BB39_3 Depth=1
	s_or_b32 exec_lo, exec_lo, s0
	s_delay_alu instid0(VALU_DEP_1) | instskip(SKIP_1) | instid1(VALU_DEP_1)
	v_mad_nc_u64_u32 v[12:13], s66, v10, v[0:1]
	s_mov_b32 s0, exec_lo
	v_mad_u32 v3, s67, v10, v13
	s_delay_alu instid0(VALU_DEP_1) | instskip(SKIP_2) | instid1(VALU_DEP_3)
	v_mad_u32 v13, s66, v11, v3
	v_mul_u64_e32 v[10:11], s[16:17], v[10:11]
	v_or_b32_e32 v3, s51, v1
	v_mul_u64_e32 v[12:13], s[18:19], v[12:13]
	s_delay_alu instid0(VALU_DEP_3) | instskip(NEXT) | instid1(VALU_DEP_1)
	v_lshl_add_u64 v[10:11], v[10:11], 2, s[40:41]
	v_lshl_add_u64 v[10:11], v[12:13], 2, v[10:11]
                                        ; implicit-def: $vgpr12_vgpr13
	global_load_b32 v14, v[10:11], off
	s_wait_xcnt 0x0
	v_cmpx_ne_u64_e32 0, v[2:3]
	s_xor_b32 s73, exec_lo, s0
	s_cbranch_execnz .LBB39_39
; %bb.36:                               ;   in Loop: Header=BB39_3 Depth=1
	s_and_not1_saveexec_b32 s0, s73
	s_cbranch_execnz .LBB39_40
.LBB39_37:                              ;   in Loop: Header=BB39_3 Depth=1
	s_or_b32 exec_lo, exec_lo, s0
	s_delay_alu instid0(SALU_CYCLE_1)
	s_and_not1_b32 vcc_lo, exec_lo, s1
	s_cbranch_vccnz .LBB39_41
.LBB39_38:                              ;   in Loop: Header=BB39_3 Depth=1
	v_sub_nc_u64_e32 v[6:7], 1, v[4:5]
	v_sub_nc_u64_e32 v[10:11], 2, v[4:5]
	v_mad_nc_u64_u32 v[18:19], s64, v4, v[0:1]
	s_delay_alu instid0(VALU_DEP_3) | instskip(NEXT) | instid1(VALU_DEP_3)
	v_mad_nc_u64_u32 v[20:21], s4, v6, v[0:1]
	v_mad_nc_u64_u32 v[22:23], s4, v10, v[0:1]
	s_delay_alu instid0(VALU_DEP_3) | instskip(NEXT) | instid1(VALU_DEP_3)
	v_mad_u32 v3, s65, v4, v19
	v_mad_u32 v6, s5, v6, v21
	s_delay_alu instid0(VALU_DEP_3) | instskip(NEXT) | instid1(VALU_DEP_3)
	v_mad_u32 v10, s5, v10, v23
	v_mad_u32 v19, s64, v5, v3
	;; [unrolled: 3-line block ×3, first 2 shown]
	s_delay_alu instid0(VALU_DEP_3) | instskip(SKIP_1) | instid1(VALU_DEP_4)
	v_mul_u64_e32 v[6:7], s[44:45], v[18:19]
	v_mul_u64_e32 v[10:11], s[48:49], v[18:19]
	;; [unrolled: 1-line block ×3, first 2 shown]
	s_delay_alu instid0(VALU_DEP_4)
	v_mul_u64_e32 v[24:25], s[44:45], v[22:23]
	v_mul_u64_e32 v[20:21], s[48:49], v[20:21]
	;; [unrolled: 1-line block ×3, first 2 shown]
	v_lshl_add_u64 v[6:7], v[6:7], 2, s[34:35]
	v_lshl_add_u64 v[10:11], v[10:11], 2, s[46:47]
	;; [unrolled: 1-line block ×6, first 2 shown]
	s_clause 0x2
	global_load_b32 v15, v[6:7], off
	global_load_b32 v3, v[18:19], off
	;; [unrolled: 1-line block ×3, first 2 shown]
	s_clause 0x2
	global_load_b32 v11, v[10:11], off
	global_load_b32 v10, v[20:21], off
	;; [unrolled: 1-line block ×3, first 2 shown]
	s_branch .LBB39_42
.LBB39_39:                              ;   in Loop: Header=BB39_3 Depth=1
	s_ashr_i32 s74, s51, 31
	v_dual_mov_b32 v7, v6 :: v_dual_mov_b32 v13, v2
	s_mov_b32 s75, s74
	v_mov_b32_e32 v25, v2
	s_add_nc_u64 s[76:77], s[50:51], s[74:75]
	s_delay_alu instid0(VALU_DEP_2)
	v_add_nc_u64_e32 v[10:11], v[0:1], v[6:7]
	s_xor_b64 s[76:77], s[76:77], s[74:75]
	v_mov_b32_e32 v21, v2
	s_cvt_f32_u32 s0, s76
	s_cvt_f32_u32 s2, s77
	s_sub_nc_u64 s[82:83], 0, s[76:77]
	s_delay_alu instid0(VALU_DEP_2) | instskip(NEXT) | instid1(SALU_CYCLE_1)
	v_xor_b32_e32 v20, v11, v6
	s_fmamk_f32 s0, s2, 0x4f800000, s0
	v_xor_b32_e32 v12, v10, v6
	v_xor_b32_e32 v6, s74, v6
	s_delay_alu instid0(SALU_CYCLE_1) | instskip(NEXT) | instid1(TRANS32_DEP_1)
	v_s_rcp_f32 s0, s0
	s_mul_f32 s0, s0, 0x5f7ffffc
	s_delay_alu instid0(SALU_CYCLE_3) | instskip(NEXT) | instid1(SALU_CYCLE_3)
	s_mul_f32 s2, s0, 0x2f800000
	s_trunc_f32 s2, s2
	s_delay_alu instid0(SALU_CYCLE_3) | instskip(SKIP_1) | instid1(SALU_CYCLE_2)
	s_fmamk_f32 s0, s2, 0xcf800000, s0
	s_cvt_u32_f32 s81, s2
	s_cvt_u32_f32 s80, s0
	s_delay_alu instid0(SALU_CYCLE_3) | instskip(NEXT) | instid1(SALU_CYCLE_1)
	s_mul_u64 s[84:85], s[82:83], s[80:81]
	s_mul_hi_u32 s87, s80, s85
	s_mul_i32 s86, s80, s85
	s_mul_hi_u32 s2, s80, s84
	s_mul_i32 s75, s81, s84
	s_add_nc_u64 s[86:87], s[2:3], s[86:87]
	s_mul_hi_u32 s0, s81, s84
	s_mul_hi_u32 s79, s81, s85
	s_add_co_u32 s2, s86, s75
	s_add_co_ci_u32 s2, s87, s0
	s_mul_i32 s84, s81, s85
	s_add_co_ci_u32 s85, s79, 0
	s_delay_alu instid0(SALU_CYCLE_1) | instskip(NEXT) | instid1(SALU_CYCLE_1)
	s_add_nc_u64 s[84:85], s[2:3], s[84:85]
	s_add_co_u32 s80, s80, s84
	s_cselect_b32 s0, -1, 0
	s_delay_alu instid0(SALU_CYCLE_1) | instskip(SKIP_1) | instid1(SALU_CYCLE_1)
	s_cmp_lg_u32 s0, 0
	s_add_co_ci_u32 s81, s81, s85
	s_mul_u64 s[82:83], s[82:83], s[80:81]
	s_delay_alu instid0(SALU_CYCLE_1)
	s_mul_hi_u32 s85, s80, s83
	s_mul_i32 s84, s80, s83
	s_mul_hi_u32 s2, s80, s82
	s_mul_i32 s75, s81, s82
	s_add_nc_u64 s[84:85], s[2:3], s[84:85]
	s_mul_hi_u32 s0, s81, s82
	s_mul_hi_u32 s79, s81, s83
	s_add_co_u32 s2, s84, s75
	s_add_co_ci_u32 s2, s85, s0
	s_mul_i32 s82, s81, s83
	s_add_co_ci_u32 s83, s79, 0
	s_delay_alu instid0(SALU_CYCLE_1) | instskip(NEXT) | instid1(SALU_CYCLE_1)
	s_add_nc_u64 s[82:83], s[2:3], s[82:83]
	s_add_co_u32 s0, s80, s82
	s_cselect_b32 s2, -1, 0
	v_nop
	v_mul_hi_u32 v24, v12, s0
	s_cmp_lg_u32 s2, 0
	s_add_co_ci_u32 s2, s81, s83
	s_and_b64 s[80:81], s[0:1], s[68:69]
	v_mul_u64_e32 v[18:19], s[2:3], v[12:13]
	v_mul_u64_e32 v[10:11], s[80:81], v[20:21]
	;; [unrolled: 1-line block ×3, first 2 shown]
	s_delay_alu instid0(VALU_DEP_3) | instskip(NEXT) | instid1(VALU_DEP_1)
	v_add_nc_u64_e32 v[18:19], v[24:25], v[18:19]
	v_add_co_u32 v3, vcc_lo, v18, v10
	s_delay_alu instid0(VALU_DEP_2) | instskip(NEXT) | instid1(VALU_DEP_4)
	v_add_co_ci_u32_e32 v24, vcc_lo, v19, v11, vcc_lo
	v_add_co_ci_u32_e32 v23, vcc_lo, 0, v23, vcc_lo
	s_delay_alu instid0(VALU_DEP_1) | instskip(NEXT) | instid1(VALU_DEP_1)
	v_add_nc_u64_e32 v[10:11], v[24:25], v[22:23]
	v_mul_u64_e32 v[18:19], s[76:77], v[10:11]
	s_delay_alu instid0(VALU_DEP_1) | instskip(NEXT) | instid1(VALU_DEP_2)
	v_sub_nc_u32_e32 v3, v20, v19
	v_sub_co_u32 v7, vcc_lo, v12, v18
	s_delay_alu instid0(VALU_DEP_1) | instskip(NEXT) | instid1(VALU_DEP_3)
	v_sub_co_ci_u32_e64 v15, null, v20, v19, vcc_lo
	v_subrev_co_ci_u32_e64 v3, null, s77, v3, vcc_lo
	s_delay_alu instid0(VALU_DEP_3) | instskip(SKIP_1) | instid1(VALU_DEP_3)
	v_sub_co_u32 v12, s0, v7, s76
	v_add_nc_u64_e32 v[18:19], 1, v[10:11]
	v_subrev_co_ci_u32_e64 v3, null, 0, v3, s0
	s_delay_alu instid0(VALU_DEP_3) | instskip(SKIP_1) | instid1(VALU_DEP_3)
	v_cmp_le_u32_e32 vcc_lo, s76, v12
	v_cndmask_b32_e64 v12, 0, -1, vcc_lo
	v_cmp_le_u32_e32 vcc_lo, s77, v3
	v_cndmask_b32_e64 v13, 0, -1, vcc_lo
	;; [unrolled: 2-line block ×4, first 2 shown]
	v_cmp_eq_u32_e32 vcc_lo, s77, v3
	v_cndmask_b32_e32 v3, v13, v12, vcc_lo
	v_cmp_eq_u32_e32 vcc_lo, s77, v15
	v_add_nc_u64_e32 v[12:13], 2, v[10:11]
	v_cndmask_b32_e32 v7, v20, v7, vcc_lo
	s_delay_alu instid0(VALU_DEP_4) | instskip(NEXT) | instid1(VALU_DEP_3)
	v_cmp_ne_u32_e32 vcc_lo, 0, v3
	v_cndmask_b32_e32 v3, v19, v13, vcc_lo
	s_delay_alu instid0(VALU_DEP_3) | instskip(NEXT) | instid1(VALU_DEP_1)
	v_cmp_ne_u32_e64 s0, 0, v7
	v_dual_cndmask_b32 v7, v18, v12, vcc_lo :: v_dual_cndmask_b32 v3, v11, v3, s0
	s_delay_alu instid0(VALU_DEP_1) | instskip(NEXT) | instid1(VALU_DEP_2)
	v_cndmask_b32_e64 v10, v10, v7, s0
	v_dual_mov_b32 v7, v6 :: v_dual_bitop2_b32 v11, v3, v6 bitop3:0x14
	s_delay_alu instid0(VALU_DEP_2) | instskip(NEXT) | instid1(VALU_DEP_1)
	v_xor_b32_e32 v10, v10, v6
	v_sub_nc_u64_e32 v[12:13], v[10:11], v[6:7]
	s_and_not1_saveexec_b32 s0, s73
	s_cbranch_execz .LBB39_37
.LBB39_40:                              ;   in Loop: Header=BB39_3 Depth=1
	v_cvt_f32_u32_e32 v3, s50
	s_sub_co_i32 s2, 0, s50
	v_mov_b32_e32 v13, v2
	s_delay_alu instid0(VALU_DEP_2) | instskip(SKIP_1) | instid1(TRANS32_DEP_1)
	v_rcp_iflag_f32_e32 v3, v3
	v_nop
	v_mul_f32_e32 v3, 0x4f7ffffe, v3
	s_delay_alu instid0(VALU_DEP_1) | instskip(NEXT) | instid1(VALU_DEP_1)
	v_cvt_u32_f32_e32 v3, v3
	v_mul_lo_u32 v6, s2, v3
	s_delay_alu instid0(VALU_DEP_1) | instskip(NEXT) | instid1(VALU_DEP_1)
	v_mul_hi_u32 v6, v3, v6
	v_add_nc_u32_e32 v3, v3, v6
	s_delay_alu instid0(VALU_DEP_1) | instskip(NEXT) | instid1(VALU_DEP_1)
	v_mul_hi_u32 v3, v0, v3
	v_mul_lo_u32 v6, v3, s50
	s_delay_alu instid0(VALU_DEP_1) | instskip(NEXT) | instid1(VALU_DEP_1)
	v_sub_nc_u32_e32 v6, v0, v6
	v_subrev_nc_u32_e32 v10, s50, v6
	v_cmp_le_u32_e32 vcc_lo, s50, v6
	s_delay_alu instid0(VALU_DEP_2) | instskip(NEXT) | instid1(VALU_DEP_1)
	v_dual_cndmask_b32 v6, v6, v10 :: v_dual_add_nc_u32 v7, 1, v3
	v_cndmask_b32_e32 v3, v3, v7, vcc_lo
	s_delay_alu instid0(VALU_DEP_2) | instskip(NEXT) | instid1(VALU_DEP_2)
	v_cmp_le_u32_e32 vcc_lo, s50, v6
	v_add_nc_u32_e32 v7, 1, v3
	s_delay_alu instid0(VALU_DEP_1) | instskip(SKIP_1) | instid1(SALU_CYCLE_1)
	v_cndmask_b32_e32 v12, v3, v7, vcc_lo
	s_or_b32 exec_lo, exec_lo, s0
	s_and_not1_b32 vcc_lo, exec_lo, s1
	s_cbranch_vccz .LBB39_38
.LBB39_41:                              ;   in Loop: Header=BB39_3 Depth=1
	v_dual_mov_b32 v3, 0 :: v_dual_mov_b32 v11, 0
	v_dual_mov_b32 v10, 0 :: v_dual_mov_b32 v15, 0
	s_delay_alu instid0(VALU_DEP_2)
	v_dual_mov_b32 v6, 0 :: v_dual_mov_b32 v7, v3
.LBB39_42:                              ;   in Loop: Header=BB39_3 Depth=1
	s_wait_loadcnt 0x3
	v_add_f32_e32 v16, v31, v16
	s_wait_loadcnt 0x0
	s_delay_alu instid0(VALU_DEP_2) | instskip(NEXT) | instid1(VALU_DEP_2)
	v_pk_add_f32 v[6:7], v[8:9], v[6:7]
	v_add_f32_e32 v15, v16, v15
	s_delay_alu instid0(VALU_DEP_1) | instskip(NEXT) | instid1(VALU_DEP_1)
	v_add_f32_e32 v11, v11, v15
	v_mul_f32_e32 v15, 0xbfb8aa3b, v11
	v_cmp_nlt_f32_e32 vcc_lo, 0x42ce8ed0, v11
	s_delay_alu instid0(VALU_DEP_2) | instskip(SKIP_1) | instid1(VALU_DEP_1)
	v_fma_f32 v16, 0xbfb8aa3b, v11, -v15
	v_rndne_f32_e32 v18, v15
	v_dual_fmac_f32 v16, 0xb2a5705f, v11 :: v_dual_sub_f32 v15, v15, v18
	s_delay_alu instid0(VALU_DEP_1) | instskip(SKIP_1) | instid1(VALU_DEP_2)
	v_add_f32_e32 v15, v15, v16
	v_cvt_i32_f32_e32 v16, v18
	v_exp_f32_e32 v15, v15
	v_nop
	s_delay_alu instid0(TRANS32_DEP_1) | instskip(NEXT) | instid1(VALU_DEP_1)
	v_ldexp_f32 v15, v15, v16
	v_cndmask_b32_e32 v15, 0, v15, vcc_lo
	v_cmp_ngt_f32_e32 vcc_lo, 0xc2b17218, v11
	s_delay_alu instid0(VALU_DEP_2) | instskip(NEXT) | instid1(VALU_DEP_1)
	v_cndmask_b32_e32 v11, 0x7f800000, v15, vcc_lo
	v_add_f32_e32 v11, 1.0, v11
	s_delay_alu instid0(VALU_DEP_1) | instskip(SKIP_1) | instid1(VALU_DEP_2)
	v_div_scale_f32 v15, null, v11, v11, 1.0
	v_div_scale_f32 v19, vcc_lo, 1.0, v11, 1.0
	v_rcp_f32_e32 v16, v15
	v_nop
	s_delay_alu instid0(TRANS32_DEP_1) | instskip(NEXT) | instid1(VALU_DEP_1)
	v_fma_f32 v18, -v15, v16, 1.0
	v_fmac_f32_e32 v16, v18, v16
	s_delay_alu instid0(VALU_DEP_1) | instskip(SKIP_1) | instid1(VALU_DEP_1)
	v_mul_f32_e32 v18, v19, v16
	s_wait_xcnt 0x1
	v_fma_f32 v20, -v15, v18, v19
	s_delay_alu instid0(VALU_DEP_1) | instskip(NEXT) | instid1(VALU_DEP_1)
	v_fmac_f32_e32 v18, v20, v16
	v_fma_f32 v15, -v15, v18, v19
	s_delay_alu instid0(VALU_DEP_1) | instskip(NEXT) | instid1(VALU_DEP_1)
	v_div_fmas_f32 v15, v15, v16, v18
	v_div_fixup_f32 v18, v15, v11, 1.0
                                        ; implicit-def: $vgpr15
	s_delay_alu instid0(VALU_DEP_1) | instskip(NEXT) | instid1(VALU_DEP_1)
	v_fma_f32 v6, v7, v18, v6
	v_cmp_ngt_f32_e64 s0, 0x3f200000, |v6|
	s_wait_xcnt 0x0
	s_and_saveexec_b32 s2, s0
	s_delay_alu instid0(SALU_CYCLE_1)
	s_xor_b32 s0, exec_lo, s2
	s_cbranch_execz .LBB39_44
; %bb.43:                               ;   in Loop: Header=BB39_3 Depth=1
	v_add_f32_e64 v8, |v6|, |v6|
	s_delay_alu instid0(VALU_DEP_1) | instskip(SKIP_1) | instid1(VALU_DEP_2)
	v_mul_f32_e32 v9, 0x3fb8aa3b, v8
	v_cmp_ngt_f32_e32 vcc_lo, 0xc2ce8ed0, v8
	v_rndne_f32_e32 v11, v9
	v_fma_f32 v15, 0x3fb8aa3b, v8, -v9
	s_delay_alu instid0(VALU_DEP_2) | instskip(NEXT) | instid1(VALU_DEP_2)
	v_sub_f32_e32 v9, v9, v11
	v_fmac_f32_e32 v15, 0x32a5705f, v8
	v_cvt_i32_f32_e32 v11, v11
	s_delay_alu instid0(VALU_DEP_2) | instskip(NEXT) | instid1(VALU_DEP_1)
	v_add_f32_e32 v9, v9, v15
	v_exp_f32_e32 v9, v9
	v_nop
	s_delay_alu instid0(TRANS32_DEP_1) | instskip(NEXT) | instid1(VALU_DEP_1)
	v_ldexp_f32 v9, v9, v11
	v_cndmask_b32_e32 v9, 0, v9, vcc_lo
	v_cmp_nlt_f32_e32 vcc_lo, 0x42b17218, v8
	s_delay_alu instid0(VALU_DEP_2) | instskip(NEXT) | instid1(VALU_DEP_1)
	v_cndmask_b32_e32 v8, 0x7f800000, v9, vcc_lo
	v_add_f32_e32 v8, 1.0, v8
	s_delay_alu instid0(VALU_DEP_1) | instskip(SKIP_1) | instid1(TRANS32_DEP_1)
	v_rcp_f32_e32 v8, v8
	v_nop
	v_fma_f32 v15, v8, -2.0, 1.0
.LBB39_44:                              ;   in Loop: Header=BB39_3 Depth=1
	s_and_not1_saveexec_b32 s0, s0
	s_cbranch_execz .LBB39_46
; %bb.45:                               ;   in Loop: Header=BB39_3 Depth=1
	v_mul_f32_e32 v8, v6, v6
	s_delay_alu instid0(VALU_DEP_1) | instskip(NEXT) | instid1(VALU_DEP_1)
	v_fmaak_f32 v9, s33, v8, 0x3ca908c9
	v_fmaak_f32 v9, v8, v9, 0xbd5c1c4e
	s_delay_alu instid0(VALU_DEP_1) | instskip(NEXT) | instid1(VALU_DEP_1)
	v_fmaak_f32 v9, v8, v9, 0x3e088382
	v_fmaak_f32 v9, v8, v9, 0xbeaaaa99
	s_delay_alu instid0(VALU_DEP_1) | instskip(NEXT) | instid1(VALU_DEP_1)
	v_mul_f32_e64 v9, |v6|, v9
	v_fma_f32 v15, v8, v9, |v6|
.LBB39_46:                              ;   in Loop: Header=BB39_3 Depth=1
	s_or_b32 exec_lo, exec_lo, s0
	v_add_f32_e32 v8, v32, v17
	s_delay_alu instid0(VALU_DEP_2) | instskip(NEXT) | instid1(VALU_DEP_2)
	v_bfi_b32 v15, 0x7fffffff, v15, v6
	v_add_f32_e32 v3, v8, v3
	s_delay_alu instid0(VALU_DEP_1) | instskip(NEXT) | instid1(VALU_DEP_1)
	v_dual_sub_f32 v6, v14, v15 :: v_dual_add_f32 v3, v3, v10
	v_mul_f32_e32 v8, 0xbfb8aa3b, v3
	v_cmp_nlt_f32_e32 vcc_lo, 0x42ce8ed0, v3
	s_delay_alu instid0(VALU_DEP_2) | instskip(SKIP_1) | instid1(VALU_DEP_1)
	v_fma_f32 v9, 0xbfb8aa3b, v3, -v8
	v_rndne_f32_e32 v10, v8
	v_dual_fmac_f32 v9, 0xb2a5705f, v3 :: v_dual_sub_f32 v8, v8, v10
	s_delay_alu instid0(VALU_DEP_1) | instskip(SKIP_1) | instid1(VALU_DEP_2)
	v_add_f32_e32 v8, v8, v9
	v_cvt_i32_f32_e32 v9, v10
	v_exp_f32_e32 v8, v8
	v_nop
	s_delay_alu instid0(TRANS32_DEP_1) | instskip(NEXT) | instid1(VALU_DEP_1)
	v_ldexp_f32 v8, v8, v9
	v_cndmask_b32_e32 v10, 0, v8, vcc_lo
	v_cmp_ngt_f32_e32 vcc_lo, 0xc2b17218, v3
	v_mad_nc_u64_u32 v[8:9], s70, v12, v[0:1]
	s_delay_alu instid0(VALU_DEP_3) | instskip(SKIP_1) | instid1(VALU_DEP_2)
	v_cndmask_b32_e32 v3, 0x7f800000, v10, vcc_lo
	v_mul_u64_e32 v[10:11], s[62:63], v[4:5]
	v_add_f32_e32 v16, 1.0, v3
	s_delay_alu instid0(VALU_DEP_4) | instskip(NEXT) | instid1(VALU_DEP_2)
	v_mad_u32 v3, s71, v12, v9
	v_div_scale_f32 v17, null, v16, v16, 1.0
	v_div_scale_f32 v22, vcc_lo, 1.0, v16, 1.0
	s_delay_alu instid0(VALU_DEP_2) | instskip(NEXT) | instid1(VALU_DEP_3)
	v_rcp_f32_e32 v19, v17
	v_mad_u32 v9, s70, v13, v3
	v_mul_u64_e32 v[12:13], s[20:21], v[12:13]
	s_delay_alu instid0(TRANS32_DEP_1) | instskip(NEXT) | instid1(VALU_DEP_1)
	v_fma_f32 v3, -v17, v19, 1.0
	v_fmac_f32_e32 v19, v3, v19
	s_delay_alu instid0(VALU_DEP_4) | instskip(NEXT) | instid1(VALU_DEP_2)
	v_mul_u64_e32 v[20:21], s[22:23], v[8:9]
	v_mul_f32_e32 v3, v22, v19
	s_delay_alu instid0(VALU_DEP_1) | instskip(NEXT) | instid1(VALU_DEP_1)
	v_fma_f32 v8, -v17, v3, v22
	v_fmac_f32_e32 v3, v8, v19
	v_add_nc_u64_e32 v[8:9], v[0:1], v[10:11]
	s_delay_alu instid0(VALU_DEP_2) | instskip(SKIP_1) | instid1(VALU_DEP_2)
	v_fma_f32 v17, -v17, v3, v22
	v_lshl_add_u64 v[12:13], v[12:13], 2, s[52:53]
	v_div_fmas_f32 v17, v17, v19, v3
	s_delay_alu instid0(VALU_DEP_4) | instskip(NEXT) | instid1(VALU_DEP_2)
	v_or_b32_e32 v3, s57, v9
	v_div_fixup_f32 v16, v17, v16, 1.0
	s_delay_alu instid0(VALU_DEP_2) | instskip(SKIP_1) | instid1(VALU_DEP_3)
	v_cmp_ne_u64_e32 vcc_lo, 0, v[2:3]
	v_lshl_add_u64 v[12:13], v[20:21], 2, v[12:13]
	v_fma_f32 v3, v16, v6, v15
	global_store_b32 v[12:13], v3, off
                                        ; implicit-def: $vgpr12_vgpr13
	s_wait_xcnt 0x0
	s_and_saveexec_b32 s0, vcc_lo
	s_delay_alu instid0(SALU_CYCLE_1)
	s_xor_b32 s73, exec_lo, s0
	s_cbranch_execz .LBB39_48
; %bb.47:                               ;   in Loop: Header=BB39_3 Depth=1
	s_ashr_i32 s74, s57, 31
	v_dual_mov_b32 v21, v2 :: v_dual_ashrrev_i32 v12, 31, v9
	s_mov_b32 s75, s74
	v_mov_b32_e32 v25, v2
	s_add_nc_u64 s[76:77], s[56:57], s[74:75]
	s_delay_alu instid0(VALU_DEP_2)
	v_mov_b32_e32 v13, v12
	s_xor_b64 s[76:77], s[76:77], s[74:75]
	v_mov_b32_e32 v29, v2
	s_cvt_f32_u32 s0, s76
	s_cvt_f32_u32 s2, s77
	s_sub_nc_u64 s[82:83], 0, s[76:77]
	v_add_nc_u64_e32 v[8:9], v[8:9], v[12:13]
	s_delay_alu instid0(SALU_CYCLE_1) | instskip(NEXT) | instid1(SALU_CYCLE_3)
	s_fmamk_f32 s0, s2, 0x4f800000, s0
	v_s_rcp_f32 s0, s0
	s_delay_alu instid0(VALU_DEP_1) | instskip(NEXT) | instid1(VALU_DEP_2)
	v_xor_b32_e32 v20, v8, v12
	v_xor_b32_e32 v24, v9, v12
	s_delay_alu instid0(TRANS32_DEP_1) | instskip(NEXT) | instid1(SALU_CYCLE_3)
	s_mul_f32 s0, s0, 0x5f7ffffc
	s_mul_f32 s2, s0, 0x2f800000
	s_delay_alu instid0(SALU_CYCLE_3) | instskip(NEXT) | instid1(SALU_CYCLE_3)
	s_trunc_f32 s2, s2
	s_fmamk_f32 s0, s2, 0xcf800000, s0
	s_cvt_u32_f32 s81, s2
	s_delay_alu instid0(SALU_CYCLE_2) | instskip(NEXT) | instid1(SALU_CYCLE_3)
	s_cvt_u32_f32 s80, s0
	s_mul_u64 s[84:85], s[82:83], s[80:81]
	s_delay_alu instid0(SALU_CYCLE_1)
	s_mul_hi_u32 s87, s80, s85
	s_mul_i32 s86, s80, s85
	s_mul_hi_u32 s2, s80, s84
	s_mul_i32 s75, s81, s84
	s_add_nc_u64 s[86:87], s[2:3], s[86:87]
	s_mul_hi_u32 s0, s81, s84
	s_mul_hi_u32 s79, s81, s85
	s_add_co_u32 s2, s86, s75
	s_add_co_ci_u32 s2, s87, s0
	s_mul_i32 s84, s81, s85
	s_add_co_ci_u32 s85, s79, 0
	s_delay_alu instid0(SALU_CYCLE_1) | instskip(NEXT) | instid1(SALU_CYCLE_1)
	s_add_nc_u64 s[84:85], s[2:3], s[84:85]
	s_add_co_u32 s80, s80, s84
	s_cselect_b32 s0, -1, 0
	s_delay_alu instid0(SALU_CYCLE_1) | instskip(SKIP_1) | instid1(SALU_CYCLE_1)
	s_cmp_lg_u32 s0, 0
	s_add_co_ci_u32 s81, s81, s85
	s_mul_u64 s[82:83], s[82:83], s[80:81]
	s_delay_alu instid0(SALU_CYCLE_1)
	s_mul_hi_u32 s85, s80, s83
	s_mul_i32 s84, s80, s83
	s_mul_hi_u32 s2, s80, s82
	s_mul_i32 s75, s81, s82
	s_add_nc_u64 s[84:85], s[2:3], s[84:85]
	s_mul_hi_u32 s0, s81, s82
	s_mul_hi_u32 s79, s81, s83
	s_add_co_u32 s2, s84, s75
	s_add_co_ci_u32 s2, s85, s0
	s_mul_i32 s82, s81, s83
	s_add_co_ci_u32 s83, s79, 0
	s_delay_alu instid0(SALU_CYCLE_1) | instskip(NEXT) | instid1(SALU_CYCLE_1)
	s_add_nc_u64 s[82:83], s[2:3], s[82:83]
	s_add_co_u32 s0, s80, s82
	s_cselect_b32 s2, -1, 0
	v_mul_hi_u32 v28, v20, s0
	s_cmp_lg_u32 s2, 0
	s_add_co_ci_u32 s2, s81, s83
	s_and_b64 s[80:81], s[0:1], s[68:69]
	v_mul_u64_e32 v[22:23], s[2:3], v[20:21]
	v_mul_u64_e32 v[8:9], s[80:81], v[24:25]
	;; [unrolled: 1-line block ×3, first 2 shown]
	s_delay_alu instid0(VALU_DEP_3) | instskip(NEXT) | instid1(VALU_DEP_1)
	v_add_nc_u64_e32 v[22:23], v[28:29], v[22:23]
	v_add_co_u32 v3, vcc_lo, v22, v8
	s_delay_alu instid0(VALU_DEP_2) | instskip(NEXT) | instid1(VALU_DEP_4)
	v_add_co_ci_u32_e32 v28, vcc_lo, v23, v9, vcc_lo
	v_add_co_ci_u32_e32 v27, vcc_lo, 0, v27, vcc_lo
	s_delay_alu instid0(VALU_DEP_1) | instskip(NEXT) | instid1(VALU_DEP_1)
	v_add_nc_u64_e32 v[8:9], v[28:29], v[26:27]
	v_mul_u64_e32 v[22:23], s[76:77], v[8:9]
	s_delay_alu instid0(VALU_DEP_1) | instskip(NEXT) | instid1(VALU_DEP_2)
	v_sub_nc_u32_e32 v3, v24, v23
	v_sub_co_u32 v6, vcc_lo, v20, v22
	s_delay_alu instid0(VALU_DEP_1) | instskip(NEXT) | instid1(VALU_DEP_3)
	v_sub_co_ci_u32_e64 v17, null, v24, v23, vcc_lo
	v_subrev_co_ci_u32_e64 v3, null, s77, v3, vcc_lo
	s_delay_alu instid0(VALU_DEP_3) | instskip(SKIP_1) | instid1(VALU_DEP_3)
	v_sub_co_u32 v13, s0, v6, s76
	v_add_nc_u64_e32 v[20:21], 2, v[8:9]
	v_subrev_co_ci_u32_e64 v3, null, 0, v3, s0
	s_delay_alu instid0(VALU_DEP_3) | instskip(SKIP_2) | instid1(VALU_DEP_4)
	v_cmp_le_u32_e32 vcc_lo, s76, v13
	v_add_nc_u64_e32 v[22:23], 1, v[8:9]
	v_cndmask_b32_e64 v13, 0, -1, vcc_lo
	v_cmp_le_u32_e32 vcc_lo, s77, v3
	v_cndmask_b32_e64 v19, 0, -1, vcc_lo
	v_cmp_le_u32_e32 vcc_lo, s76, v6
	;; [unrolled: 2-line block ×3, first 2 shown]
	v_cndmask_b32_e64 v24, 0, -1, vcc_lo
	v_cmp_eq_u32_e32 vcc_lo, s77, v3
	v_cndmask_b32_e32 v3, v19, v13, vcc_lo
	v_cmp_eq_u32_e32 vcc_lo, s77, v17
	s_delay_alu instid0(VALU_DEP_4) | instskip(NEXT) | instid1(VALU_DEP_3)
	v_cndmask_b32_e32 v6, v24, v6, vcc_lo
	v_cmp_ne_u32_e32 vcc_lo, 0, v3
	s_delay_alu instid0(VALU_DEP_2) | instskip(SKIP_1) | instid1(VALU_DEP_1)
	v_cmp_ne_u32_e64 s0, 0, v6
	v_dual_cndmask_b32 v3, v23, v21 :: v_dual_cndmask_b32 v6, v22, v20
	v_dual_cndmask_b32 v3, v9, v3, s0 :: v_dual_bitop2_b32 v12, s74, v12 bitop3:0x14
	s_delay_alu instid0(VALU_DEP_1) | instskip(NEXT) | instid1(VALU_DEP_1)
	v_dual_cndmask_b32 v6, v8, v6, s0 :: v_dual_bitop2_b32 v9, v3, v12 bitop3:0x14
	v_dual_mov_b32 v13, v12 :: v_dual_bitop2_b32 v8, v6, v12 bitop3:0x14
	s_delay_alu instid0(VALU_DEP_1)
	v_sub_nc_u64_e32 v[12:13], v[8:9], v[12:13]
                                        ; implicit-def: $vgpr8_vgpr9
.LBB39_48:                              ;   in Loop: Header=BB39_3 Depth=1
	s_or_saveexec_b32 s0, s73
	v_cvt_f32_u32_e32 v6, s56
	s_xor_b32 exec_lo, exec_lo, s0
	s_cbranch_execz .LBB39_50
; %bb.49:                               ;   in Loop: Header=BB39_3 Depth=1
	s_delay_alu instid0(VALU_DEP_1) | instskip(SKIP_2) | instid1(TRANS32_DEP_1)
	v_rcp_iflag_f32_e32 v3, v6
	s_sub_co_i32 s2, 0, s56
	v_mov_b32_e32 v13, v2
	v_mul_f32_e32 v3, 0x4f7ffffe, v3
	s_delay_alu instid0(VALU_DEP_1) | instskip(NEXT) | instid1(VALU_DEP_1)
	v_cvt_u32_f32_e32 v3, v3
	v_mul_lo_u32 v9, s2, v3
	s_delay_alu instid0(VALU_DEP_1) | instskip(NEXT) | instid1(VALU_DEP_1)
	v_mul_hi_u32 v9, v3, v9
	v_add_nc_u32_e32 v3, v3, v9
	s_delay_alu instid0(VALU_DEP_1) | instskip(NEXT) | instid1(VALU_DEP_1)
	v_mul_hi_u32 v3, v8, v3
	v_mul_lo_u32 v9, v3, s56
	s_delay_alu instid0(VALU_DEP_1) | instskip(NEXT) | instid1(VALU_DEP_1)
	v_dual_sub_nc_u32 v8, v8, v9 :: v_dual_add_nc_u32 v9, 1, v3
	v_subrev_nc_u32_e32 v12, s56, v8
	v_cmp_le_u32_e32 vcc_lo, s56, v8
	s_delay_alu instid0(VALU_DEP_2) | instskip(NEXT) | instid1(VALU_DEP_1)
	v_dual_cndmask_b32 v8, v8, v12 :: v_dual_cndmask_b32 v3, v3, v9
	v_cmp_le_u32_e32 vcc_lo, s56, v8
	s_delay_alu instid0(VALU_DEP_2) | instskip(NEXT) | instid1(VALU_DEP_1)
	v_add_nc_u32_e32 v9, 1, v3
	v_cndmask_b32_e32 v12, v3, v9, vcc_lo
.LBB39_50:                              ;   in Loop: Header=BB39_3 Depth=1
	s_or_b32 exec_lo, exec_lo, s0
	s_delay_alu instid0(VALU_DEP_1) | instskip(SKIP_4) | instid1(VALU_DEP_4)
	v_mul_u64_e32 v[20:21], s[56:57], v[12:13]
	v_lshlrev_b64_e32 v[8:9], 2, v[4:5]
	v_mul_u64_e32 v[12:13], s[24:25], v[12:13]
	v_alignbit_b32 v4, v5, v4, 30
	s_mov_b32 s0, exec_lo
	v_sub_nc_u64_e32 v[20:21], v[10:11], v[20:21]
	s_delay_alu instid0(VALU_DEP_4) | instskip(NEXT) | instid1(VALU_DEP_4)
	v_mad_nc_u64_u32 v[10:11], s4, v8, s[4:5]
	v_lshl_add_u64 v[12:13], v[12:13], 2, s[54:55]
	s_delay_alu instid0(VALU_DEP_3) | instskip(NEXT) | instid1(VALU_DEP_3)
	v_add_nc_u64_e32 v[20:21], v[0:1], v[20:21]
	v_mad_u32 v3, s5, v8, v11
	s_delay_alu instid0(VALU_DEP_2) | instskip(NEXT) | instid1(VALU_DEP_2)
	v_mul_u64_e32 v[20:21], s[26:27], v[20:21]
	v_mad_u32 v11, s4, v4, v3
	s_delay_alu instid0(VALU_DEP_1) | instskip(NEXT) | instid1(VALU_DEP_1)
	v_add_nc_u64_e32 v[4:5], v[0:1], v[10:11]
	v_or_b32_e32 v3, s57, v5
	s_delay_alu instid0(VALU_DEP_4)
	v_lshl_add_u64 v[12:13], v[20:21], 2, v[12:13]
	global_store_b32 v[12:13], v18, off
                                        ; implicit-def: $vgpr12_vgpr13
	s_wait_xcnt 0x0
	v_cmpx_ne_u64_e32 0, v[2:3]
	s_xor_b32 s73, exec_lo, s0
	s_cbranch_execz .LBB39_52
; %bb.51:                               ;   in Loop: Header=BB39_3 Depth=1
	s_ashr_i32 s74, s57, 31
	v_dual_mov_b32 v19, v2 :: v_dual_ashrrev_i32 v12, 31, v5
	s_mov_b32 s75, s74
	v_mov_b32_e32 v23, v2
	s_add_nc_u64 s[76:77], s[56:57], s[74:75]
	s_delay_alu instid0(VALU_DEP_2)
	v_mov_b32_e32 v13, v12
	s_xor_b64 s[76:77], s[76:77], s[74:75]
	v_mov_b32_e32 v27, v2
	s_cvt_f32_u32 s0, s76
	s_cvt_f32_u32 s2, s77
	s_sub_nc_u64 s[82:83], 0, s[76:77]
	v_add_nc_u64_e32 v[4:5], v[4:5], v[12:13]
	s_delay_alu instid0(SALU_CYCLE_1) | instskip(NEXT) | instid1(SALU_CYCLE_3)
	s_fmamk_f32 s0, s2, 0x4f800000, s0
	v_s_rcp_f32 s0, s0
	s_delay_alu instid0(VALU_DEP_1) | instskip(NEXT) | instid1(VALU_DEP_2)
	v_xor_b32_e32 v18, v4, v12
	v_xor_b32_e32 v22, v5, v12
	s_delay_alu instid0(TRANS32_DEP_1) | instskip(NEXT) | instid1(SALU_CYCLE_3)
	s_mul_f32 s0, s0, 0x5f7ffffc
	s_mul_f32 s2, s0, 0x2f800000
	s_delay_alu instid0(SALU_CYCLE_3) | instskip(NEXT) | instid1(SALU_CYCLE_3)
	s_trunc_f32 s2, s2
	s_fmamk_f32 s0, s2, 0xcf800000, s0
	s_cvt_u32_f32 s81, s2
	s_delay_alu instid0(SALU_CYCLE_2) | instskip(NEXT) | instid1(SALU_CYCLE_3)
	s_cvt_u32_f32 s80, s0
	s_mul_u64 s[84:85], s[82:83], s[80:81]
	s_delay_alu instid0(SALU_CYCLE_1)
	s_mul_hi_u32 s87, s80, s85
	s_mul_i32 s86, s80, s85
	s_mul_hi_u32 s2, s80, s84
	s_mul_i32 s75, s81, s84
	s_add_nc_u64 s[86:87], s[2:3], s[86:87]
	s_mul_hi_u32 s0, s81, s84
	s_mul_hi_u32 s79, s81, s85
	s_add_co_u32 s2, s86, s75
	s_add_co_ci_u32 s2, s87, s0
	s_mul_i32 s84, s81, s85
	s_add_co_ci_u32 s85, s79, 0
	s_delay_alu instid0(SALU_CYCLE_1) | instskip(NEXT) | instid1(SALU_CYCLE_1)
	s_add_nc_u64 s[84:85], s[2:3], s[84:85]
	s_add_co_u32 s80, s80, s84
	s_cselect_b32 s0, -1, 0
	s_delay_alu instid0(SALU_CYCLE_1) | instskip(SKIP_1) | instid1(SALU_CYCLE_1)
	s_cmp_lg_u32 s0, 0
	s_add_co_ci_u32 s81, s81, s85
	s_mul_u64 s[82:83], s[82:83], s[80:81]
	s_delay_alu instid0(SALU_CYCLE_1)
	s_mul_hi_u32 s85, s80, s83
	s_mul_i32 s84, s80, s83
	s_mul_hi_u32 s2, s80, s82
	s_mul_i32 s75, s81, s82
	s_add_nc_u64 s[84:85], s[2:3], s[84:85]
	s_mul_hi_u32 s0, s81, s82
	s_mul_hi_u32 s79, s81, s83
	s_add_co_u32 s2, s84, s75
	s_add_co_ci_u32 s2, s85, s0
	s_mul_i32 s82, s81, s83
	s_add_co_ci_u32 s83, s79, 0
	s_delay_alu instid0(SALU_CYCLE_1) | instskip(NEXT) | instid1(SALU_CYCLE_1)
	s_add_nc_u64 s[82:83], s[2:3], s[82:83]
	s_add_co_u32 s0, s80, s82
	s_cselect_b32 s2, -1, 0
	v_mul_hi_u32 v26, v18, s0
	s_cmp_lg_u32 s2, 0
	s_add_co_ci_u32 s2, s81, s83
	s_and_b64 s[80:81], s[0:1], s[68:69]
	v_mul_u64_e32 v[20:21], s[2:3], v[18:19]
	v_mul_u64_e32 v[4:5], s[80:81], v[22:23]
	;; [unrolled: 1-line block ×3, first 2 shown]
	s_delay_alu instid0(VALU_DEP_3) | instskip(NEXT) | instid1(VALU_DEP_1)
	v_add_nc_u64_e32 v[20:21], v[26:27], v[20:21]
	v_add_co_u32 v3, vcc_lo, v20, v4
	s_delay_alu instid0(VALU_DEP_2) | instskip(NEXT) | instid1(VALU_DEP_4)
	v_add_co_ci_u32_e32 v26, vcc_lo, v21, v5, vcc_lo
	v_add_co_ci_u32_e32 v25, vcc_lo, 0, v25, vcc_lo
	s_delay_alu instid0(VALU_DEP_1) | instskip(NEXT) | instid1(VALU_DEP_1)
	v_add_nc_u64_e32 v[4:5], v[26:27], v[24:25]
	v_mul_u64_e32 v[20:21], s[76:77], v[4:5]
	s_delay_alu instid0(VALU_DEP_1) | instskip(NEXT) | instid1(VALU_DEP_2)
	v_sub_nc_u32_e32 v3, v22, v21
	v_sub_co_u32 v13, vcc_lo, v18, v20
	s_delay_alu instid0(VALU_DEP_1) | instskip(NEXT) | instid1(VALU_DEP_3)
	v_sub_co_ci_u32_e64 v22, null, v22, v21, vcc_lo
	v_subrev_co_ci_u32_e64 v3, null, s77, v3, vcc_lo
	s_delay_alu instid0(VALU_DEP_3) | instskip(SKIP_1) | instid1(VALU_DEP_3)
	v_sub_co_u32 v17, s0, v13, s76
	v_add_nc_u64_e32 v[20:21], 1, v[4:5]
	v_subrev_co_ci_u32_e64 v3, null, 0, v3, s0
	s_delay_alu instid0(VALU_DEP_3) | instskip(SKIP_1) | instid1(VALU_DEP_3)
	v_cmp_le_u32_e32 vcc_lo, s76, v17
	v_cndmask_b32_e64 v17, 0, -1, vcc_lo
	v_cmp_le_u32_e32 vcc_lo, s77, v3
	v_cndmask_b32_e64 v18, 0, -1, vcc_lo
	;; [unrolled: 2-line block ×4, first 2 shown]
	v_cmp_eq_u32_e32 vcc_lo, s77, v3
	v_cndmask_b32_e32 v3, v18, v17, vcc_lo
	v_cmp_eq_u32_e32 vcc_lo, s77, v22
	v_add_nc_u64_e32 v[18:19], 2, v[4:5]
	v_cndmask_b32_e32 v13, v23, v13, vcc_lo
	s_delay_alu instid0(VALU_DEP_4) | instskip(NEXT) | instid1(VALU_DEP_3)
	v_cmp_ne_u32_e32 vcc_lo, 0, v3
	v_cndmask_b32_e32 v3, v21, v19, vcc_lo
	s_delay_alu instid0(VALU_DEP_3) | instskip(SKIP_1) | instid1(VALU_DEP_1)
	v_cmp_ne_u32_e64 s0, 0, v13
	v_dual_cndmask_b32 v13, v20, v18, vcc_lo :: v_dual_bitop2_b32 v12, s74, v12 bitop3:0x14
	v_dual_cndmask_b32 v3, v5, v3, s0 :: v_dual_cndmask_b32 v4, v4, v13, s0
	s_delay_alu instid0(VALU_DEP_1) | instskip(NEXT) | instid1(VALU_DEP_2)
	v_dual_mov_b32 v13, v12 :: v_dual_bitop2_b32 v5, v3, v12 bitop3:0x14
	v_xor_b32_e32 v4, v4, v12
	s_delay_alu instid0(VALU_DEP_1)
	v_sub_nc_u64_e32 v[12:13], v[4:5], v[12:13]
                                        ; implicit-def: $vgpr4_vgpr5
.LBB39_52:                              ;   in Loop: Header=BB39_3 Depth=1
	s_and_not1_saveexec_b32 s0, s73
	s_cbranch_execz .LBB39_54
; %bb.53:                               ;   in Loop: Header=BB39_3 Depth=1
	v_rcp_iflag_f32_e32 v3, v6
	s_sub_co_i32 s2, 0, s56
	v_mov_b32_e32 v13, v2
	s_delay_alu instid0(TRANS32_DEP_1) | instskip(NEXT) | instid1(VALU_DEP_1)
	v_mul_f32_e32 v3, 0x4f7ffffe, v3
	v_cvt_u32_f32_e32 v3, v3
	s_delay_alu instid0(VALU_DEP_1) | instskip(NEXT) | instid1(VALU_DEP_1)
	v_mul_lo_u32 v5, s2, v3
	v_mul_hi_u32 v5, v3, v5
	s_delay_alu instid0(VALU_DEP_1) | instskip(NEXT) | instid1(VALU_DEP_1)
	v_add_nc_u32_e32 v3, v3, v5
	v_mul_hi_u32 v3, v4, v3
	s_delay_alu instid0(VALU_DEP_1) | instskip(NEXT) | instid1(VALU_DEP_1)
	v_mul_lo_u32 v5, v3, s56
	v_dual_sub_nc_u32 v4, v4, v5 :: v_dual_add_nc_u32 v5, 1, v3
	s_delay_alu instid0(VALU_DEP_1) | instskip(SKIP_1) | instid1(VALU_DEP_2)
	v_subrev_nc_u32_e32 v12, s56, v4
	v_cmp_le_u32_e32 vcc_lo, s56, v4
	v_dual_cndmask_b32 v4, v4, v12 :: v_dual_cndmask_b32 v3, v3, v5
	s_delay_alu instid0(VALU_DEP_1) | instskip(NEXT) | instid1(VALU_DEP_2)
	v_cmp_le_u32_e32 vcc_lo, s56, v4
	v_add_nc_u32_e32 v5, 1, v3
	s_delay_alu instid0(VALU_DEP_1)
	v_cndmask_b32_e32 v12, v3, v5, vcc_lo
.LBB39_54:                              ;   in Loop: Header=BB39_3 Depth=1
	s_or_b32 exec_lo, exec_lo, s0
	s_delay_alu instid0(VALU_DEP_1) | instskip(SKIP_3) | instid1(VALU_DEP_3)
	v_mul_u64_e32 v[4:5], s[56:57], v[12:13]
	v_add_nc_u64_e32 v[18:19], 2, v[8:9]
	v_mul_u64_e32 v[12:13], s[24:25], v[12:13]
	s_mov_b32 s0, exec_lo
	v_sub_nc_u64_e32 v[10:11], v[10:11], v[4:5]
	s_delay_alu instid0(VALU_DEP_3) | instskip(NEXT) | instid1(VALU_DEP_3)
	v_mul_u64_e32 v[4:5], s[4:5], v[18:19]
	v_lshl_add_u64 v[12:13], v[12:13], 2, s[54:55]
	s_delay_alu instid0(VALU_DEP_3) | instskip(NEXT) | instid1(VALU_DEP_1)
	v_add_nc_u64_e32 v[10:11], v[0:1], v[10:11]
	v_mul_u64_e32 v[18:19], s[26:27], v[10:11]
	s_delay_alu instid0(VALU_DEP_4) | instskip(NEXT) | instid1(VALU_DEP_1)
	v_add_nc_u64_e32 v[10:11], v[0:1], v[4:5]
	v_or_b32_e32 v3, s57, v11
	s_delay_alu instid0(VALU_DEP_3)
	v_lshl_add_u64 v[12:13], v[18:19], 2, v[12:13]
	global_store_b32 v[12:13], v16, off
                                        ; implicit-def: $vgpr12_vgpr13
	s_wait_xcnt 0x0
	v_cmpx_ne_u64_e32 0, v[2:3]
	s_xor_b32 s73, exec_lo, s0
	s_cbranch_execz .LBB39_56
; %bb.55:                               ;   in Loop: Header=BB39_3 Depth=1
	s_ashr_i32 s74, s57, 31
	v_dual_mov_b32 v17, v2 :: v_dual_ashrrev_i32 v12, 31, v11
	s_mov_b32 s75, s74
	s_delay_alu instid0(SALU_CYCLE_1) | instskip(NEXT) | instid1(VALU_DEP_1)
	s_add_nc_u64 s[76:77], s[56:57], s[74:75]
	v_mov_b32_e32 v13, v12
	s_xor_b64 s[76:77], s[76:77], s[74:75]
	s_delay_alu instid0(SALU_CYCLE_1)
	s_cvt_f32_u32 s0, s76
	s_cvt_f32_u32 s2, s77
	s_sub_nc_u64 s[82:83], 0, s[76:77]
	v_add_nc_u64_e32 v[10:11], v[10:11], v[12:13]
	v_mov_b32_e32 v21, v2
	s_fmamk_f32 s0, s2, 0x4f800000, s0
	s_delay_alu instid0(SALU_CYCLE_3) | instskip(NEXT) | instid1(VALU_DEP_2)
	v_s_rcp_f32 s0, s0
	v_xor_b32_e32 v16, v10, v12
	s_delay_alu instid0(VALU_DEP_3) | instskip(SKIP_1) | instid1(TRANS32_DEP_1)
	v_dual_mov_b32 v25, v2 :: v_dual_bitop2_b32 v20, v11, v12 bitop3:0x14
	v_xor_b32_e32 v12, s74, v12
	s_mul_f32 s0, s0, 0x5f7ffffc
	s_delay_alu instid0(SALU_CYCLE_3) | instskip(NEXT) | instid1(SALU_CYCLE_3)
	s_mul_f32 s2, s0, 0x2f800000
	s_trunc_f32 s2, s2
	s_delay_alu instid0(SALU_CYCLE_3) | instskip(SKIP_1) | instid1(SALU_CYCLE_2)
	s_fmamk_f32 s0, s2, 0xcf800000, s0
	s_cvt_u32_f32 s81, s2
	s_cvt_u32_f32 s80, s0
	s_delay_alu instid0(SALU_CYCLE_3) | instskip(NEXT) | instid1(SALU_CYCLE_1)
	s_mul_u64 s[84:85], s[82:83], s[80:81]
	s_mul_hi_u32 s87, s80, s85
	s_mul_i32 s86, s80, s85
	s_mul_hi_u32 s2, s80, s84
	s_mul_i32 s75, s81, s84
	s_add_nc_u64 s[86:87], s[2:3], s[86:87]
	s_mul_hi_u32 s0, s81, s84
	s_mul_hi_u32 s79, s81, s85
	s_add_co_u32 s2, s86, s75
	s_add_co_ci_u32 s2, s87, s0
	s_mul_i32 s84, s81, s85
	s_add_co_ci_u32 s85, s79, 0
	s_delay_alu instid0(SALU_CYCLE_1) | instskip(NEXT) | instid1(SALU_CYCLE_1)
	s_add_nc_u64 s[84:85], s[2:3], s[84:85]
	s_add_co_u32 s80, s80, s84
	s_cselect_b32 s0, -1, 0
	s_delay_alu instid0(SALU_CYCLE_1) | instskip(SKIP_1) | instid1(SALU_CYCLE_1)
	s_cmp_lg_u32 s0, 0
	s_add_co_ci_u32 s81, s81, s85
	s_mul_u64 s[82:83], s[82:83], s[80:81]
	s_delay_alu instid0(SALU_CYCLE_1)
	s_mul_hi_u32 s85, s80, s83
	s_mul_i32 s84, s80, s83
	s_mul_hi_u32 s2, s80, s82
	s_mul_i32 s75, s81, s82
	s_add_nc_u64 s[84:85], s[2:3], s[84:85]
	s_mul_hi_u32 s0, s81, s82
	s_mul_hi_u32 s79, s81, s83
	s_add_co_u32 s2, s84, s75
	s_add_co_ci_u32 s2, s85, s0
	s_mul_i32 s82, s81, s83
	s_add_co_ci_u32 s83, s79, 0
	s_delay_alu instid0(SALU_CYCLE_1) | instskip(NEXT) | instid1(SALU_CYCLE_1)
	s_add_nc_u64 s[82:83], s[2:3], s[82:83]
	s_add_co_u32 s0, s80, s82
	s_cselect_b32 s2, -1, 0
	v_mul_hi_u32 v24, v16, s0
	s_cmp_lg_u32 s2, 0
	s_add_co_ci_u32 s2, s81, s83
	s_and_b64 s[80:81], s[0:1], s[68:69]
	v_mul_u64_e32 v[18:19], s[2:3], v[16:17]
	v_mul_u64_e32 v[10:11], s[80:81], v[20:21]
	;; [unrolled: 1-line block ×3, first 2 shown]
	s_delay_alu instid0(VALU_DEP_3) | instskip(NEXT) | instid1(VALU_DEP_1)
	v_add_nc_u64_e32 v[18:19], v[24:25], v[18:19]
	v_add_co_u32 v3, vcc_lo, v18, v10
	s_delay_alu instid0(VALU_DEP_2) | instskip(NEXT) | instid1(VALU_DEP_4)
	v_add_co_ci_u32_e32 v24, vcc_lo, v19, v11, vcc_lo
	v_add_co_ci_u32_e32 v23, vcc_lo, 0, v23, vcc_lo
	s_delay_alu instid0(VALU_DEP_1) | instskip(NEXT) | instid1(VALU_DEP_1)
	v_add_nc_u64_e32 v[10:11], v[24:25], v[22:23]
	v_mul_u64_e32 v[18:19], s[76:77], v[10:11]
	s_delay_alu instid0(VALU_DEP_1) | instskip(NEXT) | instid1(VALU_DEP_2)
	v_sub_nc_u32_e32 v3, v20, v19
	v_sub_co_u32 v13, vcc_lo, v16, v18
	s_delay_alu instid0(VALU_DEP_1) | instskip(NEXT) | instid1(VALU_DEP_3)
	v_sub_co_ci_u32_e64 v20, null, v20, v19, vcc_lo
	v_subrev_co_ci_u32_e64 v3, null, s77, v3, vcc_lo
	s_delay_alu instid0(VALU_DEP_3) | instskip(SKIP_1) | instid1(VALU_DEP_3)
	v_sub_co_u32 v16, s0, v13, s76
	v_add_nc_u64_e32 v[18:19], 1, v[10:11]
	v_subrev_co_ci_u32_e64 v3, null, 0, v3, s0
	s_delay_alu instid0(VALU_DEP_3) | instskip(SKIP_1) | instid1(VALU_DEP_3)
	v_cmp_le_u32_e32 vcc_lo, s76, v16
	v_cndmask_b32_e64 v16, 0, -1, vcc_lo
	v_cmp_le_u32_e32 vcc_lo, s77, v3
	v_cndmask_b32_e64 v17, 0, -1, vcc_lo
	;; [unrolled: 2-line block ×4, first 2 shown]
	v_cmp_eq_u32_e32 vcc_lo, s77, v3
	v_cndmask_b32_e32 v3, v17, v16, vcc_lo
	v_cmp_eq_u32_e32 vcc_lo, s77, v20
	v_add_nc_u64_e32 v[16:17], 2, v[10:11]
	v_cndmask_b32_e32 v13, v21, v13, vcc_lo
	s_delay_alu instid0(VALU_DEP_4) | instskip(NEXT) | instid1(VALU_DEP_2)
	v_cmp_ne_u32_e32 vcc_lo, 0, v3
	v_cmp_ne_u32_e64 s0, 0, v13
	s_delay_alu instid0(VALU_DEP_4) | instskip(NEXT) | instid1(VALU_DEP_1)
	v_dual_cndmask_b32 v3, v19, v17, vcc_lo :: v_dual_cndmask_b32 v13, v18, v16, vcc_lo
	v_dual_cndmask_b32 v10, v10, v13, s0 :: v_dual_mov_b32 v13, v12
	s_delay_alu instid0(VALU_DEP_1) | instskip(NEXT) | instid1(VALU_DEP_1)
	v_dual_cndmask_b32 v3, v11, v3, s0 :: v_dual_bitop2_b32 v10, v10, v12 bitop3:0x14
	v_xor_b32_e32 v11, v3, v12
	s_delay_alu instid0(VALU_DEP_1)
	v_sub_nc_u64_e32 v[12:13], v[10:11], v[12:13]
                                        ; implicit-def: $vgpr10_vgpr11
.LBB39_56:                              ;   in Loop: Header=BB39_3 Depth=1
	s_and_not1_saveexec_b32 s0, s73
	s_cbranch_execz .LBB39_58
; %bb.57:                               ;   in Loop: Header=BB39_3 Depth=1
	v_rcp_iflag_f32_e32 v3, v6
	s_sub_co_i32 s2, 0, s56
	v_mov_b32_e32 v13, v2
	s_delay_alu instid0(TRANS32_DEP_1) | instskip(NEXT) | instid1(VALU_DEP_1)
	v_mul_f32_e32 v3, 0x4f7ffffe, v3
	v_cvt_u32_f32_e32 v3, v3
	s_delay_alu instid0(VALU_DEP_1) | instskip(NEXT) | instid1(VALU_DEP_1)
	v_mul_lo_u32 v11, s2, v3
	v_mul_hi_u32 v11, v3, v11
	s_delay_alu instid0(VALU_DEP_1) | instskip(NEXT) | instid1(VALU_DEP_1)
	v_add_nc_u32_e32 v3, v3, v11
	v_mul_hi_u32 v3, v10, v3
	s_delay_alu instid0(VALU_DEP_1) | instskip(NEXT) | instid1(VALU_DEP_1)
	v_mul_lo_u32 v11, v3, s56
	v_sub_nc_u32_e32 v10, v10, v11
	v_add_nc_u32_e32 v11, 1, v3
	s_delay_alu instid0(VALU_DEP_2) | instskip(SKIP_1) | instid1(VALU_DEP_2)
	v_subrev_nc_u32_e32 v12, s56, v10
	v_cmp_le_u32_e32 vcc_lo, s56, v10
	v_dual_cndmask_b32 v10, v10, v12 :: v_dual_cndmask_b32 v3, v3, v11
	s_delay_alu instid0(VALU_DEP_1) | instskip(NEXT) | instid1(VALU_DEP_2)
	v_cmp_le_u32_e32 vcc_lo, s56, v10
	v_add_nc_u32_e32 v11, 1, v3
	s_delay_alu instid0(VALU_DEP_1)
	v_cndmask_b32_e32 v12, v3, v11, vcc_lo
.LBB39_58:                              ;   in Loop: Header=BB39_3 Depth=1
	s_or_b32 exec_lo, exec_lo, s0
	s_delay_alu instid0(VALU_DEP_1) | instskip(SKIP_3) | instid1(VALU_DEP_3)
	v_mul_u64_e32 v[10:11], s[56:57], v[12:13]
	v_add_nc_u64_e32 v[16:17], 3, v[8:9]
	v_mul_u64_e32 v[12:13], s[24:25], v[12:13]
	s_mov_b32 s0, exec_lo
	v_sub_nc_u64_e32 v[10:11], v[4:5], v[10:11]
	s_delay_alu instid0(VALU_DEP_3) | instskip(NEXT) | instid1(VALU_DEP_3)
	v_mul_u64_e32 v[4:5], s[4:5], v[16:17]
	v_lshl_add_u64 v[12:13], v[12:13], 2, s[54:55]
	s_delay_alu instid0(VALU_DEP_3) | instskip(NEXT) | instid1(VALU_DEP_1)
	v_add_nc_u64_e32 v[10:11], v[0:1], v[10:11]
	v_mul_u64_e32 v[16:17], s[26:27], v[10:11]
	s_delay_alu instid0(VALU_DEP_4) | instskip(NEXT) | instid1(VALU_DEP_1)
	v_add_nc_u64_e32 v[10:11], v[0:1], v[4:5]
	v_or_b32_e32 v3, s57, v11
	s_delay_alu instid0(VALU_DEP_3)
	v_lshl_add_u64 v[12:13], v[16:17], 2, v[12:13]
	global_store_b32 v[12:13], v15, off
                                        ; implicit-def: $vgpr12_vgpr13
	s_wait_xcnt 0x0
	v_cmpx_ne_u64_e32 0, v[2:3]
	s_xor_b32 s73, exec_lo, s0
	s_cbranch_execz .LBB39_60
; %bb.59:                               ;   in Loop: Header=BB39_3 Depth=1
	s_ashr_i32 s74, s57, 31
	v_dual_mov_b32 v17, v2 :: v_dual_ashrrev_i32 v12, 31, v11
	s_mov_b32 s75, s74
	s_delay_alu instid0(SALU_CYCLE_1) | instskip(NEXT) | instid1(VALU_DEP_1)
	s_add_nc_u64 s[76:77], s[56:57], s[74:75]
	v_mov_b32_e32 v13, v12
	s_xor_b64 s[76:77], s[76:77], s[74:75]
	s_delay_alu instid0(SALU_CYCLE_1)
	s_cvt_f32_u32 s0, s76
	s_cvt_f32_u32 s2, s77
	s_sub_nc_u64 s[82:83], 0, s[76:77]
	v_add_nc_u64_e32 v[10:11], v[10:11], v[12:13]
	v_mov_b32_e32 v21, v2
	s_fmamk_f32 s0, s2, 0x4f800000, s0
	s_delay_alu instid0(SALU_CYCLE_3) | instskip(NEXT) | instid1(VALU_DEP_2)
	v_s_rcp_f32 s0, s0
	v_xor_b32_e32 v16, v10, v12
	s_delay_alu instid0(VALU_DEP_3) | instskip(NEXT) | instid1(TRANS32_DEP_1)
	v_dual_mov_b32 v25, v2 :: v_dual_bitop2_b32 v20, v11, v12 bitop3:0x14
	s_mul_f32 s0, s0, 0x5f7ffffc
	s_delay_alu instid0(SALU_CYCLE_3) | instskip(NEXT) | instid1(SALU_CYCLE_3)
	s_mul_f32 s2, s0, 0x2f800000
	s_trunc_f32 s2, s2
	s_delay_alu instid0(SALU_CYCLE_3) | instskip(SKIP_1) | instid1(SALU_CYCLE_2)
	s_fmamk_f32 s0, s2, 0xcf800000, s0
	s_cvt_u32_f32 s81, s2
	s_cvt_u32_f32 s80, s0
	s_delay_alu instid0(SALU_CYCLE_3) | instskip(NEXT) | instid1(SALU_CYCLE_1)
	s_mul_u64 s[84:85], s[82:83], s[80:81]
	s_mul_hi_u32 s87, s80, s85
	s_mul_i32 s86, s80, s85
	s_mul_hi_u32 s2, s80, s84
	s_mul_i32 s75, s81, s84
	s_add_nc_u64 s[86:87], s[2:3], s[86:87]
	s_mul_hi_u32 s0, s81, s84
	s_mul_hi_u32 s79, s81, s85
	s_add_co_u32 s2, s86, s75
	s_add_co_ci_u32 s2, s87, s0
	s_mul_i32 s84, s81, s85
	s_add_co_ci_u32 s85, s79, 0
	s_delay_alu instid0(SALU_CYCLE_1) | instskip(NEXT) | instid1(SALU_CYCLE_1)
	s_add_nc_u64 s[84:85], s[2:3], s[84:85]
	s_add_co_u32 s80, s80, s84
	s_cselect_b32 s0, -1, 0
	s_delay_alu instid0(SALU_CYCLE_1) | instskip(SKIP_1) | instid1(SALU_CYCLE_1)
	s_cmp_lg_u32 s0, 0
	s_add_co_ci_u32 s81, s81, s85
	s_mul_u64 s[82:83], s[82:83], s[80:81]
	s_delay_alu instid0(SALU_CYCLE_1)
	s_mul_hi_u32 s85, s80, s83
	s_mul_i32 s84, s80, s83
	s_mul_hi_u32 s2, s80, s82
	s_mul_i32 s75, s81, s82
	s_add_nc_u64 s[84:85], s[2:3], s[84:85]
	s_mul_hi_u32 s0, s81, s82
	s_mul_hi_u32 s79, s81, s83
	s_add_co_u32 s2, s84, s75
	s_add_co_ci_u32 s2, s85, s0
	s_mul_i32 s82, s81, s83
	s_add_co_ci_u32 s83, s79, 0
	s_delay_alu instid0(SALU_CYCLE_1) | instskip(NEXT) | instid1(SALU_CYCLE_1)
	s_add_nc_u64 s[82:83], s[2:3], s[82:83]
	s_add_co_u32 s0, s80, s82
	s_cselect_b32 s2, -1, 0
	v_mul_hi_u32 v24, v16, s0
	s_cmp_lg_u32 s2, 0
	s_add_co_ci_u32 s2, s81, s83
	s_and_b64 s[80:81], s[0:1], s[68:69]
	v_mul_u64_e32 v[18:19], s[2:3], v[16:17]
	v_mul_u64_e32 v[10:11], s[80:81], v[20:21]
	;; [unrolled: 1-line block ×3, first 2 shown]
	s_delay_alu instid0(VALU_DEP_3) | instskip(NEXT) | instid1(VALU_DEP_1)
	v_add_nc_u64_e32 v[18:19], v[24:25], v[18:19]
	v_add_co_u32 v3, vcc_lo, v18, v10
	s_delay_alu instid0(VALU_DEP_2) | instskip(NEXT) | instid1(VALU_DEP_4)
	v_add_co_ci_u32_e32 v24, vcc_lo, v19, v11, vcc_lo
	v_add_co_ci_u32_e32 v23, vcc_lo, 0, v23, vcc_lo
	s_delay_alu instid0(VALU_DEP_1) | instskip(NEXT) | instid1(VALU_DEP_1)
	v_add_nc_u64_e32 v[10:11], v[24:25], v[22:23]
	v_mul_u64_e32 v[18:19], s[76:77], v[10:11]
	s_delay_alu instid0(VALU_DEP_1) | instskip(NEXT) | instid1(VALU_DEP_2)
	v_sub_nc_u32_e32 v3, v20, v19
	v_sub_co_u32 v13, vcc_lo, v16, v18
	s_delay_alu instid0(VALU_DEP_1) | instskip(NEXT) | instid1(VALU_DEP_3)
	v_sub_co_ci_u32_e64 v20, null, v20, v19, vcc_lo
	v_subrev_co_ci_u32_e64 v3, null, s77, v3, vcc_lo
	s_delay_alu instid0(VALU_DEP_3) | instskip(SKIP_1) | instid1(VALU_DEP_3)
	v_sub_co_u32 v15, s0, v13, s76
	v_add_nc_u64_e32 v[18:19], 1, v[10:11]
	v_subrev_co_ci_u32_e64 v3, null, 0, v3, s0
	s_delay_alu instid0(VALU_DEP_3) | instskip(SKIP_1) | instid1(VALU_DEP_3)
	v_cmp_le_u32_e32 vcc_lo, s76, v15
	v_cndmask_b32_e64 v15, 0, -1, vcc_lo
	v_cmp_le_u32_e32 vcc_lo, s77, v3
	v_cndmask_b32_e64 v16, 0, -1, vcc_lo
	;; [unrolled: 2-line block ×4, first 2 shown]
	v_cmp_eq_u32_e32 vcc_lo, s77, v3
	v_cndmask_b32_e32 v3, v16, v15, vcc_lo
	v_cmp_eq_u32_e32 vcc_lo, s77, v20
	v_add_nc_u64_e32 v[16:17], 2, v[10:11]
	v_cndmask_b32_e32 v13, v21, v13, vcc_lo
	s_delay_alu instid0(VALU_DEP_4) | instskip(NEXT) | instid1(VALU_DEP_2)
	v_cmp_ne_u32_e32 vcc_lo, 0, v3
	v_cmp_ne_u32_e64 s0, 0, v13
	s_delay_alu instid0(VALU_DEP_4) | instskip(NEXT) | instid1(VALU_DEP_1)
	v_dual_cndmask_b32 v3, v19, v17, vcc_lo :: v_dual_cndmask_b32 v13, v18, v16, vcc_lo
	v_dual_cndmask_b32 v3, v11, v3, s0 :: v_dual_bitop2_b32 v12, s74, v12 bitop3:0x14
	s_delay_alu instid0(VALU_DEP_1) | instskip(NEXT) | instid1(VALU_DEP_2)
	v_dual_cndmask_b32 v10, v10, v13, s0 :: v_dual_mov_b32 v13, v12
	v_xor_b32_e32 v11, v3, v12
	s_delay_alu instid0(VALU_DEP_2) | instskip(NEXT) | instid1(VALU_DEP_1)
	v_xor_b32_e32 v10, v10, v12
	v_sub_nc_u64_e32 v[12:13], v[10:11], v[12:13]
                                        ; implicit-def: $vgpr10_vgpr11
.LBB39_60:                              ;   in Loop: Header=BB39_3 Depth=1
	s_and_not1_saveexec_b32 s0, s73
	s_cbranch_execz .LBB39_62
; %bb.61:                               ;   in Loop: Header=BB39_3 Depth=1
	v_rcp_iflag_f32_e32 v3, v6
	s_sub_co_i32 s2, 0, s56
	v_mov_b32_e32 v13, v2
	s_delay_alu instid0(TRANS32_DEP_1) | instskip(NEXT) | instid1(VALU_DEP_1)
	v_mul_f32_e32 v3, 0x4f7ffffe, v3
	v_cvt_u32_f32_e32 v3, v3
	s_delay_alu instid0(VALU_DEP_1) | instskip(NEXT) | instid1(VALU_DEP_1)
	v_mul_lo_u32 v11, s2, v3
	v_mul_hi_u32 v11, v3, v11
	s_delay_alu instid0(VALU_DEP_1) | instskip(NEXT) | instid1(VALU_DEP_1)
	v_add_nc_u32_e32 v3, v3, v11
	v_mul_hi_u32 v3, v10, v3
	s_delay_alu instid0(VALU_DEP_1) | instskip(NEXT) | instid1(VALU_DEP_1)
	v_mul_lo_u32 v11, v3, s56
	v_sub_nc_u32_e32 v10, v10, v11
	v_add_nc_u32_e32 v11, 1, v3
	s_delay_alu instid0(VALU_DEP_2) | instskip(SKIP_1) | instid1(VALU_DEP_2)
	v_subrev_nc_u32_e32 v12, s56, v10
	v_cmp_le_u32_e32 vcc_lo, s56, v10
	v_dual_cndmask_b32 v10, v10, v12 :: v_dual_cndmask_b32 v3, v3, v11
	s_delay_alu instid0(VALU_DEP_1) | instskip(NEXT) | instid1(VALU_DEP_2)
	v_cmp_le_u32_e32 vcc_lo, s56, v10
	v_add_nc_u32_e32 v11, 1, v3
	s_delay_alu instid0(VALU_DEP_1)
	v_cndmask_b32_e32 v12, v3, v11, vcc_lo
.LBB39_62:                              ;   in Loop: Header=BB39_3 Depth=1
	s_or_b32 exec_lo, exec_lo, s0
	s_delay_alu instid0(VALU_DEP_1) | instskip(SKIP_2) | instid1(VALU_DEP_2)
	v_mul_u64_e32 v[10:11], s[56:57], v[12:13]
	v_add_nc_u64_e32 v[8:9], 4, v[8:9]
	s_mov_b32 s0, exec_lo
	v_sub_nc_u64_e32 v[10:11], v[4:5], v[10:11]
	s_delay_alu instid0(VALU_DEP_2) | instskip(NEXT) | instid1(VALU_DEP_2)
	v_mul_u64_e32 v[4:5], s[4:5], v[8:9]
	v_add_nc_u64_e32 v[8:9], v[0:1], v[10:11]
	v_mul_u64_e32 v[10:11], s[24:25], v[12:13]
	s_delay_alu instid0(VALU_DEP_2) | instskip(NEXT) | instid1(VALU_DEP_4)
	v_mul_u64_e32 v[12:13], s[26:27], v[8:9]
	v_add_nc_u64_e32 v[8:9], v[0:1], v[4:5]
	s_delay_alu instid0(VALU_DEP_3) | instskip(NEXT) | instid1(VALU_DEP_2)
	v_lshl_add_u64 v[10:11], v[10:11], 2, s[54:55]
	v_or_b32_e32 v3, s57, v9
	s_delay_alu instid0(VALU_DEP_2)
	v_lshl_add_u64 v[10:11], v[12:13], 2, v[10:11]
	global_store_b32 v[10:11], v14, off
                                        ; implicit-def: $vgpr10_vgpr11
	s_wait_xcnt 0x0
	v_cmpx_ne_u64_e32 0, v[2:3]
	s_xor_b32 s73, exec_lo, s0
	s_cbranch_execz .LBB39_64
; %bb.63:                               ;   in Loop: Header=BB39_3 Depth=1
	s_ashr_i32 s74, s57, 31
	v_dual_mov_b32 v13, v2 :: v_dual_ashrrev_i32 v10, 31, v9
	s_mov_b32 s75, s74
	s_delay_alu instid0(SALU_CYCLE_1) | instskip(NEXT) | instid1(VALU_DEP_1)
	s_add_nc_u64 s[76:77], s[56:57], s[74:75]
	v_mov_b32_e32 v11, v10
	s_xor_b64 s[76:77], s[76:77], s[74:75]
	s_delay_alu instid0(SALU_CYCLE_1)
	s_cvt_f32_u32 s0, s76
	s_cvt_f32_u32 s2, s77
	s_sub_nc_u64 s[82:83], 0, s[76:77]
	v_add_nc_u64_e32 v[8:9], v[8:9], v[10:11]
	v_mov_b32_e32 v17, v2
	s_fmamk_f32 s0, s2, 0x4f800000, s0
	s_delay_alu instid0(SALU_CYCLE_3) | instskip(NEXT) | instid1(VALU_DEP_2)
	v_s_rcp_f32 s0, s0
	v_xor_b32_e32 v12, v8, v10
	s_delay_alu instid0(VALU_DEP_3) | instskip(NEXT) | instid1(TRANS32_DEP_1)
	v_dual_mov_b32 v21, v2 :: v_dual_bitop2_b32 v16, v9, v10 bitop3:0x14
	s_mul_f32 s0, s0, 0x5f7ffffc
	s_delay_alu instid0(SALU_CYCLE_3) | instskip(NEXT) | instid1(SALU_CYCLE_3)
	s_mul_f32 s2, s0, 0x2f800000
	s_trunc_f32 s2, s2
	s_delay_alu instid0(SALU_CYCLE_3) | instskip(SKIP_1) | instid1(SALU_CYCLE_2)
	s_fmamk_f32 s0, s2, 0xcf800000, s0
	s_cvt_u32_f32 s81, s2
	s_cvt_u32_f32 s80, s0
	s_delay_alu instid0(SALU_CYCLE_3) | instskip(NEXT) | instid1(SALU_CYCLE_1)
	s_mul_u64 s[84:85], s[82:83], s[80:81]
	s_mul_hi_u32 s87, s80, s85
	s_mul_i32 s86, s80, s85
	s_mul_hi_u32 s2, s80, s84
	s_mul_i32 s75, s81, s84
	s_add_nc_u64 s[86:87], s[2:3], s[86:87]
	s_mul_hi_u32 s0, s81, s84
	s_mul_hi_u32 s79, s81, s85
	s_add_co_u32 s2, s86, s75
	s_add_co_ci_u32 s2, s87, s0
	s_mul_i32 s84, s81, s85
	s_add_co_ci_u32 s85, s79, 0
	s_delay_alu instid0(SALU_CYCLE_1) | instskip(NEXT) | instid1(SALU_CYCLE_1)
	s_add_nc_u64 s[84:85], s[2:3], s[84:85]
	s_add_co_u32 s80, s80, s84
	s_cselect_b32 s0, -1, 0
	s_delay_alu instid0(SALU_CYCLE_1) | instskip(SKIP_1) | instid1(SALU_CYCLE_1)
	s_cmp_lg_u32 s0, 0
	s_add_co_ci_u32 s81, s81, s85
	s_mul_u64 s[82:83], s[82:83], s[80:81]
	s_delay_alu instid0(SALU_CYCLE_1)
	s_mul_hi_u32 s85, s80, s83
	s_mul_i32 s84, s80, s83
	s_mul_hi_u32 s2, s80, s82
	s_mul_i32 s75, s81, s82
	s_add_nc_u64 s[84:85], s[2:3], s[84:85]
	s_mul_hi_u32 s0, s81, s82
	s_mul_hi_u32 s79, s81, s83
	s_add_co_u32 s2, s84, s75
	s_add_co_ci_u32 s2, s85, s0
	s_mul_i32 s82, s81, s83
	s_add_co_ci_u32 s83, s79, 0
	s_delay_alu instid0(SALU_CYCLE_1) | instskip(NEXT) | instid1(SALU_CYCLE_1)
	s_add_nc_u64 s[82:83], s[2:3], s[82:83]
	s_add_co_u32 s0, s80, s82
	s_cselect_b32 s2, -1, 0
	v_mul_hi_u32 v20, v12, s0
	s_cmp_lg_u32 s2, 0
	s_add_co_ci_u32 s2, s81, s83
	s_and_b64 s[80:81], s[0:1], s[68:69]
	v_mul_u64_e32 v[14:15], s[2:3], v[12:13]
	v_mul_u64_e32 v[8:9], s[80:81], v[16:17]
	;; [unrolled: 1-line block ×3, first 2 shown]
	s_delay_alu instid0(VALU_DEP_3) | instskip(NEXT) | instid1(VALU_DEP_1)
	v_add_nc_u64_e32 v[14:15], v[20:21], v[14:15]
	v_add_co_u32 v3, vcc_lo, v14, v8
	s_delay_alu instid0(VALU_DEP_2) | instskip(NEXT) | instid1(VALU_DEP_4)
	v_add_co_ci_u32_e32 v20, vcc_lo, v15, v9, vcc_lo
	v_add_co_ci_u32_e32 v19, vcc_lo, 0, v19, vcc_lo
	s_delay_alu instid0(VALU_DEP_1) | instskip(NEXT) | instid1(VALU_DEP_1)
	v_add_nc_u64_e32 v[8:9], v[20:21], v[18:19]
	v_mul_u64_e32 v[14:15], s[76:77], v[8:9]
	s_delay_alu instid0(VALU_DEP_1) | instskip(NEXT) | instid1(VALU_DEP_2)
	v_sub_nc_u32_e32 v3, v16, v15
	v_sub_co_u32 v6, vcc_lo, v12, v14
	s_delay_alu instid0(VALU_DEP_1) | instskip(NEXT) | instid1(VALU_DEP_3)
	v_sub_co_ci_u32_e64 v16, null, v16, v15, vcc_lo
	v_subrev_co_ci_u32_e64 v3, null, s77, v3, vcc_lo
	s_delay_alu instid0(VALU_DEP_3) | instskip(SKIP_1) | instid1(VALU_DEP_3)
	v_sub_co_u32 v11, s0, v6, s76
	v_add_nc_u64_e32 v[14:15], 1, v[8:9]
	v_subrev_co_ci_u32_e64 v3, null, 0, v3, s0
	s_delay_alu instid0(VALU_DEP_3) | instskip(SKIP_1) | instid1(VALU_DEP_3)
	v_cmp_le_u32_e32 vcc_lo, s76, v11
	v_cndmask_b32_e64 v11, 0, -1, vcc_lo
	v_cmp_le_u32_e32 vcc_lo, s77, v3
	v_cndmask_b32_e64 v12, 0, -1, vcc_lo
	;; [unrolled: 2-line block ×4, first 2 shown]
	v_cmp_eq_u32_e32 vcc_lo, s77, v3
	v_cndmask_b32_e32 v3, v12, v11, vcc_lo
	v_cmp_eq_u32_e32 vcc_lo, s77, v16
	v_add_nc_u64_e32 v[12:13], 2, v[8:9]
	v_cndmask_b32_e32 v6, v17, v6, vcc_lo
	s_delay_alu instid0(VALU_DEP_4) | instskip(NEXT) | instid1(VALU_DEP_2)
	v_cmp_ne_u32_e32 vcc_lo, 0, v3
	v_cmp_ne_u32_e64 s0, 0, v6
	s_delay_alu instid0(VALU_DEP_4) | instskip(NEXT) | instid1(VALU_DEP_1)
	v_dual_cndmask_b32 v3, v15, v13 :: v_dual_cndmask_b32 v6, v14, v12
	v_dual_cndmask_b32 v3, v9, v3, s0 :: v_dual_bitop2_b32 v10, s74, v10 bitop3:0x14
	s_delay_alu instid0(VALU_DEP_1) | instskip(NEXT) | instid1(VALU_DEP_2)
	v_dual_cndmask_b32 v6, v8, v6, s0 :: v_dual_mov_b32 v11, v10
	v_xor_b32_e32 v9, v3, v10
	s_delay_alu instid0(VALU_DEP_2) | instskip(NEXT) | instid1(VALU_DEP_1)
	v_xor_b32_e32 v8, v6, v10
                                        ; implicit-def: $vgpr6
	v_sub_nc_u64_e32 v[10:11], v[8:9], v[10:11]
                                        ; implicit-def: $vgpr8_vgpr9
.LBB39_64:                              ;   in Loop: Header=BB39_3 Depth=1
	s_and_not1_saveexec_b32 s0, s73
	s_cbranch_execz .LBB39_2
; %bb.65:                               ;   in Loop: Header=BB39_3 Depth=1
	v_rcp_iflag_f32_e32 v3, v6
	s_sub_co_i32 s2, 0, s56
	v_mov_b32_e32 v11, v2
	s_delay_alu instid0(TRANS32_DEP_1) | instskip(NEXT) | instid1(VALU_DEP_1)
	v_mul_f32_e32 v3, 0x4f7ffffe, v3
	v_cvt_u32_f32_e32 v3, v3
	s_delay_alu instid0(VALU_DEP_1) | instskip(NEXT) | instid1(VALU_DEP_1)
	v_mul_lo_u32 v6, s2, v3
	v_mul_hi_u32 v6, v3, v6
	s_delay_alu instid0(VALU_DEP_1) | instskip(NEXT) | instid1(VALU_DEP_1)
	v_add_nc_u32_e32 v3, v3, v6
	v_mul_hi_u32 v3, v8, v3
	s_delay_alu instid0(VALU_DEP_1) | instskip(NEXT) | instid1(VALU_DEP_1)
	v_mul_lo_u32 v6, v3, s56
	v_dual_sub_nc_u32 v6, v8, v6 :: v_dual_add_nc_u32 v8, 1, v3
	s_delay_alu instid0(VALU_DEP_1) | instskip(SKIP_1) | instid1(VALU_DEP_2)
	v_subrev_nc_u32_e32 v9, s56, v6
	v_cmp_le_u32_e32 vcc_lo, s56, v6
	v_dual_cndmask_b32 v6, v6, v9 :: v_dual_cndmask_b32 v3, v3, v8
	s_delay_alu instid0(VALU_DEP_1) | instskip(NEXT) | instid1(VALU_DEP_2)
	v_cmp_le_u32_e32 vcc_lo, s56, v6
	v_add_nc_u32_e32 v8, 1, v3
	s_delay_alu instid0(VALU_DEP_1)
	v_cndmask_b32_e32 v10, v3, v8, vcc_lo
	s_branch .LBB39_2
.LBB39_66:
	s_endpgm
	.section	.rodata,"a",@progbits
	.p2align	6, 0x0
	.amdhsa_kernel _ZN2at6native12_GLOBAL__N_16kernel16gru_cell_forwardIfflLi2EEEvNS_4cuda6detail10TensorInfoIT_T1_EES9_S9_S9_S9_S9_S9_S8_S8_
		.amdhsa_group_segment_fixed_size 0
		.amdhsa_private_segment_fixed_size 0
		.amdhsa_kernarg_size 3184
		.amdhsa_user_sgpr_count 2
		.amdhsa_user_sgpr_dispatch_ptr 0
		.amdhsa_user_sgpr_queue_ptr 0
		.amdhsa_user_sgpr_kernarg_segment_ptr 1
		.amdhsa_user_sgpr_dispatch_id 0
		.amdhsa_user_sgpr_kernarg_preload_length 0
		.amdhsa_user_sgpr_kernarg_preload_offset 0
		.amdhsa_user_sgpr_private_segment_size 0
		.amdhsa_wavefront_size32 1
		.amdhsa_uses_dynamic_stack 0
		.amdhsa_enable_private_segment 0
		.amdhsa_system_sgpr_workgroup_id_x 1
		.amdhsa_system_sgpr_workgroup_id_y 0
		.amdhsa_system_sgpr_workgroup_id_z 0
		.amdhsa_system_sgpr_workgroup_info 0
		.amdhsa_system_vgpr_workitem_id 0
		.amdhsa_next_free_vgpr 42
		.amdhsa_next_free_sgpr 88
		.amdhsa_named_barrier_count 0
		.amdhsa_reserve_vcc 1
		.amdhsa_float_round_mode_32 0
		.amdhsa_float_round_mode_16_64 0
		.amdhsa_float_denorm_mode_32 3
		.amdhsa_float_denorm_mode_16_64 3
		.amdhsa_fp16_overflow 0
		.amdhsa_memory_ordered 1
		.amdhsa_forward_progress 1
		.amdhsa_inst_pref_size 100
		.amdhsa_round_robin_scheduling 0
		.amdhsa_exception_fp_ieee_invalid_op 0
		.amdhsa_exception_fp_denorm_src 0
		.amdhsa_exception_fp_ieee_div_zero 0
		.amdhsa_exception_fp_ieee_overflow 0
		.amdhsa_exception_fp_ieee_underflow 0
		.amdhsa_exception_fp_ieee_inexact 0
		.amdhsa_exception_int_div_zero 0
	.end_amdhsa_kernel
	.section	.text._ZN2at6native12_GLOBAL__N_16kernel16gru_cell_forwardIfflLi2EEEvNS_4cuda6detail10TensorInfoIT_T1_EES9_S9_S9_S9_S9_S9_S8_S8_,"axG",@progbits,_ZN2at6native12_GLOBAL__N_16kernel16gru_cell_forwardIfflLi2EEEvNS_4cuda6detail10TensorInfoIT_T1_EES9_S9_S9_S9_S9_S9_S8_S8_,comdat
.Lfunc_end39:
	.size	_ZN2at6native12_GLOBAL__N_16kernel16gru_cell_forwardIfflLi2EEEvNS_4cuda6detail10TensorInfoIT_T1_EES9_S9_S9_S9_S9_S9_S8_S8_, .Lfunc_end39-_ZN2at6native12_GLOBAL__N_16kernel16gru_cell_forwardIfflLi2EEEvNS_4cuda6detail10TensorInfoIT_T1_EES9_S9_S9_S9_S9_S9_S8_S8_
                                        ; -- End function
	.set _ZN2at6native12_GLOBAL__N_16kernel16gru_cell_forwardIfflLi2EEEvNS_4cuda6detail10TensorInfoIT_T1_EES9_S9_S9_S9_S9_S9_S8_S8_.num_vgpr, 42
	.set _ZN2at6native12_GLOBAL__N_16kernel16gru_cell_forwardIfflLi2EEEvNS_4cuda6detail10TensorInfoIT_T1_EES9_S9_S9_S9_S9_S9_S8_S8_.num_agpr, 0
	.set _ZN2at6native12_GLOBAL__N_16kernel16gru_cell_forwardIfflLi2EEEvNS_4cuda6detail10TensorInfoIT_T1_EES9_S9_S9_S9_S9_S9_S8_S8_.numbered_sgpr, 88
	.set _ZN2at6native12_GLOBAL__N_16kernel16gru_cell_forwardIfflLi2EEEvNS_4cuda6detail10TensorInfoIT_T1_EES9_S9_S9_S9_S9_S9_S8_S8_.num_named_barrier, 0
	.set _ZN2at6native12_GLOBAL__N_16kernel16gru_cell_forwardIfflLi2EEEvNS_4cuda6detail10TensorInfoIT_T1_EES9_S9_S9_S9_S9_S9_S8_S8_.private_seg_size, 0
	.set _ZN2at6native12_GLOBAL__N_16kernel16gru_cell_forwardIfflLi2EEEvNS_4cuda6detail10TensorInfoIT_T1_EES9_S9_S9_S9_S9_S9_S8_S8_.uses_vcc, 1
	.set _ZN2at6native12_GLOBAL__N_16kernel16gru_cell_forwardIfflLi2EEEvNS_4cuda6detail10TensorInfoIT_T1_EES9_S9_S9_S9_S9_S9_S8_S8_.uses_flat_scratch, 0
	.set _ZN2at6native12_GLOBAL__N_16kernel16gru_cell_forwardIfflLi2EEEvNS_4cuda6detail10TensorInfoIT_T1_EES9_S9_S9_S9_S9_S9_S8_S8_.has_dyn_sized_stack, 0
	.set _ZN2at6native12_GLOBAL__N_16kernel16gru_cell_forwardIfflLi2EEEvNS_4cuda6detail10TensorInfoIT_T1_EES9_S9_S9_S9_S9_S9_S8_S8_.has_recursion, 0
	.set _ZN2at6native12_GLOBAL__N_16kernel16gru_cell_forwardIfflLi2EEEvNS_4cuda6detail10TensorInfoIT_T1_EES9_S9_S9_S9_S9_S9_S8_S8_.has_indirect_call, 0
	.section	.AMDGPU.csdata,"",@progbits
; Kernel info:
; codeLenInByte = 12760
; TotalNumSgprs: 90
; NumVgprs: 42
; ScratchSize: 0
; MemoryBound: 0
; FloatMode: 240
; IeeeMode: 1
; LDSByteSize: 0 bytes/workgroup (compile time only)
; SGPRBlocks: 0
; VGPRBlocks: 2
; NumSGPRsForWavesPerEU: 90
; NumVGPRsForWavesPerEU: 42
; NamedBarCnt: 0
; Occupancy: 16
; WaveLimiterHint : 1
; COMPUTE_PGM_RSRC2:SCRATCH_EN: 0
; COMPUTE_PGM_RSRC2:USER_SGPR: 2
; COMPUTE_PGM_RSRC2:TRAP_HANDLER: 0
; COMPUTE_PGM_RSRC2:TGID_X_EN: 1
; COMPUTE_PGM_RSRC2:TGID_Y_EN: 0
; COMPUTE_PGM_RSRC2:TGID_Z_EN: 0
; COMPUTE_PGM_RSRC2:TIDIG_COMP_CNT: 0
	.section	.text._ZN2at6native12_GLOBAL__N_16kernel16gru_cell_forwardIN3c104HalfEfiLi1EEEvNS_4cuda6detail10TensorInfoIT_T1_EESB_SB_SB_SB_SB_SB_SA_SA_,"axG",@progbits,_ZN2at6native12_GLOBAL__N_16kernel16gru_cell_forwardIN3c104HalfEfiLi1EEEvNS_4cuda6detail10TensorInfoIT_T1_EESB_SB_SB_SB_SB_SB_SA_SA_,comdat
	.globl	_ZN2at6native12_GLOBAL__N_16kernel16gru_cell_forwardIN3c104HalfEfiLi1EEEvNS_4cuda6detail10TensorInfoIT_T1_EESB_SB_SB_SB_SB_SB_SA_SA_ ; -- Begin function _ZN2at6native12_GLOBAL__N_16kernel16gru_cell_forwardIN3c104HalfEfiLi1EEEvNS_4cuda6detail10TensorInfoIT_T1_EESB_SB_SB_SB_SB_SB_SA_SA_
	.p2align	8
	.type	_ZN2at6native12_GLOBAL__N_16kernel16gru_cell_forwardIN3c104HalfEfiLi1EEEvNS_4cuda6detail10TensorInfoIT_T1_EESB_SB_SB_SB_SB_SB_SA_SA_,@function
_ZN2at6native12_GLOBAL__N_16kernel16gru_cell_forwardIN3c104HalfEfiLi1EEEvNS_4cuda6detail10TensorInfoIT_T1_EESB_SB_SB_SB_SB_SB_SA_SA_: ; @_ZN2at6native12_GLOBAL__N_16kernel16gru_cell_forwardIN3c104HalfEfiLi1EEEvNS_4cuda6detail10TensorInfoIT_T1_EESB_SB_SB_SB_SB_SB_SA_SA_
; %bb.0:
	s_clause 0x1
	s_load_b32 s4, s[0:1], 0x5fc
	s_load_b64 s[2:3], s[0:1], 0x5e8
	s_bfe_u32 s5, ttmp6, 0x4000c
	s_and_b32 s6, ttmp6, 15
	s_add_co_i32 s5, s5, 1
	s_getreg_b32 s7, hwreg(HW_REG_IB_STS2, 6, 4)
	s_mul_i32 s5, ttmp9, s5
	s_delay_alu instid0(SALU_CYCLE_1)
	s_add_co_i32 s6, s6, s5
	s_wait_kmcnt 0x0
	s_and_b32 s4, s4, 0xffff
	s_cmp_eq_u32 s7, 0
	s_cselect_b32 s5, ttmp9, s6
	s_mov_b32 s6, exec_lo
	v_mad_u32 v2, s5, s4, v0
	s_mov_b32 s5, 0
	s_delay_alu instid0(VALU_DEP_1)
	v_cmpx_gt_i32_e64 s3, v2
	s_cbranch_execz .LBB40_9
; %bb.1:
	s_load_b64 s[6:7], s[0:1], 0x1b0
	s_add_nc_u64 s[10:11], s[0:1], 0x5f0
	s_clause 0x4
	s_load_b32 s20, s[0:1], 0x21c
	s_load_b64 s[8:9], s[0:1], 0x288
	s_load_b32 s21, s[0:1], 0x2f4
	s_load_b32 s31, s[0:1], 0x3cc
	;; [unrolled: 1-line block ×4, first 2 shown]
	s_wait_xcnt 0x0
	s_clause 0x1
	s_load_b64 s[10:11], s[0:1], 0x360
	s_load_b64 s[12:13], s[0:1], 0x438
	v_mov_b32_e32 v1, 0
	s_wait_kmcnt 0x0
	s_cmp_lg_u64 s[6:7], 0
	v_mul_lo_u32 v3, v2, s31
	s_cselect_b32 s22, -1, 0
	s_abs_i32 s23, s2
	v_mul_lo_u32 v4, v2, s33
	s_cvt_f32_u32 s14, s23
	s_sub_co_i32 s34, 0, s23
	s_lshl_b32 s29, s2, 2
	s_sub_co_i32 s30, 0, s2
	v_rcp_iflag_f32_e32 v0, s14
	s_clause 0x5
	s_load_b64 s[14:15], s[0:1], 0x0
	s_load_b32 s24, s[0:1], 0x6c
	s_load_b64 s[16:17], s[0:1], 0xd8
	s_load_b32 s25, s[0:1], 0x144
	;; [unrolled: 2-line block ×3, first 2 shown]
	s_wait_xcnt 0x0
	s_mul_i32 s1, s27, s4
	s_mov_b32 s0, 0xbbbac73d
	s_ashr_i32 s27, s2, 31
	s_mul_i32 s31, s1, s31
	s_mul_i32 s33, s1, s33
	v_nop
	v_readfirstlane_b32 s28, v0
	s_mul_f32 s4, s28, 0x4f7ffffe
	s_lshl_b32 s28, s2, 1
	s_delay_alu instid0(SALU_CYCLE_2) | instskip(NEXT) | instid1(SALU_CYCLE_3)
	s_cvt_u32_f32 s4, s4
	s_mul_i32 s34, s34, s4
	s_delay_alu instid0(SALU_CYCLE_1) | instskip(NEXT) | instid1(SALU_CYCLE_1)
	s_mul_hi_u32 s34, s4, s34
	s_add_co_i32 s4, s4, s34
	s_mov_b32 s34, s5
	s_branch .LBB40_3
.LBB40_2:                               ;   in Loop: Header=BB40_3 Depth=1
	s_or_b32 exec_lo, exec_lo, s35
	v_cvt_f32_f16_e32 v8, v8
	v_cvt_f32_f16_e32 v9, v9
	v_mad_u32 v7, s29, v7, v2
	v_cvt_f16_f32_e32 v13, v13
	v_cvt_f16_f32_e32 v10, v10
	s_delay_alu instid0(VALU_DEP_4) | instskip(NEXT) | instid1(VALU_DEP_1)
	v_dual_lshlrev_b32 v6, 2, v6 :: v_dual_add_f32 v8, v8, v9
	v_add_f32_e32 v8, v8, v12
	v_mul_lo_u32 v7, v7, s26
	s_delay_alu instid0(VALU_DEP_2) | instskip(NEXT) | instid1(VALU_DEP_1)
	v_add_f32_e32 v8, v11, v8
	v_mul_f32_e32 v9, 0xbfb8aa3b, v8
	v_cmp_nlt_f32_e32 vcc_lo, 0x42ce8ed0, v8
	s_delay_alu instid0(VALU_DEP_2) | instskip(SKIP_1) | instid1(VALU_DEP_2)
	v_fma_f32 v11, 0xbfb8aa3b, v8, -v9
	v_rndne_f32_e32 v12, v9
	v_fmac_f32_e32 v11, 0xb2a5705f, v8
	s_delay_alu instid0(VALU_DEP_2) | instskip(NEXT) | instid1(VALU_DEP_1)
	v_sub_f32_e32 v9, v9, v12
	v_add_f32_e32 v9, v9, v11
	v_cvt_i32_f32_e32 v11, v12
	s_delay_alu instid0(VALU_DEP_2) | instskip(SKIP_1) | instid1(TRANS32_DEP_1)
	v_exp_f32_e32 v9, v9
	v_nop
	v_ldexp_f32 v9, v9, v11
	s_delay_alu instid0(VALU_DEP_1) | instskip(SKIP_1) | instid1(VALU_DEP_2)
	v_cndmask_b32_e32 v9, 0, v9, vcc_lo
	v_cmp_ngt_f32_e32 vcc_lo, 0xc2b17218, v8
	v_cndmask_b32_e32 v8, 0x7f800000, v9, vcc_lo
	s_delay_alu instid0(VALU_DEP_1) | instskip(NEXT) | instid1(VALU_DEP_1)
	v_add_f32_e32 v8, 1.0, v8
	v_div_scale_f32 v9, null, v8, v8, 1.0
	v_div_scale_f32 v16, vcc_lo, 1.0, v8, 1.0
	s_delay_alu instid0(VALU_DEP_2) | instskip(SKIP_1) | instid1(TRANS32_DEP_1)
	v_rcp_f32_e32 v11, v9
	v_nop
	v_fma_f32 v12, -v9, v11, 1.0
	s_delay_alu instid0(VALU_DEP_1) | instskip(NEXT) | instid1(VALU_DEP_1)
	v_dual_fmac_f32 v11, v12, v11 :: v_dual_lshlrev_b32 v5, 2, v5
	v_dual_mul_f32 v12, v16, v11 :: v_dual_sub_nc_u32 v5, v6, v5
	v_bfi_b32 v6, 0x7fffffff, v15, v14
	s_wait_loadcnt 0x0
	v_cvt_f32_f16_e32 v15, v0
	s_delay_alu instid0(VALU_DEP_3) | instskip(SKIP_1) | instid1(VALU_DEP_2)
	v_dual_add_nc_u32 v3, s31, v3 :: v_dual_fma_f32 v14, -v9, v12, v16
	v_or_b32_e32 v17, 1, v5
	v_dual_fmac_f32 v12, v14, v11 :: v_dual_bitop2_b32 v18, 2, v5 bitop3:0x54
	v_or_b32_e32 v14, 3, v5
	s_delay_alu instid0(VALU_DEP_3) | instskip(SKIP_1) | instid1(VALU_DEP_4)
	v_mad_u32 v17, s2, v17, v2
	v_add_nc_u32_e32 v5, 4, v5
	v_mad_u32 v18, s2, v18, v2
	v_fma_f32 v9, -v9, v12, v16
	v_mad_u32 v14, s2, v14, v2
	s_delay_alu instid0(VALU_DEP_4) | instskip(SKIP_1) | instid1(VALU_DEP_4)
	v_mad_u32 v5, s2, v5, v2
	v_add_nc_u32_e32 v2, s1, v2
	v_div_fmas_f32 v9, v9, v11, v12
	v_sub_f32_e32 v11, v15, v6
	s_delay_alu instid0(VALU_DEP_2)
	v_div_fixup_f32 v8, v9, v8, 1.0
	v_mul_lo_u32 v9, v17, s26
	v_mul_lo_u32 v12, v18, s26
	;; [unrolled: 1-line block ×4, first 2 shown]
	v_fma_mixlo_f16 v11, v8, v11, v6
	v_cvt_f16_f32_e32 v8, v8
	global_store_b16 v4, v11, s[12:13] scale_offset
	s_clause 0x1
	global_store_b16 v7, v13, s[18:19] scale_offset
	global_store_b16 v9, v8, s[18:19] scale_offset
	s_wait_xcnt 0x2
	v_add_nc_u32_e32 v4, s33, v4
	v_cmp_le_i32_e32 vcc_lo, s3, v2
	v_cvt_f16_f32_e32 v6, v6
	s_or_b32 s34, vcc_lo, s34
	s_clause 0x2
	global_store_b16 v12, v6, s[18:19] scale_offset
	global_store_b16 v14, v0, s[18:19] scale_offset
	;; [unrolled: 1-line block ×3, first 2 shown]
	s_wait_xcnt 0x0
	s_and_not1_b32 exec_lo, exec_lo, s34
	s_cbranch_execz .LBB40_9
.LBB40_3:                               ; =>This Inner Loop Header: Depth=1
	v_sub_nc_u32_e32 v0, 0, v2
	s_delay_alu instid0(VALU_DEP_1) | instskip(NEXT) | instid1(VALU_DEP_1)
	v_max_i32_e32 v0, v2, v0
	v_mul_u64_e32 v[6:7], s[4:5], v[0:1]
	s_delay_alu instid0(VALU_DEP_1) | instskip(NEXT) | instid1(VALU_DEP_1)
	v_mul_lo_u32 v5, v7, s23
	v_dual_sub_nc_u32 v0, v0, v5 :: v_dual_add_nc_u32 v5, 1, v7
	s_delay_alu instid0(VALU_DEP_1) | instskip(NEXT) | instid1(VALU_DEP_2)
	v_cmp_le_u32_e32 vcc_lo, s23, v0
	v_dual_cndmask_b32 v7, v7, v5, vcc_lo :: v_dual_ashrrev_i32 v5, 31, v2
	v_subrev_nc_u32_e32 v6, s23, v0
	s_delay_alu instid0(VALU_DEP_1) | instskip(NEXT) | instid1(VALU_DEP_1)
	v_dual_cndmask_b32 v0, v0, v6, vcc_lo :: v_dual_add_nc_u32 v6, 1, v7
	v_cmp_le_u32_e32 vcc_lo, s23, v0
	s_delay_alu instid0(VALU_DEP_2) | instskip(SKIP_1) | instid1(VALU_DEP_1)
	v_dual_cndmask_b32 v0, v7, v6, vcc_lo :: v_dual_bitop2_b32 v5, s27, v5 bitop3:0x14
	s_and_not1_b32 vcc_lo, exec_lo, s22
	v_dual_lshlrev_b32 v0, 1, v5 :: v_dual_bitop2_b32 v6, v0, v5 bitop3:0x14
	s_delay_alu instid0(VALU_DEP_1) | instskip(NEXT) | instid1(VALU_DEP_1)
	v_lshlrev_b32_e32 v7, 1, v6
	v_dual_sub_nc_u32 v0, v7, v0 :: v_dual_sub_nc_u32 v7, v6, v5
	s_delay_alu instid0(VALU_DEP_1) | instskip(NEXT) | instid1(VALU_DEP_2)
	v_dual_add_nc_u32 v0, 2, v0 :: v_dual_bitop2_b32 v8, 1, v0 bitop3:0x54
	v_mad_u32 v9, s28, v7, v2
	s_delay_alu instid0(VALU_DEP_2) | instskip(NEXT) | instid1(VALU_DEP_3)
	v_mad_u32 v8, s2, v8, v2
	v_mad_u32 v0, s2, v0, v2
	s_wait_kmcnt 0x0
	s_delay_alu instid0(VALU_DEP_3) | instskip(SKIP_1) | instid1(VALU_DEP_4)
	v_mul_lo_u32 v11, v9, s24
	v_mul_lo_u32 v17, v9, s25
	;; [unrolled: 1-line block ×3, first 2 shown]
	s_delay_alu instid0(VALU_DEP_4)
	v_mul_lo_u32 v16, v0, s24
	v_mul_lo_u32 v18, v8, s25
	;; [unrolled: 1-line block ×3, first 2 shown]
	s_clause 0x2
	global_load_u16 v14, v11, s[14:15] scale_offset
	global_load_u16 v8, v12, s[14:15] scale_offset
	;; [unrolled: 1-line block ×3, first 2 shown]
	s_clause 0x2
	global_load_u16 v15, v17, s[16:17] scale_offset
	global_load_u16 v9, v18, s[16:17] scale_offset
	;; [unrolled: 1-line block ×4, first 2 shown]
	s_wait_xcnt 0x4
	v_dual_mov_b32 v16, 0 :: v_dual_mov_b32 v11, 0
	s_wait_xcnt 0x2
	v_dual_mov_b32 v18, 0 :: v_dual_mov_b32 v17, 0
	s_wait_xcnt 0x1
	v_dual_mov_b32 v12, 0 :: v_dual_mov_b32 v19, 0
	s_cbranch_vccnz .LBB40_5
; %bb.4:                                ;   in Loop: Header=BB40_3 Depth=1
	v_sub_nc_u32_e32 v11, v5, v6
	v_mad_u32 v16, s30, v7, v2
	s_delay_alu instid0(VALU_DEP_2) | instskip(SKIP_1) | instid1(VALU_DEP_1)
	v_mul_lo_u32 v12, s2, v11
	v_add_nc_u32_e32 v11, 2, v11
	v_mad_u32 v11, s2, v11, v2
	s_delay_alu instid0(VALU_DEP_4) | instskip(SKIP_2) | instid1(VALU_DEP_1)
	v_mul_lo_u32 v17, v16, s20
	v_mul_lo_u32 v16, v16, s21
	v_add3_u32 v12, v12, s2, v2
	v_mul_lo_u32 v18, v12, s20
	v_mul_lo_u32 v12, v12, s21
	;; [unrolled: 1-line block ×4, first 2 shown]
	global_load_u16 v20, v17, s[6:7] scale_offset
	global_load_u16 v21, v16, s[8:9] scale_offset
	;; [unrolled: 1-line block ×6, first 2 shown]
	s_wait_loadcnt 0x5
	s_wait_xcnt 0x1
	v_cvt_f32_f16_e32 v19, v20
	s_wait_loadcnt 0x4
	v_cvt_f32_f16_e32 v18, v21
	s_wait_loadcnt 0x3
	;; [unrolled: 2-line block ×3, first 2 shown]
	s_wait_xcnt 0x0
	v_cvt_f32_f16_e32 v11, v23
	s_wait_loadcnt 0x1
	v_cvt_f32_f16_e32 v17, v24
	s_wait_loadcnt 0x0
	v_cvt_f32_f16_e32 v16, v25
.LBB40_5:                               ;   in Loop: Header=BB40_3 Depth=1
	s_wait_loadcnt 0x6
	v_cvt_f32_f16_e32 v14, v14
	s_wait_loadcnt 0x3
	v_cvt_f32_f16_e32 v15, v15
	v_cvt_f32_f16_e32 v13, v13
	s_wait_loadcnt 0x1
	v_cvt_f32_f16_e32 v10, v10
	s_delay_alu instid0(VALU_DEP_1) | instskip(NEXT) | instid1(VALU_DEP_1)
	v_dual_add_f32 v14, v14, v15 :: v_dual_add_f32 v10, v16, v10
	v_add_f32_e32 v14, v14, v19
	s_delay_alu instid0(VALU_DEP_1) | instskip(NEXT) | instid1(VALU_DEP_1)
	v_add_f32_e32 v14, v18, v14
	v_mul_f32_e32 v15, 0xbfb8aa3b, v14
	v_cmp_nlt_f32_e32 vcc_lo, 0x42ce8ed0, v14
	s_delay_alu instid0(VALU_DEP_2) | instskip(SKIP_1) | instid1(VALU_DEP_1)
	v_fma_f32 v18, 0xbfb8aa3b, v14, -v15
	v_rndne_f32_e32 v19, v15
	v_dual_fmac_f32 v18, 0xb2a5705f, v14 :: v_dual_sub_f32 v15, v15, v19
	s_delay_alu instid0(VALU_DEP_1) | instskip(SKIP_1) | instid1(VALU_DEP_2)
	v_add_f32_e32 v15, v15, v18
	v_cvt_i32_f32_e32 v18, v19
	v_exp_f32_e32 v15, v15
	v_nop
	s_delay_alu instid0(TRANS32_DEP_1) | instskip(NEXT) | instid1(VALU_DEP_1)
	v_ldexp_f32 v15, v15, v18
	v_cndmask_b32_e32 v15, 0, v15, vcc_lo
	v_cmp_ngt_f32_e32 vcc_lo, 0xc2b17218, v14
	s_delay_alu instid0(VALU_DEP_2) | instskip(NEXT) | instid1(VALU_DEP_1)
	v_cndmask_b32_e32 v14, 0x7f800000, v15, vcc_lo
	v_add_f32_e32 v15, 1.0, v14
	s_delay_alu instid0(VALU_DEP_1) | instskip(SKIP_1) | instid1(VALU_DEP_2)
	v_div_scale_f32 v14, null, v15, v15, 1.0
	v_div_scale_f32 v20, vcc_lo, 1.0, v15, 1.0
	v_rcp_f32_e32 v18, v14
	v_nop
	s_delay_alu instid0(TRANS32_DEP_1) | instskip(NEXT) | instid1(VALU_DEP_1)
	v_fma_f32 v19, -v14, v18, 1.0
	v_fmac_f32_e32 v18, v19, v18
	s_delay_alu instid0(VALU_DEP_1) | instskip(NEXT) | instid1(VALU_DEP_1)
	v_mul_f32_e32 v19, v20, v18
	v_fma_f32 v21, -v14, v19, v20
	s_delay_alu instid0(VALU_DEP_1) | instskip(NEXT) | instid1(VALU_DEP_1)
	v_fmac_f32_e32 v19, v21, v18
	v_fma_f32 v14, -v14, v19, v20
	s_delay_alu instid0(VALU_DEP_1) | instskip(SKIP_1) | instid1(VALU_DEP_2)
	v_div_fmas_f32 v18, v14, v18, v19
	v_add_f32_e32 v14, v17, v13
	v_div_fixup_f32 v13, v18, v15, 1.0
                                        ; implicit-def: $vgpr15
	s_delay_alu instid0(VALU_DEP_1) | instskip(NEXT) | instid1(VALU_DEP_1)
	v_fmac_f32_e32 v14, v10, v13
	v_cmp_ngt_f32_e64 s35, 0x3f200000, |v14|
	s_wait_xcnt 0x0
	s_and_saveexec_b32 s36, s35
	s_delay_alu instid0(SALU_CYCLE_1)
	s_xor_b32 s35, exec_lo, s36
	s_cbranch_execz .LBB40_7
; %bb.6:                                ;   in Loop: Header=BB40_3 Depth=1
	v_add_f32_e64 v15, |v14|, |v14|
	s_delay_alu instid0(VALU_DEP_1) | instskip(SKIP_1) | instid1(VALU_DEP_2)
	v_mul_f32_e32 v16, 0x3fb8aa3b, v15
	v_cmp_ngt_f32_e32 vcc_lo, 0xc2ce8ed0, v15
	v_rndne_f32_e32 v17, v16
	v_fma_f32 v18, 0x3fb8aa3b, v15, -v16
	s_delay_alu instid0(VALU_DEP_2) | instskip(NEXT) | instid1(VALU_DEP_2)
	v_sub_f32_e32 v16, v16, v17
	v_fmac_f32_e32 v18, 0x32a5705f, v15
	v_cvt_i32_f32_e32 v17, v17
	s_delay_alu instid0(VALU_DEP_2) | instskip(NEXT) | instid1(VALU_DEP_1)
	v_add_f32_e32 v16, v16, v18
	v_exp_f32_e32 v16, v16
	v_nop
	s_delay_alu instid0(TRANS32_DEP_1) | instskip(NEXT) | instid1(VALU_DEP_1)
	v_ldexp_f32 v16, v16, v17
	v_cndmask_b32_e32 v16, 0, v16, vcc_lo
	v_cmp_nlt_f32_e32 vcc_lo, 0x42b17218, v15
	s_delay_alu instid0(VALU_DEP_2) | instskip(NEXT) | instid1(VALU_DEP_1)
	v_cndmask_b32_e32 v15, 0x7f800000, v16, vcc_lo
	v_add_f32_e32 v15, 1.0, v15
	s_delay_alu instid0(VALU_DEP_1) | instskip(SKIP_1) | instid1(TRANS32_DEP_1)
	v_rcp_f32_e32 v15, v15
	v_nop
	v_fma_f32 v15, v15, -2.0, 1.0
.LBB40_7:                               ;   in Loop: Header=BB40_3 Depth=1
	s_and_not1_saveexec_b32 s35, s35
	s_cbranch_execz .LBB40_2
; %bb.8:                                ;   in Loop: Header=BB40_3 Depth=1
	v_mul_f32_e32 v15, v14, v14
	s_delay_alu instid0(VALU_DEP_1) | instskip(NEXT) | instid1(VALU_DEP_1)
	v_fmaak_f32 v16, s0, v15, 0x3ca908c9
	v_fmaak_f32 v16, v15, v16, 0xbd5c1c4e
	s_delay_alu instid0(VALU_DEP_1) | instskip(NEXT) | instid1(VALU_DEP_1)
	v_fmaak_f32 v16, v15, v16, 0x3e088382
	v_fmaak_f32 v16, v15, v16, 0xbeaaaa99
	s_delay_alu instid0(VALU_DEP_1) | instskip(NEXT) | instid1(VALU_DEP_1)
	v_mul_f32_e64 v16, |v14|, v16
	v_fma_f32 v15, v15, v16, |v14|
	s_branch .LBB40_2
.LBB40_9:
	s_endpgm
	.section	.rodata,"a",@progbits
	.p2align	6, 0x0
	.amdhsa_kernel _ZN2at6native12_GLOBAL__N_16kernel16gru_cell_forwardIN3c104HalfEfiLi1EEEvNS_4cuda6detail10TensorInfoIT_T1_EESB_SB_SB_SB_SB_SB_SA_SA_
		.amdhsa_group_segment_fixed_size 0
		.amdhsa_private_segment_fixed_size 0
		.amdhsa_kernarg_size 1776
		.amdhsa_user_sgpr_count 2
		.amdhsa_user_sgpr_dispatch_ptr 0
		.amdhsa_user_sgpr_queue_ptr 0
		.amdhsa_user_sgpr_kernarg_segment_ptr 1
		.amdhsa_user_sgpr_dispatch_id 0
		.amdhsa_user_sgpr_kernarg_preload_length 0
		.amdhsa_user_sgpr_kernarg_preload_offset 0
		.amdhsa_user_sgpr_private_segment_size 0
		.amdhsa_wavefront_size32 1
		.amdhsa_uses_dynamic_stack 0
		.amdhsa_enable_private_segment 0
		.amdhsa_system_sgpr_workgroup_id_x 1
		.amdhsa_system_sgpr_workgroup_id_y 0
		.amdhsa_system_sgpr_workgroup_id_z 0
		.amdhsa_system_sgpr_workgroup_info 0
		.amdhsa_system_vgpr_workitem_id 0
		.amdhsa_next_free_vgpr 26
		.amdhsa_next_free_sgpr 37
		.amdhsa_named_barrier_count 0
		.amdhsa_reserve_vcc 1
		.amdhsa_float_round_mode_32 0
		.amdhsa_float_round_mode_16_64 0
		.amdhsa_float_denorm_mode_32 3
		.amdhsa_float_denorm_mode_16_64 3
		.amdhsa_fp16_overflow 0
		.amdhsa_memory_ordered 1
		.amdhsa_forward_progress 1
		.amdhsa_inst_pref_size 16
		.amdhsa_round_robin_scheduling 0
		.amdhsa_exception_fp_ieee_invalid_op 0
		.amdhsa_exception_fp_denorm_src 0
		.amdhsa_exception_fp_ieee_div_zero 0
		.amdhsa_exception_fp_ieee_overflow 0
		.amdhsa_exception_fp_ieee_underflow 0
		.amdhsa_exception_fp_ieee_inexact 0
		.amdhsa_exception_int_div_zero 0
	.end_amdhsa_kernel
	.section	.text._ZN2at6native12_GLOBAL__N_16kernel16gru_cell_forwardIN3c104HalfEfiLi1EEEvNS_4cuda6detail10TensorInfoIT_T1_EESB_SB_SB_SB_SB_SB_SA_SA_,"axG",@progbits,_ZN2at6native12_GLOBAL__N_16kernel16gru_cell_forwardIN3c104HalfEfiLi1EEEvNS_4cuda6detail10TensorInfoIT_T1_EESB_SB_SB_SB_SB_SB_SA_SA_,comdat
.Lfunc_end40:
	.size	_ZN2at6native12_GLOBAL__N_16kernel16gru_cell_forwardIN3c104HalfEfiLi1EEEvNS_4cuda6detail10TensorInfoIT_T1_EESB_SB_SB_SB_SB_SB_SA_SA_, .Lfunc_end40-_ZN2at6native12_GLOBAL__N_16kernel16gru_cell_forwardIN3c104HalfEfiLi1EEEvNS_4cuda6detail10TensorInfoIT_T1_EESB_SB_SB_SB_SB_SB_SA_SA_
                                        ; -- End function
	.set _ZN2at6native12_GLOBAL__N_16kernel16gru_cell_forwardIN3c104HalfEfiLi1EEEvNS_4cuda6detail10TensorInfoIT_T1_EESB_SB_SB_SB_SB_SB_SA_SA_.num_vgpr, 26
	.set _ZN2at6native12_GLOBAL__N_16kernel16gru_cell_forwardIN3c104HalfEfiLi1EEEvNS_4cuda6detail10TensorInfoIT_T1_EESB_SB_SB_SB_SB_SB_SA_SA_.num_agpr, 0
	.set _ZN2at6native12_GLOBAL__N_16kernel16gru_cell_forwardIN3c104HalfEfiLi1EEEvNS_4cuda6detail10TensorInfoIT_T1_EESB_SB_SB_SB_SB_SB_SA_SA_.numbered_sgpr, 37
	.set _ZN2at6native12_GLOBAL__N_16kernel16gru_cell_forwardIN3c104HalfEfiLi1EEEvNS_4cuda6detail10TensorInfoIT_T1_EESB_SB_SB_SB_SB_SB_SA_SA_.num_named_barrier, 0
	.set _ZN2at6native12_GLOBAL__N_16kernel16gru_cell_forwardIN3c104HalfEfiLi1EEEvNS_4cuda6detail10TensorInfoIT_T1_EESB_SB_SB_SB_SB_SB_SA_SA_.private_seg_size, 0
	.set _ZN2at6native12_GLOBAL__N_16kernel16gru_cell_forwardIN3c104HalfEfiLi1EEEvNS_4cuda6detail10TensorInfoIT_T1_EESB_SB_SB_SB_SB_SB_SA_SA_.uses_vcc, 1
	.set _ZN2at6native12_GLOBAL__N_16kernel16gru_cell_forwardIN3c104HalfEfiLi1EEEvNS_4cuda6detail10TensorInfoIT_T1_EESB_SB_SB_SB_SB_SB_SA_SA_.uses_flat_scratch, 0
	.set _ZN2at6native12_GLOBAL__N_16kernel16gru_cell_forwardIN3c104HalfEfiLi1EEEvNS_4cuda6detail10TensorInfoIT_T1_EESB_SB_SB_SB_SB_SB_SA_SA_.has_dyn_sized_stack, 0
	.set _ZN2at6native12_GLOBAL__N_16kernel16gru_cell_forwardIN3c104HalfEfiLi1EEEvNS_4cuda6detail10TensorInfoIT_T1_EESB_SB_SB_SB_SB_SB_SA_SA_.has_recursion, 0
	.set _ZN2at6native12_GLOBAL__N_16kernel16gru_cell_forwardIN3c104HalfEfiLi1EEEvNS_4cuda6detail10TensorInfoIT_T1_EESB_SB_SB_SB_SB_SB_SA_SA_.has_indirect_call, 0
	.section	.AMDGPU.csdata,"",@progbits
; Kernel info:
; codeLenInByte = 2032
; TotalNumSgprs: 39
; NumVgprs: 26
; ScratchSize: 0
; MemoryBound: 0
; FloatMode: 240
; IeeeMode: 1
; LDSByteSize: 0 bytes/workgroup (compile time only)
; SGPRBlocks: 0
; VGPRBlocks: 1
; NumSGPRsForWavesPerEU: 39
; NumVGPRsForWavesPerEU: 26
; NamedBarCnt: 0
; Occupancy: 16
; WaveLimiterHint : 1
; COMPUTE_PGM_RSRC2:SCRATCH_EN: 0
; COMPUTE_PGM_RSRC2:USER_SGPR: 2
; COMPUTE_PGM_RSRC2:TRAP_HANDLER: 0
; COMPUTE_PGM_RSRC2:TGID_X_EN: 1
; COMPUTE_PGM_RSRC2:TGID_Y_EN: 0
; COMPUTE_PGM_RSRC2:TGID_Z_EN: 0
; COMPUTE_PGM_RSRC2:TIDIG_COMP_CNT: 0
	.section	.text._ZN2at6native12_GLOBAL__N_16kernel16gru_cell_forwardIN3c104HalfEfiLi2EEEvNS_4cuda6detail10TensorInfoIT_T1_EESB_SB_SB_SB_SB_SB_SA_SA_,"axG",@progbits,_ZN2at6native12_GLOBAL__N_16kernel16gru_cell_forwardIN3c104HalfEfiLi2EEEvNS_4cuda6detail10TensorInfoIT_T1_EESB_SB_SB_SB_SB_SB_SA_SA_,comdat
	.globl	_ZN2at6native12_GLOBAL__N_16kernel16gru_cell_forwardIN3c104HalfEfiLi2EEEvNS_4cuda6detail10TensorInfoIT_T1_EESB_SB_SB_SB_SB_SB_SA_SA_ ; -- Begin function _ZN2at6native12_GLOBAL__N_16kernel16gru_cell_forwardIN3c104HalfEfiLi2EEEvNS_4cuda6detail10TensorInfoIT_T1_EESB_SB_SB_SB_SB_SB_SA_SA_
	.p2align	8
	.type	_ZN2at6native12_GLOBAL__N_16kernel16gru_cell_forwardIN3c104HalfEfiLi2EEEvNS_4cuda6detail10TensorInfoIT_T1_EESB_SB_SB_SB_SB_SB_SA_SA_,@function
_ZN2at6native12_GLOBAL__N_16kernel16gru_cell_forwardIN3c104HalfEfiLi2EEEvNS_4cuda6detail10TensorInfoIT_T1_EESB_SB_SB_SB_SB_SB_SA_SA_: ; @_ZN2at6native12_GLOBAL__N_16kernel16gru_cell_forwardIN3c104HalfEfiLi2EEEvNS_4cuda6detail10TensorInfoIT_T1_EESB_SB_SB_SB_SB_SB_SA_SA_
; %bb.0:
	s_clause 0x1
	s_load_b32 s2, s[0:1], 0x5fc
	s_load_b64 s[4:5], s[0:1], 0x5e8
	s_bfe_u32 s3, ttmp6, 0x4000c
	s_and_b32 s6, ttmp6, 15
	s_add_co_i32 s3, s3, 1
	s_getreg_b32 s7, hwreg(HW_REG_IB_STS2, 6, 4)
	s_mul_i32 s3, ttmp9, s3
	s_delay_alu instid0(SALU_CYCLE_1)
	s_add_co_i32 s6, s6, s3
	s_wait_kmcnt 0x0
	s_and_b32 s2, s2, 0xffff
	s_cmp_eq_u32 s7, 0
	s_mov_b32 s7, 0
	s_cselect_b32 s3, ttmp9, s6
	s_delay_alu instid0(SALU_CYCLE_1) | instskip(SKIP_1) | instid1(VALU_DEP_1)
	v_mad_u32 v2, s3, s2, v0
	s_mov_b32 s3, exec_lo
	v_cmpx_gt_i32_e64 s5, v2
	s_cbranch_execz .LBB41_9
; %bb.1:
	s_clause 0x1
	s_load_b64 s[8:9], s[0:1], 0x1b0
	s_load_b32 s3, s[0:1], 0xc
	s_add_nc_u64 s[22:23], s[0:1], 0x5f0
	s_clause 0x5
	s_load_b64 s[10:11], s[0:1], 0x0
	s_load_b64 s[12:13], s[0:1], 0x6c
	;; [unrolled: 1-line block ×3, first 2 shown]
	s_load_b32 s33, s[0:1], 0xe4
	s_load_b64 s[16:17], s[0:1], 0x144
	s_load_b32 s44, s[0:1], 0x21c
	s_load_b32 s50, s[22:23], 0x0
	s_clause 0x3
	s_load_b64 s[18:19], s[0:1], 0x288
	s_load_b32 s45, s[0:1], 0x2f4
	s_load_b64 s[20:21], s[0:1], 0x360
	s_load_b32 s64, s[0:1], 0x36c
	s_wait_xcnt 0x0
	s_clause 0x6
	s_load_b64 s[22:23], s[0:1], 0x3cc
	s_load_b64 s[24:25], s[0:1], 0x438
	s_load_b32 s65, s[0:1], 0x444
	s_load_b64 s[26:27], s[0:1], 0x4a4
	s_load_b64 s[28:29], s[0:1], 0x510
	s_load_b32 s49, s[0:1], 0x51c
	s_load_b64 s[30:31], s[0:1], 0x57c
	s_mov_b32 s35, s7
	s_mov_b32 s39, s7
	;; [unrolled: 1-line block ×5, first 2 shown]
	s_wait_kmcnt 0x0
	s_mul_i32 s50, s50, s2
	s_cmp_lg_u64 s[8:9], 0
	s_cselect_b32 s46, -1, 0
	s_abs_i32 s47, s4
	s_abs_i32 s48, s3
	s_cvt_f32_u32 s6, s47
	s_cvt_f32_u32 s34, s48
	s_abs_i32 s52, s33
	s_abs_i32 s54, s64
	v_rcp_iflag_f32_e32 v0, s6
	v_rcp_iflag_f32_e32 v1, s34
	s_cvt_f32_u32 s0, s52
	s_sub_co_i32 s6, 0, s47
	s_sub_co_i32 s34, 0, s48
	s_abs_i32 s55, s65
	s_abs_i32 s57, s49
	v_readfirstlane_b32 s1, v0
	v_readfirstlane_b32 s2, v1
	v_rcp_iflag_f32_e32 v0, s0
	s_sub_co_i32 s36, 0, s52
	s_sub_co_i32 s37, 0, s54
	s_mul_f32 s0, s1, 0x4f7ffffe
	s_mul_f32 s1, s2, 0x4f7ffffe
	s_cvt_f32_u32 s2, s54
	s_sub_co_i32 s41, 0, s57
	s_cvt_u32_f32 s0, s0
	s_cvt_u32_f32 s1, s1
	v_rcp_iflag_f32_e32 v1, s2
	v_nop
	v_readfirstlane_b32 s2, v0
	s_mul_i32 s6, s6, s0
	s_mul_i32 s34, s34, s1
	s_mul_hi_u32 s6, s0, s6
	s_mul_hi_u32 s34, s1, s34
	s_add_co_i32 s6, s0, s6
	s_mul_f32 s0, s2, 0x4f7ffffe
	s_cvt_f32_u32 s2, s55
	s_add_co_i32 s34, s1, s34
	v_readfirstlane_b32 s1, v1
	s_cvt_u32_f32 s0, s0
	v_rcp_iflag_f32_e32 v0, s2
	s_cvt_f32_u32 s2, s57
	s_ashr_i32 s51, s4, 31
	s_mul_f32 s1, s1, 0x4f7ffffe
	s_mul_i32 s36, s36, s0
	v_rcp_iflag_f32_e32 v1, s2
	s_mul_hi_u32 s36, s0, s36
	v_nop
	v_readfirstlane_b32 s2, v0
	s_cvt_u32_f32 s1, s1
	s_add_co_i32 s36, s0, s36
	s_ashr_i32 s53, s3, 31
	s_ashr_i32 s56, s33, 31
	v_readfirstlane_b32 s40, v1
	s_mul_i32 s0, s37, s1
	s_mul_f32 s2, s2, 0x4f7ffffe
	s_mul_hi_u32 s0, s1, s0
	v_mov_b32_e32 v1, 0
	s_add_co_i32 s38, s1, s0
	s_cvt_u32_f32 s0, s2
	s_mul_f32 s1, s40, 0x4f7ffffe
	s_sub_co_i32 s2, 0, s55
	s_mov_b32 s37, s7
	s_mul_i32 s2, s2, s0
	s_cvt_u32_f32 s1, s1
	s_mul_hi_u32 s2, s0, s2
	s_ashr_i32 s58, s64, 31
	s_add_co_i32 s40, s0, s2
	s_mul_i32 s0, s41, s1
	s_ashr_i32 s59, s65, 31
	s_mul_hi_u32 s0, s1, s0
	s_mov_b32 s41, s7
	s_ashr_i32 s60, s49, 31
	s_add_co_i32 s42, s1, s0
	s_lshl_b32 s61, s4, 1
	s_lshl_b32 s62, s4, 2
	s_sub_co_i32 s63, 0, s4
	s_sub_co_i32 s64, 0, s64
	;; [unrolled: 1-line block ×3, first 2 shown]
	s_branch .LBB41_3
.LBB41_2:                               ;   in Loop: Header=BB41_3 Depth=1
	s_or_b32 exec_lo, exec_lo, s0
	v_mul_u64_e32 v[16:17], s[40:41], v[0:1]
	v_mul_lo_u32 v10, s62, v10
	v_cvt_f32_f16_e32 v12, v12
	v_cvt_f32_f16_e32 v13, v13
	v_bfi_b32 v9, 0x7fffffff, v11, v9
	s_wait_loadcnt 0x0
	v_cvt_f32_f16_e32 v11, v6
	v_cvt_f16_f32_e32 v8, v8
	v_cvt_f16_f32_e32 v7, v7
	v_lshlrev_b32_e32 v5, 2, v5
	v_dual_add_f32 v12, v12, v13 :: v_dual_bitop2_b32 v3, s59, v3 bitop3:0x14
	v_dual_sub_f32 v11, v11, v9 :: v_dual_add_nc_u32 v16, v2, v10
	s_delay_alu instid0(VALU_DEP_2) | instskip(SKIP_1) | instid1(VALU_DEP_1)
	v_add_f32_e32 v12, v12, v15
	v_mul_lo_u32 v18, v17, s55
	v_dual_ashrrev_i32 v16, 31, v16 :: v_dual_sub_nc_u32 v22, v0, v18
	s_delay_alu instid0(VALU_DEP_1) | instskip(NEXT) | instid1(VALU_DEP_2)
	v_add3_u32 v19, v16, v10, v2
	v_subrev_nc_u32_e32 v32, s55, v22
	s_delay_alu instid0(VALU_DEP_2) | instskip(SKIP_1) | instid1(VALU_DEP_2)
	v_xor_b32_e32 v0, v19, v16
	v_lshlrev_b32_e32 v4, 2, v4
	v_mul_u64_e32 v[18:19], s[42:43], v[0:1]
	s_delay_alu instid0(VALU_DEP_2) | instskip(NEXT) | instid1(VALU_DEP_1)
	v_sub_nc_u32_e32 v18, v5, v4
	v_or_b32_e32 v4, 1, v18
	s_delay_alu instid0(VALU_DEP_1) | instskip(NEXT) | instid1(VALU_DEP_1)
	v_mul_lo_u32 v23, s4, v4
	v_add_nc_u32_e32 v4, v2, v23
	s_delay_alu instid0(VALU_DEP_1) | instskip(SKIP_1) | instid1(VALU_DEP_2)
	v_ashrrev_i32_e32 v24, 31, v4
	v_mul_lo_u32 v5, v19, s57
	v_add3_u32 v4, v24, v23, v2
	s_delay_alu instid0(VALU_DEP_2) | instskip(NEXT) | instid1(VALU_DEP_2)
	v_sub_nc_u32_e32 v25, v0, v5
	v_xor_b32_e32 v0, v4, v24
	s_delay_alu instid0(VALU_DEP_1) | instskip(NEXT) | instid1(VALU_DEP_1)
	v_mul_u64_e32 v[4:5], s[42:43], v[0:1]
	v_mul_lo_u32 v21, v5, s57
	s_delay_alu instid0(VALU_DEP_1) | instskip(NEXT) | instid1(VALU_DEP_1)
	v_dual_sub_nc_u32 v27, v0, v21 :: v_dual_bitop2_b32 v4, 2, v18 bitop3:0x54
	v_mul_lo_u32 v4, s4, v4
	s_delay_alu instid0(VALU_DEP_1) | instskip(NEXT) | instid1(VALU_DEP_1)
	v_add_nc_u32_e32 v20, v2, v4
	v_ashrrev_i32_e32 v26, 31, v20
	s_delay_alu instid0(VALU_DEP_1) | instskip(NEXT) | instid1(VALU_DEP_1)
	v_add3_u32 v20, v26, v4, v2
	v_xor_b32_e32 v0, v20, v26
	s_delay_alu instid0(VALU_DEP_1) | instskip(SKIP_1) | instid1(VALU_DEP_1)
	v_mul_u64_e32 v[20:21], s[42:43], v[0:1]
	v_or_b32_e32 v20, 3, v18
	v_mul_lo_u32 v20, s4, v20
	s_delay_alu instid0(VALU_DEP_1) | instskip(NEXT) | instid1(VALU_DEP_1)
	v_add_nc_u32_e32 v13, v2, v20
	v_dual_add_f32 v14, v14, v12 :: v_dual_ashrrev_i32 v28, 31, v13
	s_delay_alu instid0(VALU_DEP_1) | instskip(SKIP_1) | instid1(VALU_DEP_1)
	v_add3_u32 v15, v28, v20, v2
	v_mul_lo_u32 v12, v21, s57
	v_sub_nc_u32_e32 v31, v0, v12
	s_delay_alu instid0(VALU_DEP_4) | instskip(SKIP_1) | instid1(VALU_DEP_2)
	v_mul_f32_e32 v13, 0xbfb8aa3b, v14
	v_cmp_nlt_f32_e32 vcc_lo, 0x42ce8ed0, v14
	v_fma_f32 v29, 0xbfb8aa3b, v14, -v13
	v_rndne_f32_e32 v30, v13
	v_xor_b32_e32 v0, v15, v28
	s_delay_alu instid0(VALU_DEP_3) | instskip(NEXT) | instid1(VALU_DEP_3)
	v_fmac_f32_e32 v29, 0xb2a5705f, v14
	v_sub_f32_e32 v15, v13, v30
	s_delay_alu instid0(VALU_DEP_3) | instskip(NEXT) | instid1(VALU_DEP_2)
	v_mul_u64_e32 v[12:13], s[42:43], v[0:1]
	v_add_f32_e32 v12, v15, v29
	v_cvt_i32_f32_e32 v15, v30
	s_delay_alu instid0(VALU_DEP_2) | instskip(SKIP_1) | instid1(TRANS32_DEP_1)
	v_exp_f32_e32 v12, v12
	v_nop
	v_ldexp_f32 v12, v12, v15
	s_delay_alu instid0(VALU_DEP_1) | instskip(SKIP_1) | instid1(VALU_DEP_2)
	v_cndmask_b32_e32 v12, 0, v12, vcc_lo
	v_cmp_ngt_f32_e32 vcc_lo, 0xc2b17218, v14
	v_cndmask_b32_e32 v12, 0x7f800000, v12, vcc_lo
	v_add_nc_u32_e32 v18, 4, v18
	v_cmp_le_u32_e32 vcc_lo, s55, v22
	s_delay_alu instid0(VALU_DEP_3) | instskip(NEXT) | instid1(VALU_DEP_3)
	v_add_f32_e32 v12, 1.0, v12
	v_mul_lo_u32 v18, s4, v18
	v_mul_lo_u32 v15, v13, s57
	v_cndmask_b32_e32 v22, v22, v32, vcc_lo
	s_delay_alu instid0(VALU_DEP_4) | instskip(NEXT) | instid1(VALU_DEP_2)
	v_div_scale_f32 v29, null, v12, v12, 1.0
	v_cmp_le_u32_e64 s0, s55, v22
	s_delay_alu instid0(VALU_DEP_2) | instskip(SKIP_1) | instid1(VALU_DEP_1)
	v_rcp_f32_e32 v33, v29
	v_add_nc_u32_e32 v14, v2, v18
	v_dual_ashrrev_i32 v30, 31, v14 :: v_dual_add_nc_u32 v14, 1, v17
	s_delay_alu instid0(VALU_DEP_1) | instskip(NEXT) | instid1(VALU_DEP_2)
	v_add3_u32 v34, v30, v18, v2
	v_dual_cndmask_b32 v17, v17, v14 :: v_dual_sub_nc_u32 v32, v0, v15
	v_div_scale_f32 v36, vcc_lo, 1.0, v12, 1.0
	s_delay_alu instid0(VALU_DEP_3) | instskip(SKIP_1) | instid1(VALU_DEP_4)
	v_xor_b32_e32 v0, v34, v30
	v_fma_f32 v34, -v29, v33, 1.0
	v_add_nc_u32_e32 v35, 1, v17
	s_delay_alu instid0(VALU_DEP_3) | instskip(NEXT) | instid1(VALU_DEP_3)
	v_mul_u64_e32 v[14:15], s[42:43], v[0:1]
	v_dual_fmac_f32 v33, v34, v33 :: v_dual_bitop2_b32 v14, s60, v16 bitop3:0x14
	s_delay_alu instid0(VALU_DEP_3) | instskip(NEXT) | instid1(VALU_DEP_2)
	v_dual_cndmask_b32 v17, v17, v35, s0 :: v_dual_bitop2_b32 v16, s60, v24 bitop3:0x14
	v_dual_mul_f32 v22, v36, v33 :: v_dual_bitop2_b32 v24, s60, v26 bitop3:0x14
	v_dual_add_nc_u32 v28, 1, v19 :: v_dual_bitop2_b32 v26, s60, v28 bitop3:0x14
	v_cmp_le_u32_e64 s0, s57, v25
	s_delay_alu instid0(VALU_DEP_4) | instskip(SKIP_1) | instid1(VALU_DEP_3)
	v_xor_b32_e32 v17, v17, v3
	v_subrev_nc_u32_e32 v35, s57, v25
	v_dual_cndmask_b32 v19, v19, v28, s0 :: v_dual_fma_f32 v34, -v29, v22, v36
	s_delay_alu instid0(VALU_DEP_2) | instskip(NEXT) | instid1(VALU_DEP_4)
	v_cndmask_b32_e64 v25, v25, v35, s0
	v_dual_sub_nc_u32 v3, v17, v3 :: v_dual_bitop2_b32 v17, s60, v30 bitop3:0x14
	s_delay_alu instid0(VALU_DEP_3) | instskip(NEXT) | instid1(VALU_DEP_3)
	v_dual_add_nc_u32 v28, 1, v19 :: v_dual_fmac_f32 v22, v34, v33
	v_cmp_le_u32_e64 s0, s57, v25
	v_add_nc_u32_e32 v34, 1, v5
	v_subrev_nc_u32_e32 v25, s57, v27
	v_mad_u32 v30, s65, v3, v2
	s_delay_alu instid0(VALU_DEP_4) | instskip(SKIP_1) | instid1(VALU_DEP_2)
	v_dual_fma_f32 v29, -v29, v22, v36 :: v_dual_cndmask_b32 v19, v19, v28, s0
	v_cmp_le_u32_e64 s0, s57, v27
	v_div_fmas_f32 v22, v29, v33, v22
	v_cmp_le_u32_e32 vcc_lo, s57, v31
	v_mul_lo_u32 v28, v15, s57
	s_delay_alu instid0(VALU_DEP_4) | instskip(SKIP_2) | instid1(VALU_DEP_3)
	v_dual_cndmask_b32 v5, v5, v34, s0 :: v_dual_cndmask_b32 v25, v27, v25, s0
	v_dual_add_nc_u32 v29, 1, v21 :: v_dual_bitop2_b32 v19, v19, v14 bitop3:0x14
	v_subrev_nc_u32_e32 v33, s57, v31
	v_add_nc_u32_e32 v27, 1, v5
	s_delay_alu instid0(VALU_DEP_4) | instskip(SKIP_2) | instid1(VALU_DEP_3)
	v_cmp_le_u32_e64 s0, s57, v25
	v_div_fixup_f32 v12, v22, v12, 1.0
	v_mul_lo_u32 v22, v30, s27
	v_dual_sub_nc_u32 v0, v0, v28 :: v_dual_cndmask_b32 v5, v5, v27, s0
	v_dual_cndmask_b32 v21, v21, v29 :: v_dual_add_nc_u32 v28, 1, v15
	s_delay_alu instid0(VALU_DEP_4) | instskip(NEXT) | instid1(VALU_DEP_3)
	v_fma_mixlo_f16 v11, v12, v11, v9
	v_cmp_le_u32_e64 s0, s57, v0
	v_add_nc_u32_e32 v25, 1, v13
	v_subrev_nc_u32_e32 v29, s57, v0
	v_xor_b32_e32 v5, v5, v16
	v_mad_u32 v3, v3, s26, v22
	v_cndmask_b32_e64 v15, v15, v28, s0
	v_cndmask_b32_e32 v27, v31, v33, vcc_lo
	v_cmp_le_u32_e32 vcc_lo, s57, v32
	v_cndmask_b32_e64 v0, v0, v29, s0
	v_cvt_f16_f32_e32 v9, v9
	v_dual_add_nc_u32 v29, 1, v15 :: v_dual_cndmask_b32 v13, v13, v25, vcc_lo
	v_subrev_nc_u32_e32 v25, s57, v32
	global_store_b16 v3, v11, s[24:25] scale_offset
	s_wait_xcnt 0x0
	v_cvt_f16_f32_e32 v3, v12
	v_cndmask_b32_e32 v25, v32, v25, vcc_lo
	v_cmp_le_u32_e32 vcc_lo, s57, v27
	v_add_nc_u32_e32 v31, 1, v13
	v_add_nc_u32_e32 v28, 1, v21
	s_delay_alu instid0(VALU_DEP_1) | instskip(SKIP_1) | instid1(VALU_DEP_4)
	v_cndmask_b32_e32 v21, v21, v28, vcc_lo
	v_cmp_le_u32_e32 vcc_lo, s57, v25
	v_cndmask_b32_e32 v13, v13, v31, vcc_lo
	v_cmp_le_u32_e32 vcc_lo, s57, v0
	s_delay_alu instid0(VALU_DEP_4) | instskip(SKIP_1) | instid1(VALU_DEP_4)
	v_dual_cndmask_b32 v0, v15, v29, vcc_lo :: v_dual_bitop2_b32 v15, v21, v24 bitop3:0x14
	v_sub_nc_u32_e32 v14, v19, v14
	v_xor_b32_e32 v13, v13, v26
	s_delay_alu instid0(VALU_DEP_3) | instskip(NEXT) | instid1(VALU_DEP_3)
	v_dual_sub_nc_u32 v5, v5, v16 :: v_dual_bitop2_b32 v0, v0, v17 bitop3:0x14
	v_mul_lo_u32 v16, v14, s49
	s_delay_alu instid0(VALU_DEP_3) | instskip(NEXT) | instid1(VALU_DEP_3)
	v_dual_sub_nc_u32 v15, v15, v24 :: v_dual_sub_nc_u32 v13, v13, v26
	v_sub_nc_u32_e32 v0, v0, v17
	s_delay_alu instid0(VALU_DEP_4) | instskip(NEXT) | instid1(VALU_DEP_3)
	v_mul_lo_u32 v17, v5, s49
	v_mul_lo_u32 v19, v15, s49
	s_delay_alu instid0(VALU_DEP_3) | instskip(SKIP_2) | instid1(VALU_DEP_2)
	v_mul_lo_u32 v24, v0, s49
	v_sub_nc_u32_e32 v10, v10, v16
	v_mul_lo_u32 v21, v13, s49
	v_dual_sub_nc_u32 v16, v23, v17 :: v_dual_add_nc_u32 v10, v2, v10
	s_delay_alu instid0(VALU_DEP_4) | instskip(NEXT) | instid1(VALU_DEP_2)
	v_dual_sub_nc_u32 v4, v4, v19 :: v_dual_sub_nc_u32 v18, v18, v24
	v_mul_lo_u32 v10, v10, s31
	s_delay_alu instid0(VALU_DEP_2) | instskip(NEXT) | instid1(VALU_DEP_3)
	v_dual_add_nc_u32 v4, v2, v4 :: v_dual_sub_nc_u32 v17, v20, v21
	v_dual_add_nc_u32 v16, v2, v16 :: v_dual_add_nc_u32 v18, v2, v18
	s_delay_alu instid0(VALU_DEP_2) | instskip(NEXT) | instid1(VALU_DEP_3)
	v_mul_lo_u32 v4, v4, s31
	v_add_nc_u32_e32 v17, v2, v17
	s_delay_alu instid0(VALU_DEP_3) | instskip(NEXT) | instid1(VALU_DEP_4)
	v_mul_lo_u32 v16, v16, s31
	v_mul_lo_u32 v18, v18, s31
	v_add_nc_u32_e32 v2, s50, v2
	v_mad_u32 v10, v14, s30, v10
	v_mul_lo_u32 v17, v17, s31
	s_delay_alu instid0(VALU_DEP_3)
	v_cmp_le_i32_e32 vcc_lo, s5, v2
	v_mad_u32 v4, v15, s30, v4
	v_mad_u32 v5, v5, s30, v16
	;; [unrolled: 1-line block ×3, first 2 shown]
	s_or_b32 s67, vcc_lo, s67
	global_store_b16 v10, v8, s[28:29] scale_offset
	v_mad_u32 v13, v13, s30, v17
	s_clause 0x3
	global_store_b16 v5, v3, s[28:29] scale_offset
	global_store_b16 v4, v9, s[28:29] scale_offset
	;; [unrolled: 1-line block ×4, first 2 shown]
	s_wait_xcnt 0x0
	s_and_not1_b32 exec_lo, exec_lo, s67
	s_cbranch_execz .LBB41_9
.LBB41_3:                               ; =>This Inner Loop Header: Depth=1
	v_dual_mov_b32 v9, v1 :: v_dual_sub_nc_u32 v0, 0, v2
	s_delay_alu instid0(VALU_DEP_1) | instskip(NEXT) | instid1(VALU_DEP_1)
	v_dual_mov_b32 v13, v1 :: v_dual_max_i32 v0, v2, v0
	v_mul_u64_e32 v[4:5], s[6:7], v[0:1]
	s_delay_alu instid0(VALU_DEP_1) | instskip(NEXT) | instid1(VALU_DEP_1)
	v_mul_lo_u32 v3, v5, s47
	v_dual_sub_nc_u32 v4, v0, v3 :: v_dual_add_nc_u32 v3, 1, v5
	s_delay_alu instid0(VALU_DEP_1) | instskip(NEXT) | instid1(VALU_DEP_2)
	v_cmp_le_u32_e32 vcc_lo, s47, v4
	v_dual_cndmask_b32 v5, v5, v3, vcc_lo :: v_dual_ashrrev_i32 v3, 31, v2
	v_subrev_nc_u32_e32 v6, s47, v4
	s_delay_alu instid0(VALU_DEP_1) | instskip(NEXT) | instid1(VALU_DEP_3)
	v_dual_cndmask_b32 v6, v4, v6 :: v_dual_add_nc_u32 v7, 1, v5
	v_xor_b32_e32 v4, s51, v3
	s_delay_alu instid0(VALU_DEP_2) | instskip(NEXT) | instid1(VALU_DEP_3)
	v_cmp_le_u32_e32 vcc_lo, s47, v6
	v_cndmask_b32_e32 v5, v5, v7, vcc_lo
	v_mul_u64_e32 v[6:7], s[38:39], v[0:1]
	s_delay_alu instid0(VALU_DEP_2) | instskip(NEXT) | instid1(VALU_DEP_1)
	v_xor_b32_e32 v5, v5, v4
	v_dual_lshlrev_b32 v6, 1, v5 :: v_dual_lshlrev_b32 v8, 1, v4
	s_delay_alu instid0(VALU_DEP_1) | instskip(NEXT) | instid1(VALU_DEP_1)
	v_sub_nc_u32_e32 v6, v6, v8
	v_dual_add_nc_u32 v6, 2, v6 :: v_dual_bitop2_b32 v8, 1, v6 bitop3:0x54
	v_sub_nc_u32_e32 v10, v5, v4
	s_delay_alu instid0(VALU_DEP_2) | instskip(NEXT) | instid1(VALU_DEP_2)
	v_mul_lo_u32 v27, s4, v6
	v_mul_lo_u32 v11, s61, v10
	s_delay_alu instid0(VALU_DEP_1) | instskip(NEXT) | instid1(VALU_DEP_1)
	v_add_nc_u32_e32 v6, v2, v11
	v_ashrrev_i32_e32 v28, 31, v6
	v_mul_lo_u32 v26, s4, v8
	v_add_nc_u32_e32 v8, v2, v27
	s_delay_alu instid0(VALU_DEP_3) | instskip(NEXT) | instid1(VALU_DEP_2)
	v_add3_u32 v12, v28, v11, v2
	v_ashrrev_i32_e32 v30, 31, v8
	s_delay_alu instid0(VALU_DEP_2) | instskip(NEXT) | instid1(VALU_DEP_2)
	v_dual_add_nc_u32 v6, v2, v26 :: v_dual_bitop2_b32 v8, v12, v28 bitop3:0x14
	v_add3_u32 v14, v30, v27, v2
	s_delay_alu instid0(VALU_DEP_2) | instskip(SKIP_1) | instid1(VALU_DEP_4)
	v_mul_u64_e32 v[16:17], s[34:35], v[8:9]
	v_mul_u64_e32 v[18:19], s[36:37], v[8:9]
	v_ashrrev_i32_e32 v29, 31, v6
	v_mul_lo_u32 v6, v7, s54
	v_xor_b32_e32 v14, v14, v30
	s_delay_alu instid0(VALU_DEP_3) | instskip(NEXT) | instid1(VALU_DEP_1)
	v_add3_u32 v12, v29, v26, v2
	v_dual_mov_b32 v15, v1 :: v_dual_bitop2_b32 v12, v12, v29 bitop3:0x14
	s_delay_alu instid0(VALU_DEP_4) | instskip(NEXT) | instid1(VALU_DEP_2)
	v_dual_sub_nc_u32 v9, v0, v6 :: v_dual_add_nc_u32 v6, 1, v7
	v_mul_u64_e32 v[22:23], s[34:35], v[14:15]
	s_delay_alu instid0(VALU_DEP_3) | instskip(SKIP_1) | instid1(VALU_DEP_4)
	v_mul_u64_e32 v[20:21], s[34:35], v[12:13]
	v_mul_u64_e32 v[24:25], s[36:37], v[12:13]
	v_cmp_le_u32_e32 vcc_lo, s54, v9
	v_xor_b32_e32 v24, s56, v30
	v_cndmask_b32_e32 v13, v7, v6, vcc_lo
	v_mul_u64_e32 v[6:7], s[36:37], v[14:15]
	v_subrev_nc_u32_e32 v16, s54, v9
	s_delay_alu instid0(VALU_DEP_1) | instskip(SKIP_3) | instid1(VALU_DEP_4)
	v_dual_cndmask_b32 v6, v9, v16 :: v_dual_add_nc_u32 v9, 1, v13
	v_mul_lo_u32 v20, v17, s48
	v_xor_b32_e32 v18, s53, v30
	v_xor_b32_e32 v16, s53, v29
	v_cmp_le_u32_e32 vcc_lo, s54, v6
	v_xor_b32_e32 v15, s58, v3
	v_dual_add_nc_u32 v30, 1, v19 :: v_dual_cndmask_b32 v6, v13, v9, vcc_lo
	v_xor_b32_e32 v9, s53, v28
	v_xor_b32_e32 v13, s56, v28
	v_mul_lo_u32 v28, v19, s52
	s_delay_alu instid0(VALU_DEP_4)
	v_dual_sub_nc_u32 v20, v8, v20 :: v_dual_bitop2_b32 v6, v6, v15 bitop3:0x14
	v_xor_b32_e32 v22, s56, v29
	v_mul_lo_u32 v33, v23, s48
	v_mul_lo_u32 v31, v21, s48
	v_add_nc_u32_e32 v29, 1, v17
	v_subrev_nc_u32_e32 v38, s48, v20
	v_cmp_le_u32_e32 vcc_lo, s48, v20
	v_mul_lo_u32 v35, v25, s52
	v_dual_add_nc_u32 v32, 1, v21 :: v_dual_sub_nc_u32 v8, v8, v28
	v_add_nc_u32_e32 v34, 1, v23
	v_mul_lo_u32 v37, v7, s52
	v_dual_cndmask_b32 v17, v17, v29 :: v_dual_add_nc_u32 v28, 1, v7
	s_delay_alu instid0(VALU_DEP_4) | instskip(SKIP_2) | instid1(VALU_DEP_3)
	v_cmp_le_u32_e64 s0, s52, v8
	v_dual_cndmask_b32 v20, v20, v38 :: v_dual_sub_nc_u32 v33, v14, v33
	v_subrev_nc_u32_e32 v29, s52, v8
	v_dual_sub_nc_u32 v31, v12, v31 :: v_dual_cndmask_b32 v19, v19, v30, s0
	v_add_nc_u32_e32 v30, 1, v17
	s_delay_alu instid0(VALU_DEP_4) | instskip(NEXT) | instid1(VALU_DEP_4)
	v_cmp_le_u32_e32 vcc_lo, s48, v20
	v_cndmask_b32_e64 v8, v8, v29, s0
	v_dual_sub_nc_u32 v12, v12, v35 :: v_dual_sub_nc_u32 v14, v14, v37
	s_delay_alu instid0(VALU_DEP_4)
	v_dual_add_nc_u32 v29, 1, v19 :: v_dual_cndmask_b32 v17, v17, v30, vcc_lo
	v_cmp_le_u32_e32 vcc_lo, s48, v31
	v_cmp_le_u32_e64 s0, s48, v33
	v_cmp_le_u32_e64 s1, s52, v8
	v_add_nc_u32_e32 v36, 1, v25
	v_subrev_nc_u32_e32 v30, s48, v33
	s_delay_alu instid0(VALU_DEP_4)
	v_dual_cndmask_b32 v20, v21, v32, vcc_lo :: v_dual_cndmask_b32 v23, v23, v34, s0
	v_subrev_nc_u32_e32 v21, s48, v31
	v_cndmask_b32_e64 v8, v19, v29, s1
	v_cmp_le_u32_e64 s1, s52, v12
	v_cmp_le_u32_e64 s2, s52, v14
	v_xor_b32_e32 v17, v17, v9
	v_dual_cndmask_b32 v21, v31, v21, vcc_lo :: v_dual_add_nc_u32 v29, 1, v20
	s_delay_alu instid0(VALU_DEP_4)
	v_cndmask_b32_e64 v19, v25, v36, s1
	v_subrev_nc_u32_e32 v25, s52, v12
	v_cndmask_b32_e64 v7, v7, v28, s2
	v_subrev_nc_u32_e32 v28, s52, v14
	v_dual_cndmask_b32 v30, v33, v30, s0 :: v_dual_add_nc_u32 v31, 1, v23
	v_cmp_le_u32_e32 vcc_lo, s48, v21
	s_delay_alu instid0(VALU_DEP_3)
	v_dual_cndmask_b32 v12, v12, v25, s1 :: v_dual_cndmask_b32 v14, v14, v28, s2
	v_dual_add_nc_u32 v28, 1, v7 :: v_dual_sub_nc_u32 v9, v17, v9
	v_cndmask_b32_e32 v17, v20, v29, vcc_lo
	v_cmp_le_u32_e32 vcc_lo, s48, v30
	v_dual_add_nc_u32 v25, 1, v19 :: v_dual_bitop2_b32 v8, v8, v13 bitop3:0x14
	v_sub_nc_u32_e32 v6, v6, v15
	v_cndmask_b32_e32 v20, v23, v31, vcc_lo
	v_cmp_le_u32_e32 vcc_lo, s52, v12
	s_delay_alu instid0(VALU_DEP_4)
	v_cndmask_b32_e32 v12, v19, v25, vcc_lo
	v_cmp_le_u32_e32 vcc_lo, s52, v14
	v_dual_sub_nc_u32 v8, v8, v13 :: v_dual_bitop2_b32 v13, v17, v16 bitop3:0x14
	v_xor_b32_e32 v14, v20, v18
	v_mul_lo_u32 v17, v9, s3
	v_cndmask_b32_e32 v7, v7, v28, vcc_lo
	s_and_not1_b32 vcc_lo, exec_lo, s46
	s_delay_alu instid0(VALU_DEP_3) | instskip(SKIP_1) | instid1(VALU_DEP_3)
	v_dual_sub_nc_u32 v13, v13, v16 :: v_dual_sub_nc_u32 v14, v14, v18
	v_mul_lo_u32 v16, v8, s33
	v_xor_b32_e32 v7, v7, v24
	v_xor_b32_e32 v12, v12, v22
	s_delay_alu instid0(VALU_DEP_4) | instskip(SKIP_1) | instid1(VALU_DEP_3)
	v_mul_lo_u32 v18, v13, s3
	v_mul_lo_u32 v19, v14, s3
	v_dual_sub_nc_u32 v7, v7, v24 :: v_dual_sub_nc_u32 v12, v12, v22
	v_dual_sub_nc_u32 v17, v11, v17 :: v_dual_sub_nc_u32 v11, v11, v16
	s_delay_alu instid0(VALU_DEP_2) | instskip(NEXT) | instid1(VALU_DEP_3)
	v_mul_lo_u32 v15, v12, s33
	v_mul_lo_u32 v20, v7, s33
	v_sub_nc_u32_e32 v18, v26, v18
	s_delay_alu instid0(VALU_DEP_4) | instskip(SKIP_2) | instid1(VALU_DEP_3)
	v_dual_add_nc_u32 v17, v2, v17 :: v_dual_sub_nc_u32 v19, v27, v19
	v_mad_u32 v16, s64, v6, v2
	v_add_nc_u32_e32 v11, v2, v11
	v_mul_lo_u32 v17, v17, s13
	s_delay_alu instid0(VALU_DEP_4) | instskip(SKIP_2) | instid1(VALU_DEP_3)
	v_add_nc_u32_e32 v19, v2, v19
	v_dual_sub_nc_u32 v15, v26, v15 :: v_dual_sub_nc_u32 v20, v27, v20
	v_add_nc_u32_e32 v18, v2, v18
	v_mul_lo_u32 v19, v19, s13
	v_mul_lo_u32 v11, v11, s17
	s_delay_alu instid0(VALU_DEP_4) | instskip(NEXT) | instid1(VALU_DEP_4)
	v_dual_add_nc_u32 v15, v2, v15 :: v_dual_add_nc_u32 v20, v2, v20
	v_mul_lo_u32 v18, v18, s13
	v_mul_lo_u32 v16, v16, s23
	v_mad_u32 v9, v9, s12, v17
	s_delay_alu instid0(VALU_DEP_4)
	v_mul_lo_u32 v15, v15, s17
	v_mul_lo_u32 v20, v20, s17
	v_mov_b32_e32 v17, v1
	v_mad_u32 v14, v14, s12, v19
	v_mad_u32 v11, v8, s16, v11
	v_mov_b32_e32 v19, v1
	v_mad_u32 v13, v13, s12, v18
	v_mad_u32 v6, v6, s22, v16
	;; [unrolled: 3-line block ×3, first 2 shown]
	s_clause 0x2
	global_load_u16 v9, v9, s[10:11] scale_offset
	global_load_u16 v12, v13, s[10:11] scale_offset
	;; [unrolled: 1-line block ×3, first 2 shown]
	s_clause 0x2
	global_load_u16 v16, v11, s[14:15] scale_offset
	global_load_u16 v13, v15, s[14:15] scale_offset
	;; [unrolled: 1-line block ×4, first 2 shown]
	s_wait_xcnt 0x3
	v_dual_mov_b32 v11, v1 :: v_dual_mov_b32 v14, v1
	s_wait_xcnt 0x2
	v_mov_b32_e32 v15, v1
	s_cbranch_vccnz .LBB41_5
; %bb.4:                                ;   in Loop: Header=BB41_3 Depth=1
	v_sub_nc_u32_e32 v11, v4, v5
	v_mad_u32 v15, s63, v10, v2
	s_delay_alu instid0(VALU_DEP_2) | instskip(SKIP_1) | instid1(VALU_DEP_1)
	v_mul_lo_u32 v14, s4, v11
	v_add_nc_u32_e32 v11, 2, v11
	v_mad_u32 v11, s4, v11, v2
	s_delay_alu instid0(VALU_DEP_4) | instskip(SKIP_2) | instid1(VALU_DEP_1)
	v_mul_lo_u32 v17, v15, s44
	v_mul_lo_u32 v15, v15, s45
	v_add3_u32 v14, v14, s4, v2
	v_mul_lo_u32 v18, v14, s44
	v_mul_lo_u32 v14, v14, s45
	v_mul_lo_u32 v19, v11, s44
	v_mul_lo_u32 v11, v11, s45
	global_load_u16 v17, v17, s[8:9] scale_offset
	global_load_u16 v15, v15, s[18:19] scale_offset
	;; [unrolled: 1-line block ×6, first 2 shown]
	s_wait_loadcnt 0x5
	s_wait_xcnt 0x1
	v_cvt_f32_f16_e32 v19, v17
	s_wait_loadcnt 0x4
	v_cvt_f32_f16_e32 v18, v15
	s_wait_loadcnt 0x3
	;; [unrolled: 2-line block ×5, first 2 shown]
	s_wait_xcnt 0x0
	v_cvt_f32_f16_e32 v11, v11
.LBB41_5:                               ;   in Loop: Header=BB41_3 Depth=1
	s_wait_loadcnt 0x6
	v_cvt_f32_f16_e32 v9, v9
	s_wait_loadcnt 0x3
	v_cvt_f32_f16_e32 v16, v16
	v_cvt_f32_f16_e32 v8, v8
	s_wait_loadcnt 0x1
	s_wait_xcnt 0x1
	v_cvt_f32_f16_e32 v7, v7
	s_delay_alu instid0(VALU_DEP_1) | instskip(NEXT) | instid1(VALU_DEP_1)
	v_dual_add_f32 v9, v9, v16 :: v_dual_add_f32 v7, v11, v7
                                        ; implicit-def: $vgpr11
	v_add_f32_e32 v9, v9, v19
	s_delay_alu instid0(VALU_DEP_1) | instskip(NEXT) | instid1(VALU_DEP_1)
	v_add_f32_e32 v9, v18, v9
	v_mul_f32_e32 v16, 0xbfb8aa3b, v9
	v_cmp_nlt_f32_e32 vcc_lo, 0x42ce8ed0, v9
	s_delay_alu instid0(VALU_DEP_2) | instskip(SKIP_1) | instid1(VALU_DEP_2)
	v_fma_f32 v18, 0xbfb8aa3b, v9, -v16
	v_rndne_f32_e32 v19, v16
	v_fmac_f32_e32 v18, 0xb2a5705f, v9
	s_delay_alu instid0(VALU_DEP_2) | instskip(NEXT) | instid1(VALU_DEP_1)
	v_sub_f32_e32 v16, v16, v19
	v_add_f32_e32 v16, v16, v18
	v_cvt_i32_f32_e32 v18, v19
	s_delay_alu instid0(VALU_DEP_2) | instskip(SKIP_1) | instid1(TRANS32_DEP_1)
	v_exp_f32_e32 v16, v16
	v_nop
	v_ldexp_f32 v16, v16, v18
	s_delay_alu instid0(VALU_DEP_1) | instskip(SKIP_1) | instid1(VALU_DEP_2)
	v_cndmask_b32_e32 v16, 0, v16, vcc_lo
	v_cmp_ngt_f32_e32 vcc_lo, 0xc2b17218, v9
	v_cndmask_b32_e32 v9, 0x7f800000, v16, vcc_lo
	s_delay_alu instid0(VALU_DEP_1) | instskip(NEXT) | instid1(VALU_DEP_1)
	v_add_f32_e32 v16, 1.0, v9
	v_div_scale_f32 v9, null, v16, v16, 1.0
	v_div_scale_f32 v20, vcc_lo, 1.0, v16, 1.0
	s_delay_alu instid0(VALU_DEP_2) | instskip(SKIP_1) | instid1(TRANS32_DEP_1)
	v_rcp_f32_e32 v18, v9
	v_nop
	v_fma_f32 v19, -v9, v18, 1.0
	s_delay_alu instid0(VALU_DEP_1) | instskip(NEXT) | instid1(VALU_DEP_1)
	v_fmac_f32_e32 v18, v19, v18
	v_mul_f32_e32 v19, v20, v18
	s_delay_alu instid0(VALU_DEP_1) | instskip(NEXT) | instid1(VALU_DEP_1)
	v_fma_f32 v21, -v9, v19, v20
	v_fmac_f32_e32 v19, v21, v18
	s_delay_alu instid0(VALU_DEP_1) | instskip(NEXT) | instid1(VALU_DEP_1)
	v_fma_f32 v9, -v9, v19, v20
	v_div_fmas_f32 v18, v9, v18, v19
	v_add_f32_e32 v9, v17, v8
	s_delay_alu instid0(VALU_DEP_2) | instskip(NEXT) | instid1(VALU_DEP_1)
	v_div_fixup_f32 v8, v18, v16, 1.0
	v_fmac_f32_e32 v9, v7, v8
	s_delay_alu instid0(VALU_DEP_1) | instskip(SKIP_2) | instid1(SALU_CYCLE_1)
	v_cmp_ngt_f32_e64 s0, 0x3f200000, |v9|
	s_wait_xcnt 0x0
	s_and_saveexec_b32 s1, s0
	s_xor_b32 s0, exec_lo, s1
	s_cbranch_execz .LBB41_7
; %bb.6:                                ;   in Loop: Header=BB41_3 Depth=1
	v_add_f32_e64 v11, |v9|, |v9|
	s_delay_alu instid0(VALU_DEP_1) | instskip(SKIP_1) | instid1(VALU_DEP_2)
	v_mul_f32_e32 v16, 0x3fb8aa3b, v11
	v_cmp_ngt_f32_e32 vcc_lo, 0xc2ce8ed0, v11
	v_rndne_f32_e32 v17, v16
	v_fma_f32 v18, 0x3fb8aa3b, v11, -v16
	s_delay_alu instid0(VALU_DEP_2) | instskip(NEXT) | instid1(VALU_DEP_2)
	v_sub_f32_e32 v16, v16, v17
	v_fmac_f32_e32 v18, 0x32a5705f, v11
	v_cvt_i32_f32_e32 v17, v17
	s_delay_alu instid0(VALU_DEP_2) | instskip(NEXT) | instid1(VALU_DEP_1)
	v_add_f32_e32 v16, v16, v18
	v_exp_f32_e32 v16, v16
	v_nop
	s_delay_alu instid0(TRANS32_DEP_1) | instskip(NEXT) | instid1(VALU_DEP_1)
	v_ldexp_f32 v16, v16, v17
	v_cndmask_b32_e32 v16, 0, v16, vcc_lo
	v_cmp_nlt_f32_e32 vcc_lo, 0x42b17218, v11
	s_delay_alu instid0(VALU_DEP_2) | instskip(NEXT) | instid1(VALU_DEP_1)
	v_cndmask_b32_e32 v11, 0x7f800000, v16, vcc_lo
	v_add_f32_e32 v11, 1.0, v11
	s_delay_alu instid0(VALU_DEP_1) | instskip(SKIP_1) | instid1(TRANS32_DEP_1)
	v_rcp_f32_e32 v11, v11
	v_nop
	v_fma_f32 v11, v11, -2.0, 1.0
.LBB41_7:                               ;   in Loop: Header=BB41_3 Depth=1
	s_and_not1_saveexec_b32 s0, s0
	s_cbranch_execz .LBB41_2
; %bb.8:                                ;   in Loop: Header=BB41_3 Depth=1
	v_mul_f32_e32 v11, v9, v9
	s_delay_alu instid0(VALU_DEP_1) | instskip(NEXT) | instid1(VALU_DEP_1)
	v_fmaak_f32 v16, s66, v11, 0x3ca908c9
	v_fmaak_f32 v16, v11, v16, 0xbd5c1c4e
	s_delay_alu instid0(VALU_DEP_1) | instskip(NEXT) | instid1(VALU_DEP_1)
	v_fmaak_f32 v16, v11, v16, 0x3e088382
	v_fmaak_f32 v16, v11, v16, 0xbeaaaa99
	s_delay_alu instid0(VALU_DEP_1) | instskip(NEXT) | instid1(VALU_DEP_1)
	v_mul_f32_e64 v16, |v9|, v16
	v_fma_f32 v11, v11, v16, |v9|
	s_branch .LBB41_2
.LBB41_9:
	s_endpgm
	.section	.rodata,"a",@progbits
	.p2align	6, 0x0
	.amdhsa_kernel _ZN2at6native12_GLOBAL__N_16kernel16gru_cell_forwardIN3c104HalfEfiLi2EEEvNS_4cuda6detail10TensorInfoIT_T1_EESB_SB_SB_SB_SB_SB_SA_SA_
		.amdhsa_group_segment_fixed_size 0
		.amdhsa_private_segment_fixed_size 0
		.amdhsa_kernarg_size 1776
		.amdhsa_user_sgpr_count 2
		.amdhsa_user_sgpr_dispatch_ptr 0
		.amdhsa_user_sgpr_queue_ptr 0
		.amdhsa_user_sgpr_kernarg_segment_ptr 1
		.amdhsa_user_sgpr_dispatch_id 0
		.amdhsa_user_sgpr_kernarg_preload_length 0
		.amdhsa_user_sgpr_kernarg_preload_offset 0
		.amdhsa_user_sgpr_private_segment_size 0
		.amdhsa_wavefront_size32 1
		.amdhsa_uses_dynamic_stack 0
		.amdhsa_enable_private_segment 0
		.amdhsa_system_sgpr_workgroup_id_x 1
		.amdhsa_system_sgpr_workgroup_id_y 0
		.amdhsa_system_sgpr_workgroup_id_z 0
		.amdhsa_system_sgpr_workgroup_info 0
		.amdhsa_system_vgpr_workitem_id 0
		.amdhsa_next_free_vgpr 39
		.amdhsa_next_free_sgpr 68
		.amdhsa_named_barrier_count 0
		.amdhsa_reserve_vcc 1
		.amdhsa_float_round_mode_32 0
		.amdhsa_float_round_mode_16_64 0
		.amdhsa_float_denorm_mode_32 3
		.amdhsa_float_denorm_mode_16_64 3
		.amdhsa_fp16_overflow 0
		.amdhsa_memory_ordered 1
		.amdhsa_forward_progress 1
		.amdhsa_inst_pref_size 32
		.amdhsa_round_robin_scheduling 0
		.amdhsa_exception_fp_ieee_invalid_op 0
		.amdhsa_exception_fp_denorm_src 0
		.amdhsa_exception_fp_ieee_div_zero 0
		.amdhsa_exception_fp_ieee_overflow 0
		.amdhsa_exception_fp_ieee_underflow 0
		.amdhsa_exception_fp_ieee_inexact 0
		.amdhsa_exception_int_div_zero 0
	.end_amdhsa_kernel
	.section	.text._ZN2at6native12_GLOBAL__N_16kernel16gru_cell_forwardIN3c104HalfEfiLi2EEEvNS_4cuda6detail10TensorInfoIT_T1_EESB_SB_SB_SB_SB_SB_SA_SA_,"axG",@progbits,_ZN2at6native12_GLOBAL__N_16kernel16gru_cell_forwardIN3c104HalfEfiLi2EEEvNS_4cuda6detail10TensorInfoIT_T1_EESB_SB_SB_SB_SB_SB_SA_SA_,comdat
.Lfunc_end41:
	.size	_ZN2at6native12_GLOBAL__N_16kernel16gru_cell_forwardIN3c104HalfEfiLi2EEEvNS_4cuda6detail10TensorInfoIT_T1_EESB_SB_SB_SB_SB_SB_SA_SA_, .Lfunc_end41-_ZN2at6native12_GLOBAL__N_16kernel16gru_cell_forwardIN3c104HalfEfiLi2EEEvNS_4cuda6detail10TensorInfoIT_T1_EESB_SB_SB_SB_SB_SB_SA_SA_
                                        ; -- End function
	.set _ZN2at6native12_GLOBAL__N_16kernel16gru_cell_forwardIN3c104HalfEfiLi2EEEvNS_4cuda6detail10TensorInfoIT_T1_EESB_SB_SB_SB_SB_SB_SA_SA_.num_vgpr, 39
	.set _ZN2at6native12_GLOBAL__N_16kernel16gru_cell_forwardIN3c104HalfEfiLi2EEEvNS_4cuda6detail10TensorInfoIT_T1_EESB_SB_SB_SB_SB_SB_SA_SA_.num_agpr, 0
	.set _ZN2at6native12_GLOBAL__N_16kernel16gru_cell_forwardIN3c104HalfEfiLi2EEEvNS_4cuda6detail10TensorInfoIT_T1_EESB_SB_SB_SB_SB_SB_SA_SA_.numbered_sgpr, 68
	.set _ZN2at6native12_GLOBAL__N_16kernel16gru_cell_forwardIN3c104HalfEfiLi2EEEvNS_4cuda6detail10TensorInfoIT_T1_EESB_SB_SB_SB_SB_SB_SA_SA_.num_named_barrier, 0
	.set _ZN2at6native12_GLOBAL__N_16kernel16gru_cell_forwardIN3c104HalfEfiLi2EEEvNS_4cuda6detail10TensorInfoIT_T1_EESB_SB_SB_SB_SB_SB_SA_SA_.private_seg_size, 0
	.set _ZN2at6native12_GLOBAL__N_16kernel16gru_cell_forwardIN3c104HalfEfiLi2EEEvNS_4cuda6detail10TensorInfoIT_T1_EESB_SB_SB_SB_SB_SB_SA_SA_.uses_vcc, 1
	.set _ZN2at6native12_GLOBAL__N_16kernel16gru_cell_forwardIN3c104HalfEfiLi2EEEvNS_4cuda6detail10TensorInfoIT_T1_EESB_SB_SB_SB_SB_SB_SA_SA_.uses_flat_scratch, 0
	.set _ZN2at6native12_GLOBAL__N_16kernel16gru_cell_forwardIN3c104HalfEfiLi2EEEvNS_4cuda6detail10TensorInfoIT_T1_EESB_SB_SB_SB_SB_SB_SA_SA_.has_dyn_sized_stack, 0
	.set _ZN2at6native12_GLOBAL__N_16kernel16gru_cell_forwardIN3c104HalfEfiLi2EEEvNS_4cuda6detail10TensorInfoIT_T1_EESB_SB_SB_SB_SB_SB_SA_SA_.has_recursion, 0
	.set _ZN2at6native12_GLOBAL__N_16kernel16gru_cell_forwardIN3c104HalfEfiLi2EEEvNS_4cuda6detail10TensorInfoIT_T1_EESB_SB_SB_SB_SB_SB_SA_SA_.has_indirect_call, 0
	.section	.AMDGPU.csdata,"",@progbits
; Kernel info:
; codeLenInByte = 3988
; TotalNumSgprs: 70
; NumVgprs: 39
; ScratchSize: 0
; MemoryBound: 0
; FloatMode: 240
; IeeeMode: 1
; LDSByteSize: 0 bytes/workgroup (compile time only)
; SGPRBlocks: 0
; VGPRBlocks: 2
; NumSGPRsForWavesPerEU: 70
; NumVGPRsForWavesPerEU: 39
; NamedBarCnt: 0
; Occupancy: 16
; WaveLimiterHint : 1
; COMPUTE_PGM_RSRC2:SCRATCH_EN: 0
; COMPUTE_PGM_RSRC2:USER_SGPR: 2
; COMPUTE_PGM_RSRC2:TRAP_HANDLER: 0
; COMPUTE_PGM_RSRC2:TGID_X_EN: 1
; COMPUTE_PGM_RSRC2:TGID_Y_EN: 0
; COMPUTE_PGM_RSRC2:TGID_Z_EN: 0
; COMPUTE_PGM_RSRC2:TIDIG_COMP_CNT: 0
	.section	.text._ZN2at6native12_GLOBAL__N_16kernel16gru_cell_forwardIN3c104HalfEflLi1EEEvNS_4cuda6detail10TensorInfoIT_T1_EESB_SB_SB_SB_SB_SB_SA_SA_,"axG",@progbits,_ZN2at6native12_GLOBAL__N_16kernel16gru_cell_forwardIN3c104HalfEflLi1EEEvNS_4cuda6detail10TensorInfoIT_T1_EESB_SB_SB_SB_SB_SB_SA_SA_,comdat
	.globl	_ZN2at6native12_GLOBAL__N_16kernel16gru_cell_forwardIN3c104HalfEflLi1EEEvNS_4cuda6detail10TensorInfoIT_T1_EESB_SB_SB_SB_SB_SB_SA_SA_ ; -- Begin function _ZN2at6native12_GLOBAL__N_16kernel16gru_cell_forwardIN3c104HalfEflLi1EEEvNS_4cuda6detail10TensorInfoIT_T1_EESB_SB_SB_SB_SB_SB_SA_SA_
	.p2align	8
	.type	_ZN2at6native12_GLOBAL__N_16kernel16gru_cell_forwardIN3c104HalfEflLi1EEEvNS_4cuda6detail10TensorInfoIT_T1_EESB_SB_SB_SB_SB_SB_SA_SA_,@function
_ZN2at6native12_GLOBAL__N_16kernel16gru_cell_forwardIN3c104HalfEflLi1EEEvNS_4cuda6detail10TensorInfoIT_T1_EESB_SB_SB_SB_SB_SB_SA_SA_: ; @_ZN2at6native12_GLOBAL__N_16kernel16gru_cell_forwardIN3c104HalfEflLi1EEEvNS_4cuda6detail10TensorInfoIT_T1_EESB_SB_SB_SB_SB_SB_SA_SA_
; %bb.0:
	s_clause 0x1
	s_load_b32 s2, s[0:1], 0xb7c
	s_load_b128 s[4:7], s[0:1], 0xb60
	s_bfe_u32 s3, ttmp6, 0x4000c
	s_and_b32 s8, ttmp6, 15
	s_add_co_i32 s3, s3, 1
	s_getreg_b32 s9, hwreg(HW_REG_IB_STS2, 6, 4)
	s_mul_i32 s3, ttmp9, s3
	v_mov_b32_e32 v2, 0
	s_add_co_i32 s8, s8, s3
	s_delay_alu instid0(VALU_DEP_1)
	v_mov_b32_e32 v1, v2
	s_wait_kmcnt 0x0
	s_and_b32 s2, s2, 0xffff
	s_cmp_eq_u32 s9, 0
	s_cselect_b32 s3, ttmp9, s8
	s_mov_b32 s8, exec_lo
	v_mad_u32 v0, s3, s2, v0
	s_mov_b32 s3, 0
	s_delay_alu instid0(VALU_DEP_1)
	v_cmpx_gt_i64_e64 s[6:7], v[0:1]
	s_cbranch_execz .LBB42_14
; %bb.1:
	s_clause 0x2
	s_load_b64 s[40:41], s[0:1], 0x750
	s_load_b64 s[42:43], s[0:1], 0x8f0
	;; [unrolled: 1-line block ×3, first 2 shown]
	v_cvt_f32_u32_e32 v3, s4
	s_add_nc_u64 s[16:17], s[0:1], 0xb70
	s_clause 0x2
	s_load_b64 s[10:11], s[0:1], 0x410
	s_load_b64 s[12:13], s[0:1], 0x4e0
	;; [unrolled: 1-line block ×3, first 2 shown]
	s_load_b32 s28, s[16:17], 0x0
	s_load_b64 s[44:45], s[0:1], 0x820
	v_rcp_iflag_f32_e32 v3, v3
	s_mov_b32 s29, s3
	s_sub_nc_u64 s[30:31], 0, s[4:5]
	s_mov_b64 s[34:35], 0xffffffff
	s_mov_b32 s48, 0
	v_nop
	s_delay_alu instid0(TRANS32_DEP_1) | instskip(NEXT) | instid1(VALU_DEP_1)
	v_mul_f32_e32 v3, 0x4f7ffffe, v3
	v_cvt_u32_f32_e32 v3, v3
	s_wait_kmcnt 0x0
	v_mul_u64_e32 v[4:5], s[40:41], v[0:1]
	v_mul_u64_e32 v[6:7], s[42:43], v[0:1]
	s_cmp_lg_u64 s[8:9], 0
	s_cselect_b32 s33, -1, 0
	s_sub_co_i32 s16, 0, s4
	s_mul_i32 s28, s28, s2
	v_mul_lo_u32 v8, s16, v3
	s_clause 0x6
	s_load_b64 s[46:47], s[0:1], 0x680
	s_load_b64 s[16:17], s[0:1], 0x0
	;; [unrolled: 1-line block ×7, first 2 shown]
	s_wait_xcnt 0x0
	s_mul_u64 s[0:1], s[28:29], s[40:41]
	s_mul_u64 s[42:43], s[28:29], s[42:43]
	s_lshl_b64 s[36:37], s[4:5], 1
	s_lshl_b64 s[38:39], s[4:5], 2
	s_lshl_b64 s[40:41], s[0:1], 1
	s_lshl_b64 s[42:43], s[42:43], 1
	s_mov_b32 s1, 0xbbbac73d
	v_mul_hi_u32 v8, v3, v8
	s_delay_alu instid0(VALU_DEP_1)
	v_add_nc_u32_e32 v10, v3, v8
	s_wait_kmcnt 0x0
	v_lshl_add_u64 v[4:5], v[4:5], 1, s[46:47]
	v_lshl_add_u64 v[6:7], v[6:7], 1, s[44:45]
	s_ashr_i32 s44, s5, 31
	s_branch .LBB42_3
.LBB42_2:                               ;   in Loop: Header=BB42_3 Depth=1
	s_or_b32 exec_lo, exec_lo, s0
	v_cvt_f32_f16_e32 v11, v11
	v_cvt_f32_f16_e32 v12, v12
	v_mad_nc_u64_u32 v[20:21], s38, v8, v[0:1]
	v_bfi_b32 v15, 0x7fffffff, v16, v15
	s_wait_loadcnt 0x0
	v_cvt_f32_f16_e32 v16, v3
	v_add_nc_u64_e32 v[4:5], s[40:41], v[4:5]
	v_add_f32_e32 v11, v11, v12
	s_delay_alu instid0(VALU_DEP_1) | instskip(NEXT) | instid1(VALU_DEP_1)
	v_add_f32_e32 v11, v11, v18
	v_add_f32_e32 v11, v17, v11
	s_delay_alu instid0(VALU_DEP_1) | instskip(SKIP_1) | instid1(VALU_DEP_2)
	v_mul_f32_e32 v12, 0xbfb8aa3b, v11
	v_cmp_nlt_f32_e32 vcc_lo, 0x42ce8ed0, v11
	v_fma_f32 v17, 0xbfb8aa3b, v11, -v12
	v_rndne_f32_e32 v18, v12
	s_delay_alu instid0(VALU_DEP_1) | instskip(NEXT) | instid1(VALU_DEP_1)
	v_dual_fmac_f32 v17, 0xb2a5705f, v11 :: v_dual_sub_f32 v12, v12, v18
	v_add_f32_e32 v12, v12, v17
	v_cvt_i32_f32_e32 v17, v18
	v_lshlrev_b64_e32 v[18:19], 2, v[8:9]
	v_mad_u32 v8, s39, v8, v21
	s_delay_alu instid0(VALU_DEP_4) | instskip(NEXT) | instid1(VALU_DEP_2)
	v_exp_f32_e32 v12, v12
	v_add_nc_u64_e32 v[22:23], 4, v[18:19]
	v_or_b32_e32 v26, 2, v18
	v_or_b32_e32 v28, 3, v18
	s_delay_alu instid0(TRANS32_DEP_1)
	v_ldexp_f32 v12, v12, v17
	v_or_b32_e32 v17, 1, v18
	v_mad_u32 v21, s38, v9, v8
	v_mul_lo_u32 v31, s5, v26
	v_mad_nc_u64_u32 v[24:25], s4, v22, v[0:1]
	v_cndmask_b32_e32 v12, 0, v12, vcc_lo
	v_cmp_ngt_f32_e32 vcc_lo, 0xc2b17218, v11
	v_mul_lo_u32 v30, s5, v17
	v_mad_nc_u64_u32 v[26:27], s4, v26, v[0:1]
	v_mul_lo_u32 v33, s5, v28
	v_mad_nc_u64_u32 v[28:29], s4, v28, v[0:1]
	v_cndmask_b32_e32 v11, 0x7f800000, v12, vcc_lo
	v_mul_lo_u32 v12, s4, v19
	v_mad_nc_u64_u32 v[18:19], s4, v17, v[0:1]
	v_mul_u64_e32 v[20:21], s[26:27], v[20:21]
	v_mad_u32 v22, s5, v22, v25
	v_add_f32_e32 v11, 1.0, v11
	v_add_nc_u64_e32 v[0:1], s[28:29], v[0:1]
	s_delay_alu instid0(VALU_DEP_2) | instskip(SKIP_3) | instid1(VALU_DEP_4)
	v_div_scale_f32 v17, null, v11, v11, 1.0
	v_add3_u32 v27, v31, v27, v12
	v_add3_u32 v19, v30, v19, v12
	v_div_scale_f32 v30, vcc_lo, 1.0, v11, 1.0
	v_rcp_f32_e32 v32, v17
	v_mad_u32 v25, s4, v23, v22
	v_add3_u32 v29, v33, v29, v12
	s_delay_alu instid0(TRANS32_DEP_1) | instskip(NEXT) | instid1(VALU_DEP_2)
	v_fma_f32 v8, -v17, v32, 1.0
	v_mul_u64_e32 v[22:23], s[26:27], v[28:29]
	v_cvt_f16_f32_e32 v28, v15
	s_delay_alu instid0(VALU_DEP_3)
	v_fmac_f32_e32 v32, v8, v32
	v_mul_u64_e32 v[8:9], s[26:27], v[18:19]
	v_mul_u64_e32 v[18:19], s[26:27], v[26:27]
	;; [unrolled: 1-line block ×3, first 2 shown]
	v_cvt_f16_f32_e32 v27, v14
	v_mul_f32_e32 v12, v30, v32
	s_delay_alu instid0(VALU_DEP_1) | instskip(NEXT) | instid1(VALU_DEP_1)
	v_fma_f32 v26, -v17, v12, v30
	v_fmac_f32_e32 v12, v26, v32
	v_cvt_f16_f32_e32 v26, v13
	s_delay_alu instid0(VALU_DEP_2) | instskip(NEXT) | instid1(VALU_DEP_1)
	v_dual_sub_f32 v13, v16, v15 :: v_dual_fma_f32 v17, -v17, v12, v30
	v_div_fmas_f32 v12, v17, v32, v12
	v_cmp_le_i64_e32 vcc_lo, s[6:7], v[0:1]
	v_lshl_add_u64 v[16:17], v[22:23], 1, s[24:25]
	s_delay_alu instid0(VALU_DEP_3) | instskip(SKIP_2) | instid1(VALU_DEP_2)
	v_div_fixup_f32 v11, v12, v11, 1.0
	v_lshl_add_u64 v[8:9], v[8:9], 1, s[24:25]
	s_or_b32 s48, vcc_lo, s48
	v_fma_mixlo_f16 v29, v11, v13, v15
	v_lshl_add_u64 v[12:13], v[20:21], 1, s[24:25]
	global_store_b16 v[6:7], v29, off
	global_store_b16 v[12:13], v26, off
	s_wait_xcnt 0x1
	v_add_nc_u64_e32 v[6:7], s[42:43], v[6:7]
	v_cvt_f16_f32_e32 v11, v11
	v_lshl_add_u64 v[14:15], v[18:19], 1, s[24:25]
	s_wait_xcnt 0x0
	v_lshl_add_u64 v[12:13], v[24:25], 1, s[24:25]
	s_clause 0x3
	global_store_b16 v[8:9], v11, off
	global_store_b16 v[14:15], v28, off
	;; [unrolled: 1-line block ×4, first 2 shown]
	s_wait_xcnt 0x0
	s_and_not1_b32 exec_lo, exec_lo, s48
	s_cbranch_execz .LBB42_14
.LBB42_3:                               ; =>This Inner Loop Header: Depth=1
	v_or_b32_e32 v3, s5, v1
                                        ; implicit-def: $vgpr8_vgpr9
	s_mov_b32 s0, exec_lo
	s_delay_alu instid0(VALU_DEP_1)
	v_cmpx_ne_u64_e32 0, v[2:3]
	s_xor_b32 s49, exec_lo, s0
	s_cbranch_execz .LBB42_5
; %bb.4:                                ;   in Loop: Header=BB42_3 Depth=1
	s_mov_b32 s45, s44
	v_dual_mov_b32 v15, v2 :: v_dual_ashrrev_i32 v8, 31, v1
	s_add_nc_u64 s[46:47], s[4:5], s[44:45]
	v_mov_b32_e32 v19, v2
	s_xor_b64 s[46:47], s[46:47], s[44:45]
	s_delay_alu instid0(VALU_DEP_2)
	v_mov_b32_e32 v9, v8
	s_cvt_f32_u32 s0, s46
	s_cvt_f32_u32 s2, s47
	s_sub_nc_u64 s[52:53], 0, s[46:47]
	v_mov_b32_e32 v23, v2
	v_add_nc_u64_e32 v[12:13], v[0:1], v[8:9]
	s_fmamk_f32 s0, s2, 0x4f800000, s0
	s_delay_alu instid0(SALU_CYCLE_3) | instskip(NEXT) | instid1(VALU_DEP_1)
	v_s_rcp_f32 s0, s0
	v_xor_b32_e32 v14, v12, v8
	s_delay_alu instid0(VALU_DEP_2) | instskip(NEXT) | instid1(TRANS32_DEP_1)
	v_xor_b32_e32 v18, v13, v8
	s_mul_f32 s0, s0, 0x5f7ffffc
	s_delay_alu instid0(SALU_CYCLE_3) | instskip(NEXT) | instid1(SALU_CYCLE_3)
	s_mul_f32 s2, s0, 0x2f800000
	s_trunc_f32 s2, s2
	s_delay_alu instid0(SALU_CYCLE_3) | instskip(SKIP_1) | instid1(SALU_CYCLE_2)
	s_fmamk_f32 s0, s2, 0xcf800000, s0
	s_cvt_u32_f32 s51, s2
	s_cvt_u32_f32 s50, s0
	s_delay_alu instid0(SALU_CYCLE_3) | instskip(NEXT) | instid1(SALU_CYCLE_1)
	s_mul_u64 s[54:55], s[52:53], s[50:51]
	s_mul_hi_u32 s57, s50, s55
	s_mul_i32 s56, s50, s55
	s_mul_hi_u32 s2, s50, s54
	s_mul_i32 s45, s51, s54
	s_add_nc_u64 s[56:57], s[2:3], s[56:57]
	s_mul_hi_u32 s0, s51, s54
	s_mul_hi_u32 s58, s51, s55
	s_add_co_u32 s2, s56, s45
	s_add_co_ci_u32 s2, s57, s0
	s_mul_i32 s54, s51, s55
	s_add_co_ci_u32 s55, s58, 0
	s_delay_alu instid0(SALU_CYCLE_1) | instskip(NEXT) | instid1(SALU_CYCLE_1)
	s_add_nc_u64 s[54:55], s[2:3], s[54:55]
	s_add_co_u32 s50, s50, s54
	s_cselect_b32 s0, -1, 0
	s_delay_alu instid0(SALU_CYCLE_1) | instskip(SKIP_1) | instid1(SALU_CYCLE_1)
	s_cmp_lg_u32 s0, 0
	s_add_co_ci_u32 s51, s51, s55
	s_mul_u64 s[52:53], s[52:53], s[50:51]
	s_delay_alu instid0(SALU_CYCLE_1)
	s_mul_hi_u32 s55, s50, s53
	s_mul_i32 s54, s50, s53
	s_mul_hi_u32 s2, s50, s52
	s_mul_i32 s45, s51, s52
	s_add_nc_u64 s[54:55], s[2:3], s[54:55]
	s_mul_hi_u32 s0, s51, s52
	s_mul_hi_u32 s56, s51, s53
	s_add_co_u32 s2, s54, s45
	s_add_co_ci_u32 s2, s55, s0
	s_mul_i32 s52, s51, s53
	s_add_co_ci_u32 s53, s56, 0
	s_delay_alu instid0(SALU_CYCLE_1) | instskip(NEXT) | instid1(SALU_CYCLE_1)
	s_add_nc_u64 s[52:53], s[2:3], s[52:53]
	s_add_co_u32 s0, s50, s52
	s_cselect_b32 s2, -1, 0
	v_mul_hi_u32 v22, v14, s0
	s_cmp_lg_u32 s2, 0
	s_add_co_ci_u32 s2, s51, s53
	s_and_b64 s[50:51], s[0:1], s[34:35]
	v_mul_u64_e32 v[16:17], s[2:3], v[14:15]
	v_mul_u64_e32 v[12:13], s[50:51], v[18:19]
	;; [unrolled: 1-line block ×3, first 2 shown]
	s_delay_alu instid0(VALU_DEP_3) | instskip(NEXT) | instid1(VALU_DEP_1)
	v_add_nc_u64_e32 v[16:17], v[22:23], v[16:17]
	v_add_co_u32 v3, vcc_lo, v16, v12
	s_delay_alu instid0(VALU_DEP_2) | instskip(NEXT) | instid1(VALU_DEP_4)
	v_add_co_ci_u32_e32 v22, vcc_lo, v17, v13, vcc_lo
	v_add_co_ci_u32_e32 v21, vcc_lo, 0, v21, vcc_lo
	s_delay_alu instid0(VALU_DEP_1) | instskip(NEXT) | instid1(VALU_DEP_1)
	v_add_nc_u64_e32 v[12:13], v[22:23], v[20:21]
	v_mul_u64_e32 v[16:17], s[46:47], v[12:13]
	s_delay_alu instid0(VALU_DEP_1) | instskip(NEXT) | instid1(VALU_DEP_2)
	v_sub_nc_u32_e32 v3, v18, v17
	v_sub_co_u32 v9, vcc_lo, v14, v16
	s_delay_alu instid0(VALU_DEP_1) | instskip(NEXT) | instid1(VALU_DEP_3)
	v_sub_co_ci_u32_e64 v18, null, v18, v17, vcc_lo
	v_subrev_co_ci_u32_e64 v3, null, s47, v3, vcc_lo
	s_delay_alu instid0(VALU_DEP_3) | instskip(SKIP_1) | instid1(VALU_DEP_3)
	v_sub_co_u32 v11, s0, v9, s46
	v_add_nc_u64_e32 v[16:17], 1, v[12:13]
	v_subrev_co_ci_u32_e64 v3, null, 0, v3, s0
	s_delay_alu instid0(VALU_DEP_3) | instskip(SKIP_1) | instid1(VALU_DEP_3)
	v_cmp_le_u32_e32 vcc_lo, s46, v11
	v_cndmask_b32_e64 v11, 0, -1, vcc_lo
	v_cmp_le_u32_e32 vcc_lo, s47, v3
	v_cndmask_b32_e64 v14, 0, -1, vcc_lo
	;; [unrolled: 2-line block ×4, first 2 shown]
	v_cmp_eq_u32_e32 vcc_lo, s47, v3
	v_cndmask_b32_e32 v3, v14, v11, vcc_lo
	v_cmp_eq_u32_e32 vcc_lo, s47, v18
	v_add_nc_u64_e32 v[14:15], 2, v[12:13]
	v_cndmask_b32_e32 v9, v19, v9, vcc_lo
	s_delay_alu instid0(VALU_DEP_4) | instskip(NEXT) | instid1(VALU_DEP_3)
	v_cmp_ne_u32_e32 vcc_lo, 0, v3
	v_cndmask_b32_e32 v3, v17, v15, vcc_lo
	s_delay_alu instid0(VALU_DEP_3) | instskip(SKIP_1) | instid1(VALU_DEP_1)
	v_cmp_ne_u32_e64 s0, 0, v9
	v_dual_cndmask_b32 v9, v16, v14, vcc_lo :: v_dual_bitop2_b32 v8, s44, v8 bitop3:0x14
	v_dual_cndmask_b32 v3, v13, v3, s0 :: v_dual_cndmask_b32 v11, v12, v9, s0
	s_delay_alu instid0(VALU_DEP_1) | instskip(NEXT) | instid1(VALU_DEP_2)
	v_dual_mov_b32 v9, v8 :: v_dual_bitop2_b32 v13, v3, v8 bitop3:0x14
	v_xor_b32_e32 v12, v11, v8
	s_delay_alu instid0(VALU_DEP_1)
	v_sub_nc_u64_e32 v[8:9], v[12:13], v[8:9]
.LBB42_5:                               ;   in Loop: Header=BB42_3 Depth=1
	s_and_not1_saveexec_b32 s0, s49
	s_cbranch_execz .LBB42_7
; %bb.6:                                ;   in Loop: Header=BB42_3 Depth=1
	v_mul_hi_u32 v3, v0, v10
	s_delay_alu instid0(VALU_DEP_1) | instskip(NEXT) | instid1(VALU_DEP_1)
	v_mul_lo_u32 v8, v3, s4
	v_dual_add_nc_u32 v9, 1, v3 :: v_dual_sub_nc_u32 v8, v0, v8
	s_delay_alu instid0(VALU_DEP_1) | instskip(SKIP_1) | instid1(VALU_DEP_2)
	v_subrev_nc_u32_e32 v11, s4, v8
	v_cmp_le_u32_e32 vcc_lo, s4, v8
	v_dual_cndmask_b32 v8, v8, v11 :: v_dual_cndmask_b32 v3, v3, v9
	s_delay_alu instid0(VALU_DEP_1) | instskip(NEXT) | instid1(VALU_DEP_2)
	v_cmp_le_u32_e32 vcc_lo, s4, v8
	v_add_nc_u32_e32 v9, 1, v3
	s_delay_alu instid0(VALU_DEP_1)
	v_dual_cndmask_b32 v8, v3, v9 :: v_dual_mov_b32 v9, v2
.LBB42_7:                               ;   in Loop: Header=BB42_3 Depth=1
	s_or_b32 exec_lo, exec_lo, s0
	s_delay_alu instid0(VALU_DEP_1) | instskip(SKIP_2) | instid1(VALU_DEP_2)
	v_lshlrev_b64_e32 v[12:13], 1, v[8:9]
	v_mad_nc_u64_u32 v[16:17], s36, v8, v[0:1]
	s_and_not1_b32 vcc_lo, exec_lo, s33
	v_add_nc_u64_e32 v[14:15], 2, v[12:13]
	v_or_b32_e32 v3, 1, v12
	s_delay_alu instid0(VALU_DEP_3) | instskip(NEXT) | instid1(VALU_DEP_2)
	v_mad_u32 v11, s37, v8, v17
	v_mad_nc_u64_u32 v[18:19], s4, v3, v[0:1]
	s_delay_alu instid0(VALU_DEP_4) | instskip(NEXT) | instid1(VALU_DEP_3)
	v_mad_nc_u64_u32 v[20:21], s4, v14, v[0:1]
	v_mad_u32 v17, s36, v9, v11
	s_delay_alu instid0(VALU_DEP_3) | instskip(NEXT) | instid1(VALU_DEP_3)
	v_mad_u32 v3, s5, v3, v19
	v_mad_u32 v12, s5, v14, v21
	s_delay_alu instid0(VALU_DEP_2) | instskip(NEXT) | instid1(VALU_DEP_2)
	v_mad_u32 v19, s4, v13, v3
	v_mad_u32 v21, s4, v15, v12
	v_mul_u64_e32 v[12:13], s[18:19], v[16:17]
	v_mul_u64_e32 v[14:15], s[22:23], v[16:17]
	s_delay_alu instid0(VALU_DEP_4) | instskip(NEXT) | instid1(VALU_DEP_4)
	v_mul_u64_e32 v[16:17], s[18:19], v[18:19]
	v_mul_u64_e32 v[22:23], s[18:19], v[20:21]
	;; [unrolled: 1-line block ×4, first 2 shown]
	v_lshl_add_u64 v[24:25], v[12:13], 1, s[16:17]
	v_lshl_add_u64 v[26:27], v[14:15], 1, s[20:21]
	v_lshl_add_u64 v[28:29], v[16:17], 1, s[16:17]
	v_lshl_add_u64 v[22:23], v[22:23], 1, s[16:17]
	v_lshl_add_u64 v[18:19], v[18:19], 1, s[20:21]
	v_lshl_add_u64 v[20:21], v[20:21], 1, s[20:21]
	s_clause 0x2
	global_load_u16 v15, v[24:25], off
	global_load_u16 v11, v[28:29], off
	global_load_u16 v14, v[22:23], off
	s_clause 0x2
	global_load_u16 v16, v[26:27], off
	global_load_u16 v12, v[18:19], off
	;; [unrolled: 1-line block ×4, first 2 shown]
	s_cbranch_vccnz .LBB42_9
; %bb.8:                                ;   in Loop: Header=BB42_3 Depth=1
	s_wait_xcnt 0x2
	v_sub_nc_u64_e32 v[18:19], 1, v[8:9]
	s_wait_xcnt 0x1
	v_mad_nc_u64_u32 v[20:21], s30, v8, v[0:1]
	v_sub_nc_u64_e32 v[22:23], 2, v[8:9]
	s_delay_alu instid0(VALU_DEP_3) | instskip(NEXT) | instid1(VALU_DEP_2)
	v_mad_nc_u64_u32 v[24:25], s4, v18, v[0:1]
	v_mad_nc_u64_u32 v[26:27], s4, v22, v[0:1]
	s_delay_alu instid0(VALU_DEP_4) | instskip(NEXT) | instid1(VALU_DEP_3)
	v_mad_u32 v17, s31, v8, v21
	v_mad_u32 v18, s5, v18, v25
	s_delay_alu instid0(VALU_DEP_3) | instskip(NEXT) | instid1(VALU_DEP_3)
	v_mad_u32 v22, s5, v22, v27
	v_mad_u32 v21, s30, v9, v17
	s_delay_alu instid0(VALU_DEP_3) | instskip(NEXT) | instid1(VALU_DEP_3)
	v_mad_u32 v25, s4, v19, v18
	v_mad_u32 v27, s4, v23, v22
	s_delay_alu instid0(VALU_DEP_3) | instskip(SKIP_1) | instid1(VALU_DEP_4)
	v_mul_u64_e32 v[18:19], s[10:11], v[20:21]
	v_mul_u64_e32 v[20:21], s[14:15], v[20:21]
	;; [unrolled: 1-line block ×6, first 2 shown]
	v_lshl_add_u64 v[18:19], v[18:19], 1, s[8:9]
	v_lshl_add_u64 v[20:21], v[20:21], 1, s[12:13]
	global_load_u16 v17, v[18:19], off
	s_wait_xcnt 0x0
	v_lshl_add_u64 v[18:19], v[22:23], 1, s[8:9]
	v_lshl_add_u64 v[22:23], v[24:25], 1, s[12:13]
	;; [unrolled: 1-line block ×4, first 2 shown]
	global_load_u16 v28, v[20:21], off
	global_load_u16 v29, v[18:19], off
	global_load_u16 v30, v[22:23], off
	global_load_u16 v31, v[24:25], off
	global_load_u16 v32, v[26:27], off
	s_wait_loadcnt 0x5
	s_wait_xcnt 0x2
	v_cvt_f32_f16_e32 v22, v17
	s_wait_loadcnt 0x4
	v_cvt_f32_f16_e32 v21, v28
	s_wait_loadcnt 0x3
	;; [unrolled: 2-line block ×5, first 2 shown]
	v_cvt_f32_f16_e32 v19, v32
	s_branch .LBB42_10
.LBB42_9:                               ;   in Loop: Header=BB42_3 Depth=1
	s_wait_xcnt 0x2
	v_dual_mov_b32 v19, 0 :: v_dual_mov_b32 v17, 0
	s_wait_xcnt 0x1
	v_dual_mov_b32 v21, 0 :: v_dual_mov_b32 v20, 0
	v_dual_mov_b32 v18, 0 :: v_dual_mov_b32 v22, 0
.LBB42_10:                              ;   in Loop: Header=BB42_3 Depth=1
	s_wait_loadcnt 0x6
	v_cvt_f32_f16_e32 v15, v15
	s_wait_loadcnt 0x3
	v_cvt_f32_f16_e32 v16, v16
	v_cvt_f32_f16_e32 v14, v14
	s_delay_alu instid0(VALU_DEP_2) | instskip(NEXT) | instid1(VALU_DEP_1)
	v_add_f32_e32 v15, v15, v16
	v_add_f32_e32 v15, v15, v22
	s_delay_alu instid0(VALU_DEP_1) | instskip(NEXT) | instid1(VALU_DEP_1)
	v_add_f32_e32 v15, v21, v15
	v_mul_f32_e32 v16, 0xbfb8aa3b, v15
	v_cmp_nlt_f32_e32 vcc_lo, 0x42ce8ed0, v15
	s_delay_alu instid0(VALU_DEP_2) | instskip(SKIP_1) | instid1(VALU_DEP_1)
	v_fma_f32 v21, 0xbfb8aa3b, v15, -v16
	v_rndne_f32_e32 v22, v16
	v_dual_fmac_f32 v21, 0xb2a5705f, v15 :: v_dual_sub_f32 v16, v16, v22
	s_delay_alu instid0(VALU_DEP_1) | instskip(SKIP_1) | instid1(VALU_DEP_2)
	v_add_f32_e32 v16, v16, v21
	v_cvt_i32_f32_e32 v21, v22
	v_exp_f32_e32 v16, v16
	v_nop
	s_delay_alu instid0(TRANS32_DEP_1) | instskip(NEXT) | instid1(VALU_DEP_1)
	v_ldexp_f32 v16, v16, v21
	v_cndmask_b32_e32 v16, 0, v16, vcc_lo
	v_cmp_ngt_f32_e32 vcc_lo, 0xc2b17218, v15
	s_delay_alu instid0(VALU_DEP_2) | instskip(NEXT) | instid1(VALU_DEP_1)
	v_cndmask_b32_e32 v15, 0x7f800000, v16, vcc_lo
	v_add_f32_e32 v16, 1.0, v15
	s_delay_alu instid0(VALU_DEP_1) | instskip(SKIP_1) | instid1(VALU_DEP_2)
	v_div_scale_f32 v15, null, v16, v16, 1.0
	v_div_scale_f32 v23, vcc_lo, 1.0, v16, 1.0
	v_rcp_f32_e32 v21, v15
	v_nop
	s_delay_alu instid0(TRANS32_DEP_1) | instskip(NEXT) | instid1(VALU_DEP_1)
	v_fma_f32 v22, -v15, v21, 1.0
	v_fmac_f32_e32 v21, v22, v21
	s_delay_alu instid0(VALU_DEP_1) | instskip(SKIP_1) | instid1(VALU_DEP_1)
	v_mul_f32_e32 v22, v23, v21
	s_wait_xcnt 0x1
	v_fma_f32 v24, -v15, v22, v23
	s_delay_alu instid0(VALU_DEP_1) | instskip(NEXT) | instid1(VALU_DEP_1)
	v_fmac_f32_e32 v22, v24, v21
	v_fma_f32 v15, -v15, v22, v23
	s_delay_alu instid0(VALU_DEP_1) | instskip(SKIP_3) | instid1(VALU_DEP_3)
	v_div_fmas_f32 v21, v15, v21, v22
	s_wait_loadcnt 0x1
	v_cvt_f32_f16_e32 v22, v13
	v_add_f32_e32 v15, v20, v14
	v_div_fixup_f32 v13, v21, v16, 1.0
	s_delay_alu instid0(VALU_DEP_3) | instskip(NEXT) | instid1(VALU_DEP_1)
	v_add_f32_e32 v14, v19, v22
                                        ; implicit-def: $vgpr16
	v_fmac_f32_e32 v15, v14, v13
	s_delay_alu instid0(VALU_DEP_1) | instskip(SKIP_2) | instid1(SALU_CYCLE_1)
	v_cmp_ngt_f32_e64 s0, 0x3f200000, |v15|
	s_wait_xcnt 0x0
	s_and_saveexec_b32 s2, s0
	s_xor_b32 s0, exec_lo, s2
	s_cbranch_execz .LBB42_12
; %bb.11:                               ;   in Loop: Header=BB42_3 Depth=1
	v_add_f32_e64 v16, |v15|, |v15|
	s_delay_alu instid0(VALU_DEP_1) | instskip(SKIP_1) | instid1(VALU_DEP_2)
	v_mul_f32_e32 v19, 0x3fb8aa3b, v16
	v_cmp_ngt_f32_e32 vcc_lo, 0xc2ce8ed0, v16
	v_rndne_f32_e32 v20, v19
	v_fma_f32 v21, 0x3fb8aa3b, v16, -v19
	s_delay_alu instid0(VALU_DEP_2) | instskip(NEXT) | instid1(VALU_DEP_2)
	v_sub_f32_e32 v19, v19, v20
	v_fmac_f32_e32 v21, 0x32a5705f, v16
	v_cvt_i32_f32_e32 v20, v20
	s_delay_alu instid0(VALU_DEP_2) | instskip(NEXT) | instid1(VALU_DEP_1)
	v_add_f32_e32 v19, v19, v21
	v_exp_f32_e32 v19, v19
	v_nop
	s_delay_alu instid0(TRANS32_DEP_1) | instskip(NEXT) | instid1(VALU_DEP_1)
	v_ldexp_f32 v19, v19, v20
	v_cndmask_b32_e32 v19, 0, v19, vcc_lo
	v_cmp_nlt_f32_e32 vcc_lo, 0x42b17218, v16
	s_delay_alu instid0(VALU_DEP_2) | instskip(NEXT) | instid1(VALU_DEP_1)
	v_cndmask_b32_e32 v16, 0x7f800000, v19, vcc_lo
	v_add_f32_e32 v16, 1.0, v16
	s_delay_alu instid0(VALU_DEP_1) | instskip(SKIP_1) | instid1(TRANS32_DEP_1)
	v_rcp_f32_e32 v16, v16
	v_nop
	v_fma_f32 v16, v16, -2.0, 1.0
.LBB42_12:                              ;   in Loop: Header=BB42_3 Depth=1
	s_and_not1_saveexec_b32 s0, s0
	s_cbranch_execz .LBB42_2
; %bb.13:                               ;   in Loop: Header=BB42_3 Depth=1
	v_mul_f32_e32 v16, v15, v15
	s_delay_alu instid0(VALU_DEP_1) | instskip(NEXT) | instid1(VALU_DEP_1)
	v_fmaak_f32 v19, s1, v16, 0x3ca908c9
	v_fmaak_f32 v19, v16, v19, 0xbd5c1c4e
	s_delay_alu instid0(VALU_DEP_1) | instskip(NEXT) | instid1(VALU_DEP_1)
	v_fmaak_f32 v19, v16, v19, 0x3e088382
	v_fmaak_f32 v19, v16, v19, 0xbeaaaa99
	s_delay_alu instid0(VALU_DEP_1) | instskip(NEXT) | instid1(VALU_DEP_1)
	v_mul_f32_e64 v19, |v15|, v19
	v_fma_f32 v16, v16, v19, |v15|
	s_branch .LBB42_2
.LBB42_14:
	s_endpgm
	.section	.rodata,"a",@progbits
	.p2align	6, 0x0
	.amdhsa_kernel _ZN2at6native12_GLOBAL__N_16kernel16gru_cell_forwardIN3c104HalfEflLi1EEEvNS_4cuda6detail10TensorInfoIT_T1_EESB_SB_SB_SB_SB_SB_SA_SA_
		.amdhsa_group_segment_fixed_size 0
		.amdhsa_private_segment_fixed_size 0
		.amdhsa_kernarg_size 3184
		.amdhsa_user_sgpr_count 2
		.amdhsa_user_sgpr_dispatch_ptr 0
		.amdhsa_user_sgpr_queue_ptr 0
		.amdhsa_user_sgpr_kernarg_segment_ptr 1
		.amdhsa_user_sgpr_dispatch_id 0
		.amdhsa_user_sgpr_kernarg_preload_length 0
		.amdhsa_user_sgpr_kernarg_preload_offset 0
		.amdhsa_user_sgpr_private_segment_size 0
		.amdhsa_wavefront_size32 1
		.amdhsa_uses_dynamic_stack 0
		.amdhsa_enable_private_segment 0
		.amdhsa_system_sgpr_workgroup_id_x 1
		.amdhsa_system_sgpr_workgroup_id_y 0
		.amdhsa_system_sgpr_workgroup_id_z 0
		.amdhsa_system_sgpr_workgroup_info 0
		.amdhsa_system_vgpr_workitem_id 0
		.amdhsa_next_free_vgpr 34
		.amdhsa_next_free_sgpr 59
		.amdhsa_named_barrier_count 0
		.amdhsa_reserve_vcc 1
		.amdhsa_float_round_mode_32 0
		.amdhsa_float_round_mode_16_64 0
		.amdhsa_float_denorm_mode_32 3
		.amdhsa_float_denorm_mode_16_64 3
		.amdhsa_fp16_overflow 0
		.amdhsa_memory_ordered 1
		.amdhsa_forward_progress 1
		.amdhsa_inst_pref_size 23
		.amdhsa_round_robin_scheduling 0
		.amdhsa_exception_fp_ieee_invalid_op 0
		.amdhsa_exception_fp_denorm_src 0
		.amdhsa_exception_fp_ieee_div_zero 0
		.amdhsa_exception_fp_ieee_overflow 0
		.amdhsa_exception_fp_ieee_underflow 0
		.amdhsa_exception_fp_ieee_inexact 0
		.amdhsa_exception_int_div_zero 0
	.end_amdhsa_kernel
	.section	.text._ZN2at6native12_GLOBAL__N_16kernel16gru_cell_forwardIN3c104HalfEflLi1EEEvNS_4cuda6detail10TensorInfoIT_T1_EESB_SB_SB_SB_SB_SB_SA_SA_,"axG",@progbits,_ZN2at6native12_GLOBAL__N_16kernel16gru_cell_forwardIN3c104HalfEflLi1EEEvNS_4cuda6detail10TensorInfoIT_T1_EESB_SB_SB_SB_SB_SB_SA_SA_,comdat
.Lfunc_end42:
	.size	_ZN2at6native12_GLOBAL__N_16kernel16gru_cell_forwardIN3c104HalfEflLi1EEEvNS_4cuda6detail10TensorInfoIT_T1_EESB_SB_SB_SB_SB_SB_SA_SA_, .Lfunc_end42-_ZN2at6native12_GLOBAL__N_16kernel16gru_cell_forwardIN3c104HalfEflLi1EEEvNS_4cuda6detail10TensorInfoIT_T1_EESB_SB_SB_SB_SB_SB_SA_SA_
                                        ; -- End function
	.set _ZN2at6native12_GLOBAL__N_16kernel16gru_cell_forwardIN3c104HalfEflLi1EEEvNS_4cuda6detail10TensorInfoIT_T1_EESB_SB_SB_SB_SB_SB_SA_SA_.num_vgpr, 34
	.set _ZN2at6native12_GLOBAL__N_16kernel16gru_cell_forwardIN3c104HalfEflLi1EEEvNS_4cuda6detail10TensorInfoIT_T1_EESB_SB_SB_SB_SB_SB_SA_SA_.num_agpr, 0
	.set _ZN2at6native12_GLOBAL__N_16kernel16gru_cell_forwardIN3c104HalfEflLi1EEEvNS_4cuda6detail10TensorInfoIT_T1_EESB_SB_SB_SB_SB_SB_SA_SA_.numbered_sgpr, 59
	.set _ZN2at6native12_GLOBAL__N_16kernel16gru_cell_forwardIN3c104HalfEflLi1EEEvNS_4cuda6detail10TensorInfoIT_T1_EESB_SB_SB_SB_SB_SB_SA_SA_.num_named_barrier, 0
	.set _ZN2at6native12_GLOBAL__N_16kernel16gru_cell_forwardIN3c104HalfEflLi1EEEvNS_4cuda6detail10TensorInfoIT_T1_EESB_SB_SB_SB_SB_SB_SA_SA_.private_seg_size, 0
	.set _ZN2at6native12_GLOBAL__N_16kernel16gru_cell_forwardIN3c104HalfEflLi1EEEvNS_4cuda6detail10TensorInfoIT_T1_EESB_SB_SB_SB_SB_SB_SA_SA_.uses_vcc, 1
	.set _ZN2at6native12_GLOBAL__N_16kernel16gru_cell_forwardIN3c104HalfEflLi1EEEvNS_4cuda6detail10TensorInfoIT_T1_EESB_SB_SB_SB_SB_SB_SA_SA_.uses_flat_scratch, 0
	.set _ZN2at6native12_GLOBAL__N_16kernel16gru_cell_forwardIN3c104HalfEflLi1EEEvNS_4cuda6detail10TensorInfoIT_T1_EESB_SB_SB_SB_SB_SB_SA_SA_.has_dyn_sized_stack, 0
	.set _ZN2at6native12_GLOBAL__N_16kernel16gru_cell_forwardIN3c104HalfEflLi1EEEvNS_4cuda6detail10TensorInfoIT_T1_EESB_SB_SB_SB_SB_SB_SA_SA_.has_recursion, 0
	.set _ZN2at6native12_GLOBAL__N_16kernel16gru_cell_forwardIN3c104HalfEflLi1EEEvNS_4cuda6detail10TensorInfoIT_T1_EESB_SB_SB_SB_SB_SB_SA_SA_.has_indirect_call, 0
	.section	.AMDGPU.csdata,"",@progbits
; Kernel info:
; codeLenInByte = 2840
; TotalNumSgprs: 61
; NumVgprs: 34
; ScratchSize: 0
; MemoryBound: 0
; FloatMode: 240
; IeeeMode: 1
; LDSByteSize: 0 bytes/workgroup (compile time only)
; SGPRBlocks: 0
; VGPRBlocks: 2
; NumSGPRsForWavesPerEU: 61
; NumVGPRsForWavesPerEU: 34
; NamedBarCnt: 0
; Occupancy: 16
; WaveLimiterHint : 1
; COMPUTE_PGM_RSRC2:SCRATCH_EN: 0
; COMPUTE_PGM_RSRC2:USER_SGPR: 2
; COMPUTE_PGM_RSRC2:TRAP_HANDLER: 0
; COMPUTE_PGM_RSRC2:TGID_X_EN: 1
; COMPUTE_PGM_RSRC2:TGID_Y_EN: 0
; COMPUTE_PGM_RSRC2:TGID_Z_EN: 0
; COMPUTE_PGM_RSRC2:TIDIG_COMP_CNT: 0
	.section	.text._ZN2at6native12_GLOBAL__N_16kernel16gru_cell_forwardIN3c104HalfEflLi2EEEvNS_4cuda6detail10TensorInfoIT_T1_EESB_SB_SB_SB_SB_SB_SA_SA_,"axG",@progbits,_ZN2at6native12_GLOBAL__N_16kernel16gru_cell_forwardIN3c104HalfEflLi2EEEvNS_4cuda6detail10TensorInfoIT_T1_EESB_SB_SB_SB_SB_SB_SA_SA_,comdat
	.globl	_ZN2at6native12_GLOBAL__N_16kernel16gru_cell_forwardIN3c104HalfEflLi2EEEvNS_4cuda6detail10TensorInfoIT_T1_EESB_SB_SB_SB_SB_SB_SA_SA_ ; -- Begin function _ZN2at6native12_GLOBAL__N_16kernel16gru_cell_forwardIN3c104HalfEflLi2EEEvNS_4cuda6detail10TensorInfoIT_T1_EESB_SB_SB_SB_SB_SB_SA_SA_
	.p2align	8
	.type	_ZN2at6native12_GLOBAL__N_16kernel16gru_cell_forwardIN3c104HalfEflLi2EEEvNS_4cuda6detail10TensorInfoIT_T1_EESB_SB_SB_SB_SB_SB_SA_SA_,@function
_ZN2at6native12_GLOBAL__N_16kernel16gru_cell_forwardIN3c104HalfEflLi2EEEvNS_4cuda6detail10TensorInfoIT_T1_EESB_SB_SB_SB_SB_SB_SA_SA_: ; @_ZN2at6native12_GLOBAL__N_16kernel16gru_cell_forwardIN3c104HalfEflLi2EEEvNS_4cuda6detail10TensorInfoIT_T1_EESB_SB_SB_SB_SB_SB_SA_SA_
; %bb.0:
	s_clause 0x1
	s_load_b32 s2, s[0:1], 0xb7c
	s_load_b128 s[4:7], s[0:1], 0xb60
	s_bfe_u32 s3, ttmp6, 0x4000c
	s_and_b32 s8, ttmp6, 15
	s_add_co_i32 s3, s3, 1
	s_getreg_b32 s9, hwreg(HW_REG_IB_STS2, 6, 4)
	s_mul_i32 s3, ttmp9, s3
	v_mov_b32_e32 v2, 0
	s_add_co_i32 s8, s8, s3
	s_delay_alu instid0(VALU_DEP_1)
	v_mov_b32_e32 v1, v2
	s_wait_kmcnt 0x0
	s_and_b32 s2, s2, 0xffff
	s_cmp_eq_u32 s9, 0
	s_cselect_b32 s3, ttmp9, s8
	s_mov_b32 s8, exec_lo
	v_mad_u32 v0, s3, s2, v0
	s_mov_b32 s3, 0
	s_delay_alu instid0(VALU_DEP_1)
	v_cmpx_gt_i64_e64 s[6:7], v[0:1]
	s_cbranch_execz .LBB43_66
; %bb.1:
	s_add_nc_u64 s[20:21], s[0:1], 0xb70
	v_cvt_f32_u32_e32 v3, s4
	s_clause 0x4
	s_load_b64 s[28:29], s[0:1], 0x0
	s_load_b64 s[30:31], s[0:1], 0x10
	;; [unrolled: 1-line block ×3, first 2 shown]
	s_load_b128 s[8:11], s[0:1], 0xd0
	s_load_b64 s[36:37], s[0:1], 0x1a0
	s_load_b32 s33, s[20:21], 0x0
	s_clause 0x9
	s_load_b64 s[38:39], s[0:1], 0x1b0
	s_load_b128 s[12:15], s[0:1], 0x270
	s_load_b64 s[40:41], s[0:1], 0x680
	s_load_b64 s[42:43], s[0:1], 0x690
	;; [unrolled: 1-line block ×6, first 2 shown]
	s_load_b128 s[16:19], s[0:1], 0x750
	; meta instruction
	s_load_b64 s[52:53], s[0:1], 0x820
	s_wait_xcnt 0x0
	s_clause 0x3
	s_load_b128 s[20:23], s[0:1], 0x8f0
	s_load_b64 s[54:55], s[0:1], 0x9c0
	s_load_b64 s[56:57], s[0:1], 0x9d0
	s_load_b128 s[24:27], s[0:1], 0xa90
	s_mov_b32 s59, s3
	s_sub_nc_u64 s[64:65], 0, s[4:5]
	v_rcp_iflag_f32_e32 v3, v3
	s_wait_kmcnt 0x0
	s_cmp_lg_u64 s[34:35], 0
	s_mov_b64 s[68:69], 0xffffffff
	s_cselect_b32 s1, -1, 0
	s_mul_i32 s58, s33, s2
	s_lshl_b64 s[60:61], s[4:5], 1
	s_lshl_b64 s[62:63], s[4:5], 2
	v_nop
	v_mul_f32_e32 v3, 0x4f7ffffe, v3
	s_sub_nc_u64 s[66:67], 0, s[42:43]
	s_mov_b32 s33, 0xbbbac73d
	s_ashr_i32 s72, s5, 31
	s_mov_b32 s78, 0
	v_cvt_u32_f32_e32 v28, v3
	s_sub_nc_u64 s[70:71], 0, s[50:51]
	s_branch .LBB43_3
.LBB43_2:                               ;   in Loop: Header=BB43_3 Depth=1
	s_or_b32 exec_lo, exec_lo, s0
	s_delay_alu instid0(VALU_DEP_1) | instskip(SKIP_1) | instid1(VALU_DEP_2)
	v_mul_u64_e32 v[6:7], s[56:57], v[8:9]
	v_cvt_f16_f32_e32 v3, v13
	v_sub_nc_u64_e32 v[4:5], v[4:5], v[6:7]
	v_mul_u64_e32 v[6:7], s[24:25], v[8:9]
	s_delay_alu instid0(VALU_DEP_2) | instskip(SKIP_1) | instid1(VALU_DEP_2)
	v_add_nc_u64_e32 v[4:5], v[0:1], v[4:5]
	v_add_nc_u64_e32 v[0:1], s[58:59], v[0:1]
	v_mul_u64_e32 v[4:5], s[26:27], v[4:5]
	s_delay_alu instid0(VALU_DEP_2) | instskip(SKIP_2) | instid1(VALU_DEP_1)
	v_cmp_le_i64_e32 vcc_lo, s[6:7], v[0:1]
	s_or_b32 s78, vcc_lo, s78
	v_lshl_add_u64 v[6:7], v[6:7], 1, s[54:55]
	v_lshl_add_u64 v[4:5], v[4:5], 1, v[6:7]
	global_store_b16 v[4:5], v3, off
	s_wait_xcnt 0x0
	s_and_not1_b32 exec_lo, exec_lo, s78
	s_cbranch_execz .LBB43_66
.LBB43_3:                               ; =>This Inner Loop Header: Depth=1
	v_dual_ashrrev_i32 v6, 31, v1 :: v_dual_bitop2_b32 v3, s5, v1 bitop3:0x54
                                        ; implicit-def: $vgpr4_vgpr5
	s_mov_b32 s0, exec_lo
	s_delay_alu instid0(VALU_DEP_1)
	v_cmpx_ne_u64_e32 0, v[2:3]
	s_xor_b32 s76, exec_lo, s0
	s_cbranch_execz .LBB43_5
; %bb.4:                                ;   in Loop: Header=BB43_3 Depth=1
	s_mov_b32 s73, s72
	v_dual_mov_b32 v7, v6 :: v_dual_mov_b32 v9, v2
	s_add_nc_u64 s[74:75], s[4:5], s[72:73]
	v_mov_b32_e32 v13, v2
	s_xor_b64 s[74:75], s[74:75], s[72:73]
	s_delay_alu instid0(VALU_DEP_2) | instskip(SKIP_4) | instid1(SALU_CYCLE_1)
	v_add_nc_u64_e32 v[4:5], v[0:1], v[6:7]
	s_cvt_f32_u32 s0, s74
	s_cvt_f32_u32 s2, s75
	s_sub_nc_u64 s[82:83], 0, s[74:75]
	v_mov_b32_e32 v17, v2
	s_fmamk_f32 s0, s2, 0x4f800000, s0
	s_delay_alu instid0(VALU_DEP_2) | instskip(SKIP_1) | instid1(SALU_CYCLE_1)
	v_xor_b32_e32 v8, v4, v6
	v_xor_b32_e32 v12, v5, v6
	v_s_rcp_f32 s0, s0
	s_delay_alu instid0(TRANS32_DEP_1) | instskip(NEXT) | instid1(SALU_CYCLE_3)
	s_mul_f32 s0, s0, 0x5f7ffffc
	s_mul_f32 s2, s0, 0x2f800000
	s_delay_alu instid0(SALU_CYCLE_3) | instskip(NEXT) | instid1(SALU_CYCLE_3)
	s_trunc_f32 s2, s2
	s_fmamk_f32 s0, s2, 0xcf800000, s0
	s_cvt_u32_f32 s81, s2
	s_delay_alu instid0(SALU_CYCLE_2) | instskip(NEXT) | instid1(SALU_CYCLE_3)
	s_cvt_u32_f32 s80, s0
	s_mul_u64 s[84:85], s[82:83], s[80:81]
	s_delay_alu instid0(SALU_CYCLE_1)
	s_mul_hi_u32 s87, s80, s85
	s_mul_i32 s86, s80, s85
	s_mul_hi_u32 s2, s80, s84
	s_mul_i32 s73, s81, s84
	s_add_nc_u64 s[86:87], s[2:3], s[86:87]
	s_mul_hi_u32 s0, s81, s84
	s_mul_hi_u32 s77, s81, s85
	s_add_co_u32 s2, s86, s73
	s_add_co_ci_u32 s2, s87, s0
	s_mul_i32 s84, s81, s85
	s_add_co_ci_u32 s85, s77, 0
	s_delay_alu instid0(SALU_CYCLE_1) | instskip(NEXT) | instid1(SALU_CYCLE_1)
	s_add_nc_u64 s[84:85], s[2:3], s[84:85]
	s_add_co_u32 s80, s80, s84
	s_cselect_b32 s0, -1, 0
	s_delay_alu instid0(SALU_CYCLE_1) | instskip(SKIP_1) | instid1(SALU_CYCLE_1)
	s_cmp_lg_u32 s0, 0
	s_add_co_ci_u32 s81, s81, s85
	s_mul_u64 s[82:83], s[82:83], s[80:81]
	s_delay_alu instid0(SALU_CYCLE_1)
	s_mul_hi_u32 s85, s80, s83
	s_mul_i32 s84, s80, s83
	s_mul_hi_u32 s2, s80, s82
	s_mul_i32 s73, s81, s82
	s_add_nc_u64 s[84:85], s[2:3], s[84:85]
	s_mul_hi_u32 s0, s81, s82
	s_mul_hi_u32 s77, s81, s83
	s_add_co_u32 s2, s84, s73
	s_add_co_ci_u32 s2, s85, s0
	s_mul_i32 s82, s81, s83
	s_add_co_ci_u32 s83, s77, 0
	s_delay_alu instid0(SALU_CYCLE_1) | instskip(NEXT) | instid1(SALU_CYCLE_1)
	s_add_nc_u64 s[82:83], s[2:3], s[82:83]
	s_add_co_u32 s0, s80, s82
	s_cselect_b32 s2, -1, 0
	v_nop
	v_mul_hi_u32 v16, v8, s0
	s_cmp_lg_u32 s2, 0
	s_add_co_ci_u32 s2, s81, s83
	s_and_b64 s[80:81], s[0:1], s[68:69]
	v_mul_u64_e32 v[10:11], s[2:3], v[8:9]
	v_mul_u64_e32 v[4:5], s[80:81], v[12:13]
	;; [unrolled: 1-line block ×3, first 2 shown]
	s_delay_alu instid0(VALU_DEP_3) | instskip(NEXT) | instid1(VALU_DEP_1)
	v_add_nc_u64_e32 v[10:11], v[16:17], v[10:11]
	v_add_co_u32 v3, vcc_lo, v10, v4
	s_delay_alu instid0(VALU_DEP_2) | instskip(NEXT) | instid1(VALU_DEP_4)
	v_add_co_ci_u32_e32 v16, vcc_lo, v11, v5, vcc_lo
	v_add_co_ci_u32_e32 v15, vcc_lo, 0, v15, vcc_lo
	s_delay_alu instid0(VALU_DEP_1) | instskip(NEXT) | instid1(VALU_DEP_1)
	v_add_nc_u64_e32 v[4:5], v[16:17], v[14:15]
	v_mul_u64_e32 v[10:11], s[74:75], v[4:5]
	s_delay_alu instid0(VALU_DEP_1) | instskip(NEXT) | instid1(VALU_DEP_2)
	v_sub_nc_u32_e32 v3, v12, v11
	v_sub_co_u32 v7, vcc_lo, v8, v10
	s_delay_alu instid0(VALU_DEP_1) | instskip(NEXT) | instid1(VALU_DEP_3)
	v_sub_co_ci_u32_e64 v12, null, v12, v11, vcc_lo
	v_subrev_co_ci_u32_e64 v3, null, s75, v3, vcc_lo
	s_delay_alu instid0(VALU_DEP_3) | instskip(SKIP_1) | instid1(VALU_DEP_3)
	v_sub_co_u32 v8, s0, v7, s74
	v_add_nc_u64_e32 v[10:11], 1, v[4:5]
	v_subrev_co_ci_u32_e64 v3, null, 0, v3, s0
	s_delay_alu instid0(VALU_DEP_3) | instskip(SKIP_1) | instid1(VALU_DEP_3)
	v_cmp_le_u32_e32 vcc_lo, s74, v8
	v_cndmask_b32_e64 v8, 0, -1, vcc_lo
	v_cmp_le_u32_e32 vcc_lo, s75, v3
	v_cndmask_b32_e64 v9, 0, -1, vcc_lo
	;; [unrolled: 2-line block ×4, first 2 shown]
	v_cmp_eq_u32_e32 vcc_lo, s75, v3
	v_cndmask_b32_e32 v3, v9, v8, vcc_lo
	v_cmp_eq_u32_e32 vcc_lo, s75, v12
	v_add_nc_u64_e32 v[8:9], 2, v[4:5]
	v_cndmask_b32_e32 v7, v13, v7, vcc_lo
	s_delay_alu instid0(VALU_DEP_4) | instskip(NEXT) | instid1(VALU_DEP_3)
	v_cmp_ne_u32_e32 vcc_lo, 0, v3
	v_cndmask_b32_e32 v3, v11, v9, vcc_lo
	s_delay_alu instid0(VALU_DEP_3) | instskip(SKIP_1) | instid1(VALU_DEP_1)
	v_cmp_ne_u32_e64 s0, 0, v7
	v_dual_cndmask_b32 v7, v10, v8, vcc_lo :: v_dual_bitop2_b32 v8, s72, v6 bitop3:0x14
	v_dual_cndmask_b32 v3, v5, v3, s0 :: v_dual_mov_b32 v9, v8
	s_delay_alu instid0(VALU_DEP_1) | instskip(NEXT) | instid1(VALU_DEP_1)
	v_dual_cndmask_b32 v4, v4, v7, s0 :: v_dual_bitop2_b32 v5, v3, v8 bitop3:0x14
	v_xor_b32_e32 v4, v4, v8
	s_delay_alu instid0(VALU_DEP_1)
	v_sub_nc_u64_e32 v[4:5], v[4:5], v[8:9]
.LBB43_5:                               ;   in Loop: Header=BB43_3 Depth=1
	s_and_not1_saveexec_b32 s0, s76
	s_cbranch_execz .LBB43_7
; %bb.6:                                ;   in Loop: Header=BB43_3 Depth=1
	s_sub_co_i32 s2, 0, s4
	s_delay_alu instid0(SALU_CYCLE_1) | instskip(NEXT) | instid1(VALU_DEP_1)
	v_mul_lo_u32 v3, s2, v28
	v_mul_hi_u32 v3, v28, v3
	s_delay_alu instid0(VALU_DEP_1) | instskip(NEXT) | instid1(VALU_DEP_1)
	v_add_nc_u32_e32 v3, v28, v3
	v_mul_hi_u32 v3, v0, v3
	s_delay_alu instid0(VALU_DEP_1) | instskip(NEXT) | instid1(VALU_DEP_1)
	v_mul_lo_u32 v4, v3, s4
	v_dual_add_nc_u32 v5, 1, v3 :: v_dual_sub_nc_u32 v4, v0, v4
	s_delay_alu instid0(VALU_DEP_1) | instskip(SKIP_1) | instid1(VALU_DEP_2)
	v_subrev_nc_u32_e32 v7, s4, v4
	v_cmp_le_u32_e32 vcc_lo, s4, v4
	v_dual_cndmask_b32 v4, v4, v7 :: v_dual_cndmask_b32 v3, v3, v5
	s_delay_alu instid0(VALU_DEP_1) | instskip(NEXT) | instid1(VALU_DEP_2)
	v_cmp_le_u32_e32 vcc_lo, s4, v4
	v_add_nc_u32_e32 v5, 1, v3
	s_delay_alu instid0(VALU_DEP_1)
	v_dual_cndmask_b32 v4, v3, v5 :: v_dual_mov_b32 v5, v2
.LBB43_7:                               ;   in Loop: Header=BB43_3 Depth=1
	s_or_b32 exec_lo, exec_lo, s0
	s_delay_alu instid0(VALU_DEP_1) | instskip(SKIP_1) | instid1(VALU_DEP_1)
	v_mul_u64_e32 v[8:9], s[60:61], v[4:5]
                                        ; implicit-def: $vgpr10_vgpr11
	s_mov_b32 s0, exec_lo
	v_add_nc_u64_e32 v[20:21], v[0:1], v[8:9]
	s_delay_alu instid0(VALU_DEP_1) | instskip(NEXT) | instid1(VALU_DEP_1)
	v_dual_ashrrev_i32 v14, 31, v21 :: v_dual_bitop2_b32 v3, s31, v21 bitop3:0x54
	v_cmpx_ne_u64_e32 0, v[2:3]
	s_xor_b32 s73, exec_lo, s0
	s_cbranch_execz .LBB43_9
; %bb.8:                                ;   in Loop: Header=BB43_3 Depth=1
	s_ashr_i32 s74, s31, 31
	v_dual_mov_b32 v15, v14 :: v_dual_mov_b32 v13, v2
	s_mov_b32 s75, s74
	v_mov_b32_e32 v25, v2
	s_add_nc_u64 s[76:77], s[30:31], s[74:75]
	s_delay_alu instid0(VALU_DEP_2)
	v_add_nc_u64_e32 v[10:11], v[20:21], v[14:15]
	s_xor_b64 s[76:77], s[76:77], s[74:75]
	v_mov_b32_e32 v19, v2
	s_cvt_f32_u32 s0, s76
	s_cvt_f32_u32 s2, s77
	s_sub_nc_u64 s[82:83], 0, s[76:77]
	s_delay_alu instid0(VALU_DEP_2) | instskip(NEXT) | instid1(SALU_CYCLE_1)
	v_xor_b32_e32 v12, v10, v14
	s_fmamk_f32 s0, s2, 0x4f800000, s0
	v_xor_b32_e32 v18, v11, v14
	s_delay_alu instid0(SALU_CYCLE_2) | instskip(NEXT) | instid1(TRANS32_DEP_1)
	v_s_rcp_f32 s0, s0
	s_mul_f32 s0, s0, 0x5f7ffffc
	s_delay_alu instid0(SALU_CYCLE_3) | instskip(NEXT) | instid1(SALU_CYCLE_3)
	s_mul_f32 s2, s0, 0x2f800000
	s_trunc_f32 s2, s2
	s_delay_alu instid0(SALU_CYCLE_3) | instskip(SKIP_1) | instid1(SALU_CYCLE_2)
	s_fmamk_f32 s0, s2, 0xcf800000, s0
	s_cvt_u32_f32 s81, s2
	s_cvt_u32_f32 s80, s0
	s_delay_alu instid0(SALU_CYCLE_3) | instskip(NEXT) | instid1(SALU_CYCLE_1)
	s_mul_u64 s[84:85], s[82:83], s[80:81]
	s_mul_hi_u32 s87, s80, s85
	s_mul_i32 s86, s80, s85
	s_mul_hi_u32 s2, s80, s84
	s_mul_i32 s75, s81, s84
	s_add_nc_u64 s[86:87], s[2:3], s[86:87]
	s_mul_hi_u32 s0, s81, s84
	s_mul_hi_u32 s79, s81, s85
	s_add_co_u32 s2, s86, s75
	s_add_co_ci_u32 s2, s87, s0
	s_mul_i32 s84, s81, s85
	s_add_co_ci_u32 s85, s79, 0
	s_delay_alu instid0(SALU_CYCLE_1) | instskip(NEXT) | instid1(SALU_CYCLE_1)
	s_add_nc_u64 s[84:85], s[2:3], s[84:85]
	s_add_co_u32 s80, s80, s84
	s_cselect_b32 s0, -1, 0
	s_delay_alu instid0(SALU_CYCLE_1) | instskip(SKIP_1) | instid1(SALU_CYCLE_1)
	s_cmp_lg_u32 s0, 0
	s_add_co_ci_u32 s81, s81, s85
	s_mul_u64 s[82:83], s[82:83], s[80:81]
	s_delay_alu instid0(SALU_CYCLE_1)
	s_mul_hi_u32 s85, s80, s83
	s_mul_i32 s84, s80, s83
	s_mul_hi_u32 s2, s80, s82
	s_mul_i32 s75, s81, s82
	s_add_nc_u64 s[84:85], s[2:3], s[84:85]
	s_mul_hi_u32 s0, s81, s82
	s_mul_hi_u32 s79, s81, s83
	s_add_co_u32 s2, s84, s75
	s_add_co_ci_u32 s2, s85, s0
	s_mul_i32 s82, s81, s83
	s_add_co_ci_u32 s83, s79, 0
	s_delay_alu instid0(SALU_CYCLE_1) | instskip(NEXT) | instid1(SALU_CYCLE_1)
	s_add_nc_u64 s[82:83], s[2:3], s[82:83]
	s_add_co_u32 s0, s80, s82
	s_cselect_b32 s2, -1, 0
	v_nop
	v_mul_hi_u32 v24, v12, s0
	s_cmp_lg_u32 s2, 0
	s_add_co_ci_u32 s2, s81, s83
	s_and_b64 s[80:81], s[0:1], s[68:69]
	v_mul_u64_e32 v[16:17], s[2:3], v[12:13]
	v_mul_u64_e32 v[10:11], s[80:81], v[18:19]
	;; [unrolled: 1-line block ×3, first 2 shown]
	s_delay_alu instid0(VALU_DEP_3) | instskip(NEXT) | instid1(VALU_DEP_1)
	v_add_nc_u64_e32 v[16:17], v[24:25], v[16:17]
	v_add_co_u32 v3, vcc_lo, v16, v10
	s_delay_alu instid0(VALU_DEP_2) | instskip(NEXT) | instid1(VALU_DEP_4)
	v_add_co_ci_u32_e32 v24, vcc_lo, v17, v11, vcc_lo
	v_add_co_ci_u32_e32 v23, vcc_lo, 0, v23, vcc_lo
	s_delay_alu instid0(VALU_DEP_1) | instskip(NEXT) | instid1(VALU_DEP_1)
	v_add_nc_u64_e32 v[10:11], v[24:25], v[22:23]
	v_mul_u64_e32 v[16:17], s[76:77], v[10:11]
	s_delay_alu instid0(VALU_DEP_1) | instskip(NEXT) | instid1(VALU_DEP_2)
	v_sub_nc_u32_e32 v3, v18, v17
	v_sub_co_u32 v7, vcc_lo, v12, v16
	s_delay_alu instid0(VALU_DEP_1) | instskip(NEXT) | instid1(VALU_DEP_3)
	v_sub_co_ci_u32_e64 v15, null, v18, v17, vcc_lo
	v_subrev_co_ci_u32_e64 v3, null, s77, v3, vcc_lo
	s_delay_alu instid0(VALU_DEP_3) | instskip(SKIP_1) | instid1(VALU_DEP_3)
	v_sub_co_u32 v12, s0, v7, s76
	v_add_nc_u64_e32 v[16:17], 1, v[10:11]
	v_subrev_co_ci_u32_e64 v3, null, 0, v3, s0
	s_delay_alu instid0(VALU_DEP_3) | instskip(SKIP_1) | instid1(VALU_DEP_3)
	v_cmp_le_u32_e32 vcc_lo, s76, v12
	v_cndmask_b32_e64 v12, 0, -1, vcc_lo
	v_cmp_le_u32_e32 vcc_lo, s77, v3
	v_cndmask_b32_e64 v13, 0, -1, vcc_lo
	;; [unrolled: 2-line block ×4, first 2 shown]
	v_cmp_eq_u32_e32 vcc_lo, s77, v3
	v_cndmask_b32_e32 v3, v13, v12, vcc_lo
	v_cmp_eq_u32_e32 vcc_lo, s77, v15
	v_add_nc_u64_e32 v[12:13], 2, v[10:11]
	v_cndmask_b32_e32 v7, v18, v7, vcc_lo
	s_delay_alu instid0(VALU_DEP_4) | instskip(NEXT) | instid1(VALU_DEP_2)
	v_cmp_ne_u32_e32 vcc_lo, 0, v3
	v_cmp_ne_u32_e64 s0, 0, v7
	s_delay_alu instid0(VALU_DEP_4) | instskip(NEXT) | instid1(VALU_DEP_1)
	v_dual_cndmask_b32 v3, v17, v13, vcc_lo :: v_dual_cndmask_b32 v7, v16, v12, vcc_lo
	v_dual_cndmask_b32 v3, v11, v3, s0 :: v_dual_bitop2_b32 v12, s74, v14 bitop3:0x14
	s_delay_alu instid0(VALU_DEP_1) | instskip(NEXT) | instid1(VALU_DEP_2)
	v_dual_mov_b32 v13, v12 :: v_dual_cndmask_b32 v7, v10, v7, s0
	v_xor_b32_e32 v11, v3, v12
	s_delay_alu instid0(VALU_DEP_2) | instskip(NEXT) | instid1(VALU_DEP_1)
	v_xor_b32_e32 v10, v7, v12
	v_sub_nc_u64_e32 v[10:11], v[10:11], v[12:13]
.LBB43_9:                               ;   in Loop: Header=BB43_3 Depth=1
	s_or_saveexec_b32 s0, s73
	v_cvt_f32_u32_e32 v7, s30
	s_xor_b32 exec_lo, exec_lo, s0
	s_cbranch_execz .LBB43_11
; %bb.10:                               ;   in Loop: Header=BB43_3 Depth=1
	s_delay_alu instid0(VALU_DEP_1) | instskip(SKIP_2) | instid1(TRANS32_DEP_1)
	v_rcp_iflag_f32_e32 v3, v7
	s_sub_co_i32 s2, 0, s30
	v_nop
	v_mul_f32_e32 v3, 0x4f7ffffe, v3
	s_delay_alu instid0(VALU_DEP_1) | instskip(NEXT) | instid1(VALU_DEP_1)
	v_cvt_u32_f32_e32 v3, v3
	v_mul_lo_u32 v10, s2, v3
	s_delay_alu instid0(VALU_DEP_1) | instskip(NEXT) | instid1(VALU_DEP_1)
	v_mul_hi_u32 v10, v3, v10
	v_add_nc_u32_e32 v3, v3, v10
	s_delay_alu instid0(VALU_DEP_1) | instskip(NEXT) | instid1(VALU_DEP_1)
	v_mul_hi_u32 v3, v20, v3
	v_mul_lo_u32 v10, v3, s30
	s_delay_alu instid0(VALU_DEP_1) | instskip(NEXT) | instid1(VALU_DEP_1)
	v_dual_add_nc_u32 v11, 1, v3 :: v_dual_sub_nc_u32 v10, v20, v10
	v_subrev_nc_u32_e32 v12, s30, v10
	v_cmp_le_u32_e32 vcc_lo, s30, v10
	s_delay_alu instid0(VALU_DEP_2) | instskip(NEXT) | instid1(VALU_DEP_1)
	v_dual_cndmask_b32 v10, v10, v12 :: v_dual_cndmask_b32 v3, v3, v11
	v_cmp_le_u32_e32 vcc_lo, s30, v10
	s_delay_alu instid0(VALU_DEP_2) | instskip(NEXT) | instid1(VALU_DEP_1)
	v_add_nc_u32_e32 v11, 1, v3
	v_dual_cndmask_b32 v10, v3, v11 :: v_dual_mov_b32 v11, v2
.LBB43_11:                              ;   in Loop: Header=BB43_3 Depth=1
	s_or_b32 exec_lo, exec_lo, s0
	s_delay_alu instid0(VALU_DEP_1) | instskip(SKIP_2) | instid1(VALU_DEP_2)
	v_mul_u64_e32 v[12:13], s[30:31], v[10:11]
	v_mul_u64_e32 v[10:11], s[8:9], v[10:11]
                                        ; implicit-def: $vgpr16_vgpr17
	s_mov_b32 s0, exec_lo
	v_sub_nc_u64_e32 v[12:13], v[8:9], v[12:13]
	s_delay_alu instid0(VALU_DEP_2) | instskip(NEXT) | instid1(VALU_DEP_2)
	v_lshl_add_u64 v[10:11], v[10:11], 1, s[28:29]
	v_add_nc_u64_e32 v[12:13], v[0:1], v[12:13]
	s_delay_alu instid0(VALU_DEP_1) | instskip(NEXT) | instid1(VALU_DEP_1)
	v_mul_u64_e32 v[12:13], s[10:11], v[12:13]
	v_lshl_add_u64 v[10:11], v[12:13], 1, v[10:11]
	v_lshlrev_b64_e32 v[12:13], 1, v[4:5]
	global_load_u16 v29, v[10:11], off
	s_wait_xcnt 0x0
	v_mad_nc_u64_u32 v[10:11], s4, v12, s[4:5]
	s_delay_alu instid0(VALU_DEP_1) | instskip(SKIP_1) | instid1(VALU_DEP_1)
	v_mad_u32 v3, s5, v12, v11
	v_alignbit_b32 v11, v5, v4, 31
	v_mad_u32 v11, s4, v11, v3
	s_delay_alu instid0(VALU_DEP_1) | instskip(NEXT) | instid1(VALU_DEP_1)
	v_add_nc_u64_e32 v[24:25], v[0:1], v[10:11]
	v_dual_ashrrev_i32 v18, 31, v25 :: v_dual_bitop2_b32 v3, s31, v25 bitop3:0x54
	s_delay_alu instid0(VALU_DEP_1)
	v_cmpx_ne_u64_e32 0, v[2:3]
	s_xor_b32 s73, exec_lo, s0
	s_cbranch_execz .LBB43_13
; %bb.12:                               ;   in Loop: Header=BB43_3 Depth=1
	s_ashr_i32 s74, s31, 31
	v_dual_mov_b32 v19, v18 :: v_dual_mov_b32 v23, v2
	s_mov_b32 s75, s74
	v_mov_b32_e32 v31, v2
	s_add_nc_u64 s[76:77], s[30:31], s[74:75]
	s_delay_alu instid0(VALU_DEP_2)
	v_add_nc_u64_e32 v[16:17], v[24:25], v[18:19]
	s_xor_b64 s[76:77], s[76:77], s[74:75]
	v_mov_b32_e32 v35, v2
	s_cvt_f32_u32 s0, s76
	s_cvt_f32_u32 s2, s77
	s_sub_nc_u64 s[82:83], 0, s[76:77]
	s_delay_alu instid0(VALU_DEP_2) | instskip(NEXT) | instid1(SALU_CYCLE_1)
	v_xor_b32_e32 v22, v16, v18
	s_fmamk_f32 s0, s2, 0x4f800000, s0
	v_xor_b32_e32 v30, v17, v18
	s_delay_alu instid0(SALU_CYCLE_2) | instskip(NEXT) | instid1(TRANS32_DEP_1)
	v_s_rcp_f32 s0, s0
	s_mul_f32 s0, s0, 0x5f7ffffc
	s_delay_alu instid0(SALU_CYCLE_3) | instskip(NEXT) | instid1(SALU_CYCLE_3)
	s_mul_f32 s2, s0, 0x2f800000
	s_trunc_f32 s2, s2
	s_delay_alu instid0(SALU_CYCLE_3) | instskip(SKIP_1) | instid1(SALU_CYCLE_2)
	s_fmamk_f32 s0, s2, 0xcf800000, s0
	s_cvt_u32_f32 s81, s2
	s_cvt_u32_f32 s80, s0
	s_delay_alu instid0(SALU_CYCLE_3) | instskip(NEXT) | instid1(SALU_CYCLE_1)
	s_mul_u64 s[84:85], s[82:83], s[80:81]
	s_mul_hi_u32 s87, s80, s85
	s_mul_i32 s86, s80, s85
	s_mul_hi_u32 s2, s80, s84
	s_mul_i32 s75, s81, s84
	s_add_nc_u64 s[86:87], s[2:3], s[86:87]
	s_mul_hi_u32 s0, s81, s84
	s_mul_hi_u32 s79, s81, s85
	s_add_co_u32 s2, s86, s75
	s_add_co_ci_u32 s2, s87, s0
	s_mul_i32 s84, s81, s85
	s_add_co_ci_u32 s85, s79, 0
	s_delay_alu instid0(SALU_CYCLE_1) | instskip(NEXT) | instid1(SALU_CYCLE_1)
	s_add_nc_u64 s[84:85], s[2:3], s[84:85]
	s_add_co_u32 s80, s80, s84
	s_cselect_b32 s0, -1, 0
	s_delay_alu instid0(SALU_CYCLE_1) | instskip(SKIP_1) | instid1(SALU_CYCLE_1)
	s_cmp_lg_u32 s0, 0
	s_add_co_ci_u32 s81, s81, s85
	s_mul_u64 s[82:83], s[82:83], s[80:81]
	s_delay_alu instid0(SALU_CYCLE_1)
	s_mul_hi_u32 s85, s80, s83
	s_mul_i32 s84, s80, s83
	s_mul_hi_u32 s2, s80, s82
	s_mul_i32 s75, s81, s82
	s_add_nc_u64 s[84:85], s[2:3], s[84:85]
	s_mul_hi_u32 s0, s81, s82
	s_mul_hi_u32 s79, s81, s83
	s_add_co_u32 s2, s84, s75
	s_add_co_ci_u32 s2, s85, s0
	s_mul_i32 s82, s81, s83
	s_add_co_ci_u32 s83, s79, 0
	s_delay_alu instid0(SALU_CYCLE_1) | instskip(NEXT) | instid1(SALU_CYCLE_1)
	s_add_nc_u64 s[82:83], s[2:3], s[82:83]
	s_add_co_u32 s0, s80, s82
	s_cselect_b32 s2, -1, 0
	v_nop
	v_mul_hi_u32 v34, v22, s0
	s_cmp_lg_u32 s2, 0
	s_add_co_ci_u32 s2, s81, s83
	s_and_b64 s[80:81], s[0:1], s[68:69]
	v_mul_u64_e32 v[26:27], s[2:3], v[22:23]
	v_mul_u64_e32 v[16:17], s[80:81], v[30:31]
	;; [unrolled: 1-line block ×3, first 2 shown]
	s_delay_alu instid0(VALU_DEP_3) | instskip(NEXT) | instid1(VALU_DEP_1)
	v_add_nc_u64_e32 v[26:27], v[34:35], v[26:27]
	v_add_co_u32 v3, vcc_lo, v26, v16
	s_delay_alu instid0(VALU_DEP_2) | instskip(NEXT) | instid1(VALU_DEP_4)
	v_add_co_ci_u32_e32 v34, vcc_lo, v27, v17, vcc_lo
	v_add_co_ci_u32_e32 v33, vcc_lo, 0, v33, vcc_lo
	s_delay_alu instid0(VALU_DEP_1) | instskip(NEXT) | instid1(VALU_DEP_1)
	v_add_nc_u64_e32 v[16:17], v[34:35], v[32:33]
	v_mul_u64_e32 v[26:27], s[76:77], v[16:17]
	s_delay_alu instid0(VALU_DEP_1) | instskip(NEXT) | instid1(VALU_DEP_2)
	v_sub_nc_u32_e32 v3, v30, v27
	v_sub_co_u32 v15, vcc_lo, v22, v26
	s_delay_alu instid0(VALU_DEP_1) | instskip(NEXT) | instid1(VALU_DEP_3)
	v_sub_co_ci_u32_e64 v30, null, v30, v27, vcc_lo
	v_subrev_co_ci_u32_e64 v3, null, s77, v3, vcc_lo
	s_delay_alu instid0(VALU_DEP_3) | instskip(SKIP_1) | instid1(VALU_DEP_3)
	v_sub_co_u32 v19, s0, v15, s76
	v_add_nc_u64_e32 v[26:27], 1, v[16:17]
	v_subrev_co_ci_u32_e64 v3, null, 0, v3, s0
	s_delay_alu instid0(VALU_DEP_3) | instskip(SKIP_1) | instid1(VALU_DEP_3)
	v_cmp_le_u32_e32 vcc_lo, s76, v19
	v_cndmask_b32_e64 v19, 0, -1, vcc_lo
	v_cmp_le_u32_e32 vcc_lo, s77, v3
	v_cndmask_b32_e64 v22, 0, -1, vcc_lo
	v_cmp_le_u32_e32 vcc_lo, s76, v15
	v_cndmask_b32_e64 v15, 0, -1, vcc_lo
	v_cmp_le_u32_e32 vcc_lo, s77, v30
	v_cndmask_b32_e64 v31, 0, -1, vcc_lo
	v_cmp_eq_u32_e32 vcc_lo, s77, v3
	v_cndmask_b32_e32 v3, v22, v19, vcc_lo
	v_cmp_eq_u32_e32 vcc_lo, s77, v30
	v_add_nc_u64_e32 v[22:23], 2, v[16:17]
	v_cndmask_b32_e32 v15, v31, v15, vcc_lo
	s_delay_alu instid0(VALU_DEP_4) | instskip(NEXT) | instid1(VALU_DEP_2)
	v_cmp_ne_u32_e32 vcc_lo, 0, v3
	v_cmp_ne_u32_e64 s0, 0, v15
	s_delay_alu instid0(VALU_DEP_4) | instskip(NEXT) | instid1(VALU_DEP_1)
	v_dual_cndmask_b32 v3, v27, v23, vcc_lo :: v_dual_cndmask_b32 v15, v26, v22, vcc_lo
	v_dual_cndmask_b32 v15, v16, v15, s0 :: v_dual_bitop2_b32 v22, s74, v18 bitop3:0x14
	s_delay_alu instid0(VALU_DEP_1) | instskip(NEXT) | instid1(VALU_DEP_2)
	v_dual_cndmask_b32 v3, v17, v3, s0 :: v_dual_mov_b32 v23, v22
	v_xor_b32_e32 v16, v15, v22
	s_delay_alu instid0(VALU_DEP_2) | instskip(NEXT) | instid1(VALU_DEP_1)
	v_xor_b32_e32 v17, v3, v22
	v_sub_nc_u64_e32 v[16:17], v[16:17], v[22:23]
.LBB43_13:                              ;   in Loop: Header=BB43_3 Depth=1
	s_and_not1_saveexec_b32 s0, s73
	s_cbranch_execz .LBB43_15
; %bb.14:                               ;   in Loop: Header=BB43_3 Depth=1
	v_rcp_iflag_f32_e32 v3, v7
	s_sub_co_i32 s2, 0, s30
	v_nop
	s_delay_alu instid0(TRANS32_DEP_1) | instskip(NEXT) | instid1(VALU_DEP_1)
	v_mul_f32_e32 v3, 0x4f7ffffe, v3
	v_cvt_u32_f32_e32 v3, v3
	s_delay_alu instid0(VALU_DEP_1) | instskip(NEXT) | instid1(VALU_DEP_1)
	v_mul_lo_u32 v15, s2, v3
	v_mul_hi_u32 v15, v3, v15
	s_delay_alu instid0(VALU_DEP_1) | instskip(NEXT) | instid1(VALU_DEP_1)
	v_add_nc_u32_e32 v3, v3, v15
	v_mul_hi_u32 v3, v24, v3
	s_delay_alu instid0(VALU_DEP_1) | instskip(NEXT) | instid1(VALU_DEP_1)
	v_mul_lo_u32 v15, v3, s30
	v_sub_nc_u32_e32 v15, v24, v15
	s_delay_alu instid0(VALU_DEP_1) | instskip(SKIP_1) | instid1(VALU_DEP_2)
	v_subrev_nc_u32_e32 v17, s30, v15
	v_cmp_le_u32_e32 vcc_lo, s30, v15
	v_dual_cndmask_b32 v15, v15, v17 :: v_dual_add_nc_u32 v16, 1, v3
	s_delay_alu instid0(VALU_DEP_1) | instskip(NEXT) | instid1(VALU_DEP_2)
	v_dual_cndmask_b32 v3, v3, v16, vcc_lo :: v_dual_mov_b32 v17, v2
	v_cmp_le_u32_e32 vcc_lo, s30, v15
	s_delay_alu instid0(VALU_DEP_2) | instskip(NEXT) | instid1(VALU_DEP_1)
	v_add_nc_u32_e32 v16, 1, v3
	v_cndmask_b32_e32 v16, v3, v16, vcc_lo
.LBB43_15:                              ;   in Loop: Header=BB43_3 Depth=1
	s_or_b32 exec_lo, exec_lo, s0
	s_delay_alu instid0(VALU_DEP_1) | instskip(SKIP_3) | instid1(VALU_DEP_1)
	v_mul_u64_e32 v[22:23], s[30:31], v[16:17]
	v_mul_u64_e32 v[16:17], s[8:9], v[16:17]
	v_add_nc_u64_e32 v[12:13], 2, v[12:13]
                                        ; implicit-def: $vgpr26_vgpr27
	s_mov_b32 s0, exec_lo
	v_mul_u64_e32 v[12:13], s[4:5], v[12:13]
	s_delay_alu instid0(VALU_DEP_4) | instskip(NEXT) | instid1(VALU_DEP_4)
	v_sub_nc_u64_e32 v[22:23], v[10:11], v[22:23]
	v_lshl_add_u64 v[16:17], v[16:17], 1, s[28:29]
	s_delay_alu instid0(VALU_DEP_2) | instskip(NEXT) | instid1(VALU_DEP_1)
	v_add_nc_u64_e32 v[22:23], v[0:1], v[22:23]
	v_mul_u64_e32 v[22:23], s[10:11], v[22:23]
	s_delay_alu instid0(VALU_DEP_1) | instskip(SKIP_4) | instid1(VALU_DEP_1)
	v_lshl_add_u64 v[16:17], v[22:23], 1, v[16:17]
	v_add_nc_u64_e32 v[22:23], v[0:1], v[12:13]
	global_load_u16 v30, v[16:17], off
	s_wait_xcnt 0x0
	v_dual_ashrrev_i32 v16, 31, v23 :: v_dual_bitop2_b32 v3, s31, v23 bitop3:0x54
	v_cmpx_ne_u64_e32 0, v[2:3]
	s_xor_b32 s73, exec_lo, s0
	s_cbranch_execz .LBB43_17
; %bb.16:                               ;   in Loop: Header=BB43_3 Depth=1
	s_ashr_i32 s74, s31, 31
	v_dual_mov_b32 v17, v16 :: v_dual_mov_b32 v33, v2
	s_mov_b32 s75, s74
	v_mov_b32_e32 v41, v2
	s_add_nc_u64 s[76:77], s[30:31], s[74:75]
	s_delay_alu instid0(VALU_DEP_2)
	v_add_nc_u64_e32 v[26:27], v[22:23], v[16:17]
	s_xor_b64 s[76:77], s[76:77], s[74:75]
	v_mov_b32_e32 v37, v2
	s_cvt_f32_u32 s0, s76
	s_cvt_f32_u32 s2, s77
	s_sub_nc_u64 s[82:83], 0, s[76:77]
	s_delay_alu instid0(VALU_DEP_2) | instskip(NEXT) | instid1(SALU_CYCLE_1)
	v_xor_b32_e32 v36, v27, v16
	s_fmamk_f32 s0, s2, 0x4f800000, s0
	v_xor_b32_e32 v32, v26, v16
	s_delay_alu instid0(SALU_CYCLE_2) | instskip(NEXT) | instid1(TRANS32_DEP_1)
	v_s_rcp_f32 s0, s0
	s_mul_f32 s0, s0, 0x5f7ffffc
	s_delay_alu instid0(SALU_CYCLE_3) | instskip(NEXT) | instid1(SALU_CYCLE_3)
	s_mul_f32 s2, s0, 0x2f800000
	s_trunc_f32 s2, s2
	s_delay_alu instid0(SALU_CYCLE_3) | instskip(SKIP_1) | instid1(SALU_CYCLE_2)
	s_fmamk_f32 s0, s2, 0xcf800000, s0
	s_cvt_u32_f32 s81, s2
	s_cvt_u32_f32 s80, s0
	s_delay_alu instid0(SALU_CYCLE_3) | instskip(NEXT) | instid1(SALU_CYCLE_1)
	s_mul_u64 s[84:85], s[82:83], s[80:81]
	s_mul_hi_u32 s87, s80, s85
	s_mul_i32 s86, s80, s85
	s_mul_hi_u32 s2, s80, s84
	s_mul_i32 s75, s81, s84
	s_add_nc_u64 s[86:87], s[2:3], s[86:87]
	s_mul_hi_u32 s0, s81, s84
	s_mul_hi_u32 s79, s81, s85
	s_add_co_u32 s2, s86, s75
	s_add_co_ci_u32 s2, s87, s0
	s_mul_i32 s84, s81, s85
	s_add_co_ci_u32 s85, s79, 0
	s_delay_alu instid0(SALU_CYCLE_1) | instskip(NEXT) | instid1(SALU_CYCLE_1)
	s_add_nc_u64 s[84:85], s[2:3], s[84:85]
	s_add_co_u32 s80, s80, s84
	s_cselect_b32 s0, -1, 0
	s_delay_alu instid0(SALU_CYCLE_1) | instskip(SKIP_1) | instid1(SALU_CYCLE_1)
	s_cmp_lg_u32 s0, 0
	s_add_co_ci_u32 s81, s81, s85
	s_mul_u64 s[82:83], s[82:83], s[80:81]
	s_delay_alu instid0(SALU_CYCLE_1)
	s_mul_hi_u32 s85, s80, s83
	s_mul_i32 s84, s80, s83
	s_mul_hi_u32 s2, s80, s82
	s_mul_i32 s75, s81, s82
	s_add_nc_u64 s[84:85], s[2:3], s[84:85]
	s_mul_hi_u32 s0, s81, s82
	s_mul_hi_u32 s79, s81, s83
	s_add_co_u32 s2, s84, s75
	s_add_co_ci_u32 s2, s85, s0
	s_mul_i32 s82, s81, s83
	s_add_co_ci_u32 s83, s79, 0
	s_delay_alu instid0(SALU_CYCLE_1) | instskip(NEXT) | instid1(SALU_CYCLE_1)
	s_add_nc_u64 s[82:83], s[2:3], s[82:83]
	s_add_co_u32 s0, s80, s82
	s_cselect_b32 s2, -1, 0
	v_nop
	v_mul_hi_u32 v40, v32, s0
	s_cmp_lg_u32 s2, 0
	s_add_co_ci_u32 s2, s81, s83
	s_and_b64 s[80:81], s[0:1], s[68:69]
	v_mul_u64_e32 v[34:35], s[2:3], v[32:33]
	v_mul_u64_e32 v[26:27], s[80:81], v[36:37]
	v_mul_u64_e32 v[38:39], s[2:3], v[36:37]
	s_delay_alu instid0(VALU_DEP_3) | instskip(NEXT) | instid1(VALU_DEP_1)
	v_add_nc_u64_e32 v[34:35], v[40:41], v[34:35]
	v_add_co_u32 v3, vcc_lo, v34, v26
	s_delay_alu instid0(VALU_DEP_2) | instskip(NEXT) | instid1(VALU_DEP_4)
	v_add_co_ci_u32_e32 v40, vcc_lo, v35, v27, vcc_lo
	v_add_co_ci_u32_e32 v39, vcc_lo, 0, v39, vcc_lo
	s_delay_alu instid0(VALU_DEP_1) | instskip(NEXT) | instid1(VALU_DEP_1)
	v_add_nc_u64_e32 v[26:27], v[40:41], v[38:39]
	v_mul_u64_e32 v[34:35], s[76:77], v[26:27]
	s_delay_alu instid0(VALU_DEP_1) | instskip(NEXT) | instid1(VALU_DEP_2)
	v_sub_nc_u32_e32 v3, v36, v35
	v_sub_co_u32 v7, vcc_lo, v32, v34
	s_delay_alu instid0(VALU_DEP_1) | instskip(NEXT) | instid1(VALU_DEP_3)
	v_sub_co_ci_u32_e64 v17, null, v36, v35, vcc_lo
	v_subrev_co_ci_u32_e64 v3, null, s77, v3, vcc_lo
	s_delay_alu instid0(VALU_DEP_3) | instskip(SKIP_1) | instid1(VALU_DEP_3)
	v_sub_co_u32 v15, s0, v7, s76
	v_add_nc_u64_e32 v[32:33], 2, v[26:27]
	v_subrev_co_ci_u32_e64 v3, null, 0, v3, s0
	s_delay_alu instid0(VALU_DEP_3) | instskip(SKIP_2) | instid1(VALU_DEP_4)
	v_cmp_le_u32_e32 vcc_lo, s76, v15
	v_add_nc_u64_e32 v[34:35], 1, v[26:27]
	v_cndmask_b32_e64 v15, 0, -1, vcc_lo
	v_cmp_le_u32_e32 vcc_lo, s77, v3
	v_cndmask_b32_e64 v19, 0, -1, vcc_lo
	v_cmp_le_u32_e32 vcc_lo, s76, v7
	;; [unrolled: 2-line block ×3, first 2 shown]
	v_cndmask_b32_e64 v31, 0, -1, vcc_lo
	v_cmp_eq_u32_e32 vcc_lo, s77, v3
	v_cndmask_b32_e32 v3, v19, v15, vcc_lo
	v_cmp_eq_u32_e32 vcc_lo, s77, v17
	s_delay_alu instid0(VALU_DEP_4) | instskip(NEXT) | instid1(VALU_DEP_3)
	v_cndmask_b32_e32 v7, v31, v7, vcc_lo
	v_cmp_ne_u32_e32 vcc_lo, 0, v3
	s_delay_alu instid0(VALU_DEP_2) | instskip(SKIP_1) | instid1(VALU_DEP_1)
	v_cmp_ne_u32_e64 s0, 0, v7
	v_dual_cndmask_b32 v3, v35, v33, vcc_lo :: v_dual_cndmask_b32 v7, v34, v32, vcc_lo
	v_dual_cndmask_b32 v3, v27, v3, s0 :: v_dual_bitop2_b32 v32, s74, v16 bitop3:0x14
	s_delay_alu instid0(VALU_DEP_1) | instskip(NEXT) | instid1(VALU_DEP_2)
	v_dual_mov_b32 v33, v32 :: v_dual_cndmask_b32 v7, v26, v7, s0
	v_xor_b32_e32 v27, v3, v32
	s_delay_alu instid0(VALU_DEP_2) | instskip(NEXT) | instid1(VALU_DEP_1)
	v_xor_b32_e32 v26, v7, v32
                                        ; implicit-def: $vgpr7
	v_sub_nc_u64_e32 v[26:27], v[26:27], v[32:33]
.LBB43_17:                              ;   in Loop: Header=BB43_3 Depth=1
	s_and_not1_saveexec_b32 s0, s73
	s_cbranch_execz .LBB43_19
; %bb.18:                               ;   in Loop: Header=BB43_3 Depth=1
	v_rcp_iflag_f32_e32 v3, v7
	s_sub_co_i32 s2, 0, s30
	v_mov_b32_e32 v27, v2
	s_delay_alu instid0(TRANS32_DEP_1) | instskip(NEXT) | instid1(VALU_DEP_1)
	v_mul_f32_e32 v3, 0x4f7ffffe, v3
	v_cvt_u32_f32_e32 v3, v3
	s_delay_alu instid0(VALU_DEP_1) | instskip(NEXT) | instid1(VALU_DEP_1)
	v_mul_lo_u32 v7, s2, v3
	v_mul_hi_u32 v7, v3, v7
	s_delay_alu instid0(VALU_DEP_1) | instskip(NEXT) | instid1(VALU_DEP_1)
	v_add_nc_u32_e32 v3, v3, v7
	v_mul_hi_u32 v3, v22, v3
	s_delay_alu instid0(VALU_DEP_1) | instskip(NEXT) | instid1(VALU_DEP_1)
	v_mul_lo_u32 v7, v3, s30
	v_sub_nc_u32_e32 v7, v22, v7
	s_delay_alu instid0(VALU_DEP_1) | instskip(SKIP_1) | instid1(VALU_DEP_2)
	v_subrev_nc_u32_e32 v17, s30, v7
	v_cmp_le_u32_e32 vcc_lo, s30, v7
	v_dual_add_nc_u32 v15, 1, v3 :: v_dual_cndmask_b32 v7, v7, v17, vcc_lo
	s_delay_alu instid0(VALU_DEP_1) | instskip(NEXT) | instid1(VALU_DEP_2)
	v_cndmask_b32_e32 v3, v3, v15, vcc_lo
	v_cmp_le_u32_e32 vcc_lo, s30, v7
	s_delay_alu instid0(VALU_DEP_2) | instskip(NEXT) | instid1(VALU_DEP_1)
	v_add_nc_u32_e32 v15, 1, v3
	v_cndmask_b32_e32 v26, v3, v15, vcc_lo
.LBB43_19:                              ;   in Loop: Header=BB43_3 Depth=1
	s_or_b32 exec_lo, exec_lo, s0
	s_delay_alu instid0(VALU_DEP_1) | instskip(SKIP_3) | instid1(VALU_DEP_3)
	v_mul_u64_e32 v[32:33], s[30:31], v[26:27]
	v_mul_u64_e32 v[26:27], s[8:9], v[26:27]
	v_or_b32_e32 v3, s39, v21
	s_mov_b32 s0, exec_lo
	v_sub_nc_u64_e32 v[32:33], v[12:13], v[32:33]
	s_delay_alu instid0(VALU_DEP_3) | instskip(NEXT) | instid1(VALU_DEP_2)
	v_lshl_add_u64 v[26:27], v[26:27], 1, s[28:29]
	v_add_nc_u64_e32 v[32:33], v[0:1], v[32:33]
	s_delay_alu instid0(VALU_DEP_1) | instskip(NEXT) | instid1(VALU_DEP_1)
	v_mul_u64_e32 v[32:33], s[10:11], v[32:33]
	v_lshl_add_u64 v[26:27], v[32:33], 1, v[26:27]
	global_load_u16 v31, v[26:27], off
                                        ; implicit-def: $vgpr26_vgpr27
	s_wait_xcnt 0x0
	v_cmpx_ne_u64_e32 0, v[2:3]
	s_xor_b32 s73, exec_lo, s0
	s_cbranch_execz .LBB43_21
; %bb.20:                               ;   in Loop: Header=BB43_3 Depth=1
	s_ashr_i32 s74, s39, 31
	v_dual_mov_b32 v15, v14 :: v_dual_mov_b32 v27, v2
	s_mov_b32 s75, s74
	v_mov_b32_e32 v35, v2
	s_add_nc_u64 s[76:77], s[38:39], s[74:75]
	s_delay_alu instid0(VALU_DEP_2)
	v_add_nc_u64_e32 v[20:21], v[20:21], v[14:15]
	s_xor_b64 s[76:77], s[76:77], s[74:75]
	v_mov_b32_e32 v39, v2
	s_cvt_f32_u32 s0, s76
	s_cvt_f32_u32 s2, s77
	s_sub_nc_u64 s[82:83], 0, s[76:77]
	s_delay_alu instid0(VALU_DEP_2) | instskip(NEXT) | instid1(SALU_CYCLE_1)
	v_xor_b32_e32 v26, v20, v14
	s_fmamk_f32 s0, s2, 0x4f800000, s0
	v_xor_b32_e32 v34, v21, v14
	v_xor_b32_e32 v14, s74, v14
	s_delay_alu instid0(SALU_CYCLE_1) | instskip(NEXT) | instid1(TRANS32_DEP_1)
	v_s_rcp_f32 s0, s0
	s_mul_f32 s0, s0, 0x5f7ffffc
	s_delay_alu instid0(SALU_CYCLE_3) | instskip(NEXT) | instid1(SALU_CYCLE_3)
	s_mul_f32 s2, s0, 0x2f800000
	s_trunc_f32 s2, s2
	s_delay_alu instid0(SALU_CYCLE_3) | instskip(SKIP_1) | instid1(SALU_CYCLE_2)
	s_fmamk_f32 s0, s2, 0xcf800000, s0
	s_cvt_u32_f32 s81, s2
	s_cvt_u32_f32 s80, s0
	s_delay_alu instid0(SALU_CYCLE_3) | instskip(NEXT) | instid1(SALU_CYCLE_1)
	s_mul_u64 s[84:85], s[82:83], s[80:81]
	s_mul_hi_u32 s87, s80, s85
	s_mul_i32 s86, s80, s85
	s_mul_hi_u32 s2, s80, s84
	s_mul_i32 s75, s81, s84
	s_add_nc_u64 s[86:87], s[2:3], s[86:87]
	s_mul_hi_u32 s0, s81, s84
	s_mul_hi_u32 s79, s81, s85
	s_add_co_u32 s2, s86, s75
	s_add_co_ci_u32 s2, s87, s0
	s_mul_i32 s84, s81, s85
	s_add_co_ci_u32 s85, s79, 0
	s_delay_alu instid0(SALU_CYCLE_1) | instskip(NEXT) | instid1(SALU_CYCLE_1)
	s_add_nc_u64 s[84:85], s[2:3], s[84:85]
	s_add_co_u32 s80, s80, s84
	s_cselect_b32 s0, -1, 0
	s_delay_alu instid0(SALU_CYCLE_1) | instskip(SKIP_1) | instid1(SALU_CYCLE_1)
	s_cmp_lg_u32 s0, 0
	s_add_co_ci_u32 s81, s81, s85
	s_mul_u64 s[82:83], s[82:83], s[80:81]
	s_delay_alu instid0(SALU_CYCLE_1)
	s_mul_hi_u32 s85, s80, s83
	s_mul_i32 s84, s80, s83
	s_mul_hi_u32 s2, s80, s82
	s_mul_i32 s75, s81, s82
	s_add_nc_u64 s[84:85], s[2:3], s[84:85]
	s_mul_hi_u32 s0, s81, s82
	s_mul_hi_u32 s79, s81, s83
	s_add_co_u32 s2, s84, s75
	s_add_co_ci_u32 s2, s85, s0
	s_mul_i32 s82, s81, s83
	s_add_co_ci_u32 s83, s79, 0
	s_delay_alu instid0(SALU_CYCLE_1) | instskip(NEXT) | instid1(SALU_CYCLE_1)
	s_add_nc_u64 s[82:83], s[2:3], s[82:83]
	s_add_co_u32 s0, s80, s82
	s_cselect_b32 s2, -1, 0
	v_nop
	v_mul_hi_u32 v38, v26, s0
	s_cmp_lg_u32 s2, 0
	s_add_co_ci_u32 s2, s81, s83
	s_and_b64 s[80:81], s[0:1], s[68:69]
	v_mul_u64_e32 v[32:33], s[2:3], v[26:27]
	v_mul_u64_e32 v[20:21], s[80:81], v[34:35]
	v_mul_u64_e32 v[36:37], s[2:3], v[34:35]
	s_delay_alu instid0(VALU_DEP_3) | instskip(NEXT) | instid1(VALU_DEP_1)
	v_add_nc_u64_e32 v[32:33], v[38:39], v[32:33]
	v_add_co_u32 v3, vcc_lo, v32, v20
	s_delay_alu instid0(VALU_DEP_2) | instskip(NEXT) | instid1(VALU_DEP_4)
	v_add_co_ci_u32_e32 v38, vcc_lo, v33, v21, vcc_lo
	v_add_co_ci_u32_e32 v37, vcc_lo, 0, v37, vcc_lo
	s_delay_alu instid0(VALU_DEP_1) | instskip(NEXT) | instid1(VALU_DEP_1)
	v_add_nc_u64_e32 v[20:21], v[38:39], v[36:37]
	v_mul_u64_e32 v[32:33], s[76:77], v[20:21]
	s_delay_alu instid0(VALU_DEP_1) | instskip(NEXT) | instid1(VALU_DEP_2)
	v_sub_nc_u32_e32 v3, v34, v33
	v_sub_co_u32 v7, vcc_lo, v26, v32
	s_delay_alu instid0(VALU_DEP_1) | instskip(NEXT) | instid1(VALU_DEP_3)
	v_sub_co_ci_u32_e64 v17, null, v34, v33, vcc_lo
	v_subrev_co_ci_u32_e64 v3, null, s77, v3, vcc_lo
	s_delay_alu instid0(VALU_DEP_3) | instskip(SKIP_1) | instid1(VALU_DEP_3)
	v_sub_co_u32 v15, s0, v7, s76
	v_add_nc_u64_e32 v[26:27], 2, v[20:21]
	v_subrev_co_ci_u32_e64 v3, null, 0, v3, s0
	s_delay_alu instid0(VALU_DEP_3) | instskip(SKIP_2) | instid1(VALU_DEP_4)
	v_cmp_le_u32_e32 vcc_lo, s76, v15
	v_add_nc_u64_e32 v[32:33], 1, v[20:21]
	v_cndmask_b32_e64 v15, 0, -1, vcc_lo
	v_cmp_le_u32_e32 vcc_lo, s77, v3
	v_cndmask_b32_e64 v19, 0, -1, vcc_lo
	v_cmp_le_u32_e32 vcc_lo, s76, v7
	;; [unrolled: 2-line block ×3, first 2 shown]
	v_cndmask_b32_e64 v34, 0, -1, vcc_lo
	v_cmp_eq_u32_e32 vcc_lo, s77, v3
	v_cndmask_b32_e32 v3, v19, v15, vcc_lo
	v_cmp_eq_u32_e32 vcc_lo, s77, v17
	v_mov_b32_e32 v15, v14
	v_cndmask_b32_e32 v7, v34, v7, vcc_lo
	s_delay_alu instid0(VALU_DEP_4) | instskip(NEXT) | instid1(VALU_DEP_2)
	v_cmp_ne_u32_e32 vcc_lo, 0, v3
	v_cmp_ne_u32_e64 s0, 0, v7
	v_dual_cndmask_b32 v3, v33, v27, vcc_lo :: v_dual_cndmask_b32 v7, v32, v26, vcc_lo
	s_delay_alu instid0(VALU_DEP_1) | instskip(NEXT) | instid1(VALU_DEP_1)
	v_cndmask_b32_e64 v3, v21, v3, s0
	v_dual_cndmask_b32 v7, v20, v7, s0 :: v_dual_bitop2_b32 v21, v3, v14 bitop3:0x14
	s_delay_alu instid0(VALU_DEP_1) | instskip(NEXT) | instid1(VALU_DEP_1)
	v_xor_b32_e32 v20, v7, v14
	v_sub_nc_u64_e32 v[26:27], v[20:21], v[14:15]
                                        ; implicit-def: $vgpr20_vgpr21
.LBB43_21:                              ;   in Loop: Header=BB43_3 Depth=1
	s_or_saveexec_b32 s0, s73
	v_cvt_f32_u32_e32 v7, s38
	s_xor_b32 exec_lo, exec_lo, s0
	s_cbranch_execz .LBB43_23
; %bb.22:                               ;   in Loop: Header=BB43_3 Depth=1
	s_delay_alu instid0(VALU_DEP_1) | instskip(SKIP_2) | instid1(TRANS32_DEP_1)
	v_rcp_iflag_f32_e32 v3, v7
	s_sub_co_i32 s2, 0, s38
	v_mov_b32_e32 v27, v2
	v_mul_f32_e32 v3, 0x4f7ffffe, v3
	s_delay_alu instid0(VALU_DEP_1) | instskip(NEXT) | instid1(VALU_DEP_1)
	v_cvt_u32_f32_e32 v3, v3
	v_mul_lo_u32 v14, s2, v3
	s_delay_alu instid0(VALU_DEP_1) | instskip(NEXT) | instid1(VALU_DEP_1)
	v_mul_hi_u32 v14, v3, v14
	v_add_nc_u32_e32 v3, v3, v14
	s_delay_alu instid0(VALU_DEP_1) | instskip(NEXT) | instid1(VALU_DEP_1)
	v_mul_hi_u32 v3, v20, v3
	v_mul_lo_u32 v14, v3, s38
	s_delay_alu instid0(VALU_DEP_1) | instskip(NEXT) | instid1(VALU_DEP_1)
	v_dual_add_nc_u32 v15, 1, v3 :: v_dual_sub_nc_u32 v14, v20, v14
	v_subrev_nc_u32_e32 v17, s38, v14
	v_cmp_le_u32_e32 vcc_lo, s38, v14
	s_delay_alu instid0(VALU_DEP_2) | instskip(NEXT) | instid1(VALU_DEP_1)
	v_dual_cndmask_b32 v14, v14, v17 :: v_dual_cndmask_b32 v3, v3, v15
	v_cmp_le_u32_e32 vcc_lo, s38, v14
	s_delay_alu instid0(VALU_DEP_2) | instskip(NEXT) | instid1(VALU_DEP_1)
	v_add_nc_u32_e32 v15, 1, v3
	v_cndmask_b32_e32 v26, v3, v15, vcc_lo
.LBB43_23:                              ;   in Loop: Header=BB43_3 Depth=1
	s_or_b32 exec_lo, exec_lo, s0
	s_delay_alu instid0(VALU_DEP_1) | instskip(SKIP_2) | instid1(VALU_DEP_2)
	v_mul_u64_e32 v[14:15], s[38:39], v[26:27]
	v_or_b32_e32 v3, s39, v25
	s_mov_b32 s0, exec_lo
	v_sub_nc_u64_e32 v[8:9], v[8:9], v[14:15]
	v_mul_u64_e32 v[14:15], s[12:13], v[26:27]
	s_delay_alu instid0(VALU_DEP_2) | instskip(NEXT) | instid1(VALU_DEP_1)
	v_add_nc_u64_e32 v[8:9], v[0:1], v[8:9]
	v_mul_u64_e32 v[8:9], s[14:15], v[8:9]
	s_delay_alu instid0(VALU_DEP_3) | instskip(NEXT) | instid1(VALU_DEP_1)
	v_lshl_add_u64 v[14:15], v[14:15], 1, s[36:37]
	v_lshl_add_u64 v[8:9], v[8:9], 1, v[14:15]
	global_load_u16 v14, v[8:9], off
                                        ; implicit-def: $vgpr8_vgpr9
	s_wait_xcnt 0x0
	v_cmpx_ne_u64_e32 0, v[2:3]
	s_xor_b32 s73, exec_lo, s0
	s_cbranch_execz .LBB43_25
; %bb.24:                               ;   in Loop: Header=BB43_3 Depth=1
	s_ashr_i32 s74, s39, 31
	v_dual_mov_b32 v19, v18 :: v_dual_mov_b32 v21, v2
	s_mov_b32 s75, s74
	v_mov_b32_e32 v27, v2
	s_add_nc_u64 s[76:77], s[38:39], s[74:75]
	s_delay_alu instid0(VALU_DEP_2)
	v_add_nc_u64_e32 v[8:9], v[24:25], v[18:19]
	s_xor_b64 s[76:77], s[76:77], s[74:75]
	v_mov_b32_e32 v35, v2
	s_cvt_f32_u32 s0, s76
	s_cvt_f32_u32 s2, s77
	s_sub_nc_u64 s[82:83], 0, s[76:77]
	s_delay_alu instid0(VALU_DEP_2) | instskip(NEXT) | instid1(SALU_CYCLE_1)
	v_xor_b32_e32 v20, v8, v18
	s_fmamk_f32 s0, s2, 0x4f800000, s0
	v_xor_b32_e32 v26, v9, v18
	v_xor_b32_e32 v18, s74, v18
	s_delay_alu instid0(SALU_CYCLE_1) | instskip(NEXT) | instid1(TRANS32_DEP_1)
	v_s_rcp_f32 s0, s0
	s_mul_f32 s0, s0, 0x5f7ffffc
	s_delay_alu instid0(SALU_CYCLE_3) | instskip(NEXT) | instid1(SALU_CYCLE_3)
	s_mul_f32 s2, s0, 0x2f800000
	s_trunc_f32 s2, s2
	s_delay_alu instid0(SALU_CYCLE_3) | instskip(SKIP_1) | instid1(SALU_CYCLE_2)
	s_fmamk_f32 s0, s2, 0xcf800000, s0
	s_cvt_u32_f32 s81, s2
	s_cvt_u32_f32 s80, s0
	s_delay_alu instid0(SALU_CYCLE_3) | instskip(NEXT) | instid1(SALU_CYCLE_1)
	s_mul_u64 s[84:85], s[82:83], s[80:81]
	s_mul_hi_u32 s87, s80, s85
	s_mul_i32 s86, s80, s85
	s_mul_hi_u32 s2, s80, s84
	s_mul_i32 s75, s81, s84
	s_add_nc_u64 s[86:87], s[2:3], s[86:87]
	s_mul_hi_u32 s0, s81, s84
	s_mul_hi_u32 s79, s81, s85
	s_add_co_u32 s2, s86, s75
	s_add_co_ci_u32 s2, s87, s0
	s_mul_i32 s84, s81, s85
	s_add_co_ci_u32 s85, s79, 0
	s_delay_alu instid0(SALU_CYCLE_1) | instskip(NEXT) | instid1(SALU_CYCLE_1)
	s_add_nc_u64 s[84:85], s[2:3], s[84:85]
	s_add_co_u32 s80, s80, s84
	s_cselect_b32 s0, -1, 0
	s_delay_alu instid0(SALU_CYCLE_1) | instskip(SKIP_1) | instid1(SALU_CYCLE_1)
	s_cmp_lg_u32 s0, 0
	s_add_co_ci_u32 s81, s81, s85
	s_mul_u64 s[82:83], s[82:83], s[80:81]
	s_delay_alu instid0(SALU_CYCLE_1)
	s_mul_hi_u32 s85, s80, s83
	s_mul_i32 s84, s80, s83
	s_mul_hi_u32 s2, s80, s82
	s_mul_i32 s75, s81, s82
	s_add_nc_u64 s[84:85], s[2:3], s[84:85]
	s_mul_hi_u32 s0, s81, s82
	s_mul_hi_u32 s79, s81, s83
	s_add_co_u32 s2, s84, s75
	s_add_co_ci_u32 s2, s85, s0
	s_mul_i32 s82, s81, s83
	s_add_co_ci_u32 s83, s79, 0
	s_delay_alu instid0(SALU_CYCLE_1) | instskip(NEXT) | instid1(SALU_CYCLE_1)
	s_add_nc_u64 s[82:83], s[2:3], s[82:83]
	s_add_co_u32 s0, s80, s82
	s_cselect_b32 s2, -1, 0
	v_nop
	v_mul_hi_u32 v34, v20, s0
	s_cmp_lg_u32 s2, 0
	s_add_co_ci_u32 s2, s81, s83
	s_and_b64 s[80:81], s[0:1], s[68:69]
	v_mul_u64_e32 v[24:25], s[2:3], v[20:21]
	v_mul_u64_e32 v[8:9], s[80:81], v[26:27]
	;; [unrolled: 1-line block ×3, first 2 shown]
	s_delay_alu instid0(VALU_DEP_3) | instskip(NEXT) | instid1(VALU_DEP_1)
	v_add_nc_u64_e32 v[24:25], v[34:35], v[24:25]
	v_add_co_u32 v3, vcc_lo, v24, v8
	s_delay_alu instid0(VALU_DEP_2) | instskip(NEXT) | instid1(VALU_DEP_4)
	v_add_co_ci_u32_e32 v34, vcc_lo, v25, v9, vcc_lo
	v_add_co_ci_u32_e32 v33, vcc_lo, 0, v33, vcc_lo
	s_delay_alu instid0(VALU_DEP_1) | instskip(NEXT) | instid1(VALU_DEP_1)
	v_add_nc_u64_e32 v[8:9], v[34:35], v[32:33]
	v_mul_u64_e32 v[24:25], s[76:77], v[8:9]
	s_delay_alu instid0(VALU_DEP_1) | instskip(NEXT) | instid1(VALU_DEP_2)
	v_sub_nc_u32_e32 v3, v26, v25
	v_sub_co_u32 v15, vcc_lo, v20, v24
	s_delay_alu instid0(VALU_DEP_1) | instskip(NEXT) | instid1(VALU_DEP_3)
	v_sub_co_ci_u32_e64 v19, null, v26, v25, vcc_lo
	v_subrev_co_ci_u32_e64 v3, null, s77, v3, vcc_lo
	s_delay_alu instid0(VALU_DEP_3) | instskip(SKIP_1) | instid1(VALU_DEP_3)
	v_sub_co_u32 v17, s0, v15, s76
	v_add_nc_u64_e32 v[24:25], 1, v[8:9]
	v_subrev_co_ci_u32_e64 v3, null, 0, v3, s0
	s_delay_alu instid0(VALU_DEP_3) | instskip(SKIP_1) | instid1(VALU_DEP_3)
	v_cmp_le_u32_e32 vcc_lo, s76, v17
	v_cndmask_b32_e64 v17, 0, -1, vcc_lo
	v_cmp_le_u32_e32 vcc_lo, s77, v3
	v_cndmask_b32_e64 v20, 0, -1, vcc_lo
	;; [unrolled: 2-line block ×4, first 2 shown]
	v_cmp_eq_u32_e32 vcc_lo, s77, v3
	v_cndmask_b32_e32 v3, v20, v17, vcc_lo
	v_cmp_eq_u32_e32 vcc_lo, s77, v19
	v_add_nc_u64_e32 v[20:21], 2, v[8:9]
	v_mov_b32_e32 v19, v18
	v_cndmask_b32_e32 v15, v26, v15, vcc_lo
	v_cmp_ne_u32_e32 vcc_lo, 0, v3
	s_delay_alu instid0(VALU_DEP_2) | instskip(SKIP_1) | instid1(VALU_DEP_1)
	v_cmp_ne_u32_e64 s0, 0, v15
	v_dual_cndmask_b32 v3, v25, v21, vcc_lo :: v_dual_cndmask_b32 v15, v24, v20, vcc_lo
                                        ; implicit-def: $vgpr24_vgpr25
	v_cndmask_b32_e64 v3, v9, v3, s0
	s_delay_alu instid0(VALU_DEP_1) | instskip(NEXT) | instid1(VALU_DEP_1)
	v_dual_cndmask_b32 v8, v8, v15, s0 :: v_dual_bitop2_b32 v9, v3, v18 bitop3:0x14
	v_xor_b32_e32 v8, v8, v18
	s_delay_alu instid0(VALU_DEP_1)
	v_sub_nc_u64_e32 v[8:9], v[8:9], v[18:19]
.LBB43_25:                              ;   in Loop: Header=BB43_3 Depth=1
	s_and_not1_saveexec_b32 s0, s73
	s_cbranch_execz .LBB43_27
; %bb.26:                               ;   in Loop: Header=BB43_3 Depth=1
	v_rcp_iflag_f32_e32 v3, v7
	s_sub_co_i32 s2, 0, s38
	v_nop
	s_delay_alu instid0(TRANS32_DEP_1) | instskip(NEXT) | instid1(VALU_DEP_1)
	v_mul_f32_e32 v3, 0x4f7ffffe, v3
	v_cvt_u32_f32_e32 v3, v3
	s_delay_alu instid0(VALU_DEP_1) | instskip(NEXT) | instid1(VALU_DEP_1)
	v_mul_lo_u32 v8, s2, v3
	v_mul_hi_u32 v8, v3, v8
	s_delay_alu instid0(VALU_DEP_1) | instskip(NEXT) | instid1(VALU_DEP_1)
	v_add_nc_u32_e32 v3, v3, v8
	v_mul_hi_u32 v3, v24, v3
	s_delay_alu instid0(VALU_DEP_1) | instskip(NEXT) | instid1(VALU_DEP_1)
	v_mul_lo_u32 v8, v3, s38
	v_dual_add_nc_u32 v9, 1, v3 :: v_dual_sub_nc_u32 v8, v24, v8
	s_delay_alu instid0(VALU_DEP_1) | instskip(SKIP_1) | instid1(VALU_DEP_2)
	v_subrev_nc_u32_e32 v15, s38, v8
	v_cmp_le_u32_e32 vcc_lo, s38, v8
	v_dual_cndmask_b32 v8, v8, v15 :: v_dual_cndmask_b32 v3, v3, v9
	s_delay_alu instid0(VALU_DEP_1) | instskip(NEXT) | instid1(VALU_DEP_2)
	v_cmp_le_u32_e32 vcc_lo, s38, v8
	v_add_nc_u32_e32 v9, 1, v3
	s_delay_alu instid0(VALU_DEP_1)
	v_dual_cndmask_b32 v8, v3, v9 :: v_dual_mov_b32 v9, v2
.LBB43_27:                              ;   in Loop: Header=BB43_3 Depth=1
	s_or_b32 exec_lo, exec_lo, s0
	s_delay_alu instid0(VALU_DEP_1) | instskip(SKIP_3) | instid1(VALU_DEP_3)
	v_mul_u64_e32 v[18:19], s[38:39], v[8:9]
	v_mul_u64_e32 v[8:9], s[12:13], v[8:9]
	v_or_b32_e32 v3, s39, v23
	s_mov_b32 s0, exec_lo
	v_sub_nc_u64_e32 v[10:11], v[10:11], v[18:19]
	s_delay_alu instid0(VALU_DEP_3) | instskip(NEXT) | instid1(VALU_DEP_2)
	v_lshl_add_u64 v[8:9], v[8:9], 1, s[36:37]
	v_add_nc_u64_e32 v[10:11], v[0:1], v[10:11]
	s_delay_alu instid0(VALU_DEP_1) | instskip(NEXT) | instid1(VALU_DEP_1)
	v_mul_u64_e32 v[10:11], s[14:15], v[10:11]
	v_lshl_add_u64 v[8:9], v[10:11], 1, v[8:9]
	global_load_u16 v15, v[8:9], off
                                        ; implicit-def: $vgpr8_vgpr9
	s_wait_xcnt 0x0
	v_cmpx_ne_u64_e32 0, v[2:3]
	s_xor_b32 s73, exec_lo, s0
	s_cbranch_execz .LBB43_29
; %bb.28:                               ;   in Loop: Header=BB43_3 Depth=1
	s_ashr_i32 s74, s39, 31
	v_dual_mov_b32 v17, v16 :: v_dual_mov_b32 v11, v2
	s_mov_b32 s75, s74
	v_mov_b32_e32 v21, v2
	s_add_nc_u64 s[76:77], s[38:39], s[74:75]
	s_delay_alu instid0(VALU_DEP_2)
	v_add_nc_u64_e32 v[8:9], v[22:23], v[16:17]
	s_xor_b64 s[76:77], s[76:77], s[74:75]
	v_mov_b32_e32 v25, v2
	s_cvt_f32_u32 s0, s76
	s_cvt_f32_u32 s2, s77
	s_sub_nc_u64 s[82:83], 0, s[76:77]
	s_delay_alu instid0(VALU_DEP_2) | instskip(NEXT) | instid1(SALU_CYCLE_1)
	v_xor_b32_e32 v10, v8, v16
	s_fmamk_f32 s0, s2, 0x4f800000, s0
	v_xor_b32_e32 v20, v9, v16
	s_delay_alu instid0(SALU_CYCLE_2) | instskip(NEXT) | instid1(TRANS32_DEP_1)
	v_s_rcp_f32 s0, s0
	s_mul_f32 s0, s0, 0x5f7ffffc
	s_delay_alu instid0(SALU_CYCLE_3) | instskip(NEXT) | instid1(SALU_CYCLE_3)
	s_mul_f32 s2, s0, 0x2f800000
	s_trunc_f32 s2, s2
	s_delay_alu instid0(SALU_CYCLE_3) | instskip(SKIP_1) | instid1(SALU_CYCLE_2)
	s_fmamk_f32 s0, s2, 0xcf800000, s0
	s_cvt_u32_f32 s81, s2
	s_cvt_u32_f32 s80, s0
	s_delay_alu instid0(SALU_CYCLE_3) | instskip(NEXT) | instid1(SALU_CYCLE_1)
	s_mul_u64 s[84:85], s[82:83], s[80:81]
	s_mul_hi_u32 s87, s80, s85
	s_mul_i32 s86, s80, s85
	s_mul_hi_u32 s2, s80, s84
	s_mul_i32 s75, s81, s84
	s_add_nc_u64 s[86:87], s[2:3], s[86:87]
	s_mul_hi_u32 s0, s81, s84
	s_mul_hi_u32 s79, s81, s85
	s_add_co_u32 s2, s86, s75
	s_add_co_ci_u32 s2, s87, s0
	s_mul_i32 s84, s81, s85
	s_add_co_ci_u32 s85, s79, 0
	s_delay_alu instid0(SALU_CYCLE_1) | instskip(NEXT) | instid1(SALU_CYCLE_1)
	s_add_nc_u64 s[84:85], s[2:3], s[84:85]
	s_add_co_u32 s80, s80, s84
	s_cselect_b32 s0, -1, 0
	s_delay_alu instid0(SALU_CYCLE_1) | instskip(SKIP_1) | instid1(SALU_CYCLE_1)
	s_cmp_lg_u32 s0, 0
	s_add_co_ci_u32 s81, s81, s85
	s_mul_u64 s[82:83], s[82:83], s[80:81]
	s_delay_alu instid0(SALU_CYCLE_1)
	s_mul_hi_u32 s85, s80, s83
	s_mul_i32 s84, s80, s83
	s_mul_hi_u32 s2, s80, s82
	s_mul_i32 s75, s81, s82
	s_add_nc_u64 s[84:85], s[2:3], s[84:85]
	s_mul_hi_u32 s0, s81, s82
	s_mul_hi_u32 s79, s81, s83
	s_add_co_u32 s2, s84, s75
	s_add_co_ci_u32 s2, s85, s0
	s_mul_i32 s82, s81, s83
	s_add_co_ci_u32 s83, s79, 0
	s_delay_alu instid0(SALU_CYCLE_1) | instskip(NEXT) | instid1(SALU_CYCLE_1)
	s_add_nc_u64 s[82:83], s[2:3], s[82:83]
	s_add_co_u32 s0, s80, s82
	s_cselect_b32 s2, -1, 0
	v_nop
	v_mul_hi_u32 v24, v10, s0
	s_cmp_lg_u32 s2, 0
	s_add_co_ci_u32 s2, s81, s83
	s_and_b64 s[80:81], s[0:1], s[68:69]
	v_mul_u64_e32 v[18:19], s[2:3], v[10:11]
	v_mul_u64_e32 v[8:9], s[80:81], v[20:21]
	v_mul_u64_e32 v[22:23], s[2:3], v[20:21]
	s_delay_alu instid0(VALU_DEP_3) | instskip(NEXT) | instid1(VALU_DEP_1)
	v_add_nc_u64_e32 v[18:19], v[24:25], v[18:19]
	v_add_co_u32 v3, vcc_lo, v18, v8
	s_delay_alu instid0(VALU_DEP_2) | instskip(NEXT) | instid1(VALU_DEP_4)
	v_add_co_ci_u32_e32 v24, vcc_lo, v19, v9, vcc_lo
	v_add_co_ci_u32_e32 v23, vcc_lo, 0, v23, vcc_lo
	s_delay_alu instid0(VALU_DEP_1) | instskip(NEXT) | instid1(VALU_DEP_1)
	v_add_nc_u64_e32 v[8:9], v[24:25], v[22:23]
                                        ; implicit-def: $vgpr22_vgpr23
	v_mul_u64_e32 v[18:19], s[76:77], v[8:9]
	s_delay_alu instid0(VALU_DEP_1) | instskip(NEXT) | instid1(VALU_DEP_2)
	v_sub_nc_u32_e32 v3, v20, v19
	v_sub_co_u32 v7, vcc_lo, v10, v18
	s_delay_alu instid0(VALU_DEP_1) | instskip(NEXT) | instid1(VALU_DEP_3)
	v_sub_co_ci_u32_e64 v17, null, v20, v19, vcc_lo
	v_subrev_co_ci_u32_e64 v3, null, s77, v3, vcc_lo
	s_delay_alu instid0(VALU_DEP_3) | instskip(SKIP_1) | instid1(VALU_DEP_3)
	v_sub_co_u32 v10, s0, v7, s76
	v_add_nc_u64_e32 v[18:19], 1, v[8:9]
	v_subrev_co_ci_u32_e64 v3, null, 0, v3, s0
	s_delay_alu instid0(VALU_DEP_3) | instskip(SKIP_1) | instid1(VALU_DEP_3)
	v_cmp_le_u32_e32 vcc_lo, s76, v10
	v_cndmask_b32_e64 v10, 0, -1, vcc_lo
	v_cmp_le_u32_e32 vcc_lo, s77, v3
	v_cndmask_b32_e64 v11, 0, -1, vcc_lo
	;; [unrolled: 2-line block ×4, first 2 shown]
	v_cmp_eq_u32_e32 vcc_lo, s77, v3
	v_cndmask_b32_e32 v3, v11, v10, vcc_lo
	v_cmp_eq_u32_e32 vcc_lo, s77, v17
	v_add_nc_u64_e32 v[10:11], 2, v[8:9]
	v_cndmask_b32_e32 v7, v20, v7, vcc_lo
	s_delay_alu instid0(VALU_DEP_4) | instskip(NEXT) | instid1(VALU_DEP_2)
	v_cmp_ne_u32_e32 vcc_lo, 0, v3
	v_cmp_ne_u32_e64 s0, 0, v7
	s_delay_alu instid0(VALU_DEP_4) | instskip(NEXT) | instid1(VALU_DEP_1)
	v_dual_cndmask_b32 v3, v19, v11, vcc_lo :: v_dual_cndmask_b32 v7, v18, v10, vcc_lo
	v_dual_cndmask_b32 v3, v9, v3, s0 :: v_dual_bitop2_b32 v10, s74, v16 bitop3:0x14
	s_delay_alu instid0(VALU_DEP_1) | instskip(NEXT) | instid1(VALU_DEP_2)
	v_dual_mov_b32 v11, v10 :: v_dual_cndmask_b32 v7, v8, v7, s0
	v_xor_b32_e32 v9, v3, v10
	s_delay_alu instid0(VALU_DEP_2) | instskip(NEXT) | instid1(VALU_DEP_1)
	v_xor_b32_e32 v8, v7, v10
                                        ; implicit-def: $vgpr7
	v_sub_nc_u64_e32 v[8:9], v[8:9], v[10:11]
.LBB43_29:                              ;   in Loop: Header=BB43_3 Depth=1
	s_and_not1_saveexec_b32 s0, s73
	s_cbranch_execz .LBB43_31
; %bb.30:                               ;   in Loop: Header=BB43_3 Depth=1
	v_rcp_iflag_f32_e32 v3, v7
	s_sub_co_i32 s2, 0, s38
	v_nop
	s_delay_alu instid0(TRANS32_DEP_1) | instskip(NEXT) | instid1(VALU_DEP_1)
	v_mul_f32_e32 v3, 0x4f7ffffe, v3
	v_cvt_u32_f32_e32 v3, v3
	s_delay_alu instid0(VALU_DEP_1) | instskip(NEXT) | instid1(VALU_DEP_1)
	v_mul_lo_u32 v7, s2, v3
	v_mul_hi_u32 v7, v3, v7
	s_delay_alu instid0(VALU_DEP_1) | instskip(NEXT) | instid1(VALU_DEP_1)
	v_add_nc_u32_e32 v3, v3, v7
	v_mul_hi_u32 v3, v22, v3
	s_delay_alu instid0(VALU_DEP_1) | instskip(NEXT) | instid1(VALU_DEP_1)
	v_mul_lo_u32 v7, v3, s38
	v_sub_nc_u32_e32 v7, v22, v7
	s_delay_alu instid0(VALU_DEP_1) | instskip(SKIP_1) | instid1(VALU_DEP_2)
	v_subrev_nc_u32_e32 v9, s38, v7
	v_cmp_le_u32_e32 vcc_lo, s38, v7
	v_dual_cndmask_b32 v7, v7, v9 :: v_dual_add_nc_u32 v8, 1, v3
	s_delay_alu instid0(VALU_DEP_1) | instskip(NEXT) | instid1(VALU_DEP_2)
	v_dual_cndmask_b32 v3, v3, v8, vcc_lo :: v_dual_mov_b32 v9, v2
	v_cmp_le_u32_e32 vcc_lo, s38, v7
	s_delay_alu instid0(VALU_DEP_2) | instskip(NEXT) | instid1(VALU_DEP_1)
	v_add_nc_u32_e32 v8, 1, v3
	v_cndmask_b32_e32 v8, v3, v8, vcc_lo
.LBB43_31:                              ;   in Loop: Header=BB43_3 Depth=1
	s_or_b32 exec_lo, exec_lo, s0
	s_delay_alu instid0(VALU_DEP_1) | instskip(SKIP_3) | instid1(VALU_DEP_3)
	v_mul_u64_e32 v[10:11], s[38:39], v[8:9]
	v_mul_u64_e32 v[8:9], s[12:13], v[8:9]
	v_or_b32_e32 v3, s43, v1
	s_mov_b32 s0, exec_lo
	v_sub_nc_u64_e32 v[10:11], v[12:13], v[10:11]
	s_delay_alu instid0(VALU_DEP_3) | instskip(NEXT) | instid1(VALU_DEP_2)
	v_lshl_add_u64 v[8:9], v[8:9], 1, s[36:37]
	v_add_nc_u64_e32 v[10:11], v[0:1], v[10:11]
	s_delay_alu instid0(VALU_DEP_1) | instskip(NEXT) | instid1(VALU_DEP_1)
	v_mul_u64_e32 v[10:11], s[14:15], v[10:11]
	v_lshl_add_u64 v[8:9], v[10:11], 1, v[8:9]
	global_load_u16 v13, v[8:9], off
                                        ; implicit-def: $vgpr8_vgpr9
	s_wait_xcnt 0x0
	v_cmpx_ne_u64_e32 0, v[2:3]
	s_xor_b32 s73, exec_lo, s0
	s_cbranch_execz .LBB43_33
; %bb.32:                               ;   in Loop: Header=BB43_3 Depth=1
	s_ashr_i32 s74, s43, 31
	v_dual_mov_b32 v7, v6 :: v_dual_mov_b32 v11, v2
	s_mov_b32 s75, s74
	v_mov_b32_e32 v19, v2
	s_add_nc_u64 s[76:77], s[42:43], s[74:75]
	s_delay_alu instid0(VALU_DEP_2)
	v_add_nc_u64_e32 v[8:9], v[0:1], v[6:7]
	s_xor_b64 s[76:77], s[76:77], s[74:75]
	v_mov_b32_e32 v23, v2
	s_cvt_f32_u32 s0, s76
	s_cvt_f32_u32 s2, s77
	s_sub_nc_u64 s[82:83], 0, s[76:77]
	s_delay_alu instid0(VALU_DEP_2) | instskip(NEXT) | instid1(SALU_CYCLE_1)
	v_xor_b32_e32 v10, v8, v6
	s_fmamk_f32 s0, s2, 0x4f800000, s0
	v_xor_b32_e32 v18, v9, v6
	s_delay_alu instid0(SALU_CYCLE_2) | instskip(NEXT) | instid1(TRANS32_DEP_1)
	v_s_rcp_f32 s0, s0
	s_mul_f32 s0, s0, 0x5f7ffffc
	s_delay_alu instid0(SALU_CYCLE_3) | instskip(NEXT) | instid1(SALU_CYCLE_3)
	s_mul_f32 s2, s0, 0x2f800000
	s_trunc_f32 s2, s2
	s_delay_alu instid0(SALU_CYCLE_3) | instskip(SKIP_1) | instid1(SALU_CYCLE_2)
	s_fmamk_f32 s0, s2, 0xcf800000, s0
	s_cvt_u32_f32 s81, s2
	s_cvt_u32_f32 s80, s0
	s_delay_alu instid0(SALU_CYCLE_3) | instskip(NEXT) | instid1(SALU_CYCLE_1)
	s_mul_u64 s[84:85], s[82:83], s[80:81]
	s_mul_hi_u32 s87, s80, s85
	s_mul_i32 s86, s80, s85
	s_mul_hi_u32 s2, s80, s84
	s_mul_i32 s75, s81, s84
	s_add_nc_u64 s[86:87], s[2:3], s[86:87]
	s_mul_hi_u32 s0, s81, s84
	s_mul_hi_u32 s79, s81, s85
	s_add_co_u32 s2, s86, s75
	s_add_co_ci_u32 s2, s87, s0
	s_mul_i32 s84, s81, s85
	s_add_co_ci_u32 s85, s79, 0
	s_delay_alu instid0(SALU_CYCLE_1) | instskip(NEXT) | instid1(SALU_CYCLE_1)
	s_add_nc_u64 s[84:85], s[2:3], s[84:85]
	s_add_co_u32 s80, s80, s84
	s_cselect_b32 s0, -1, 0
	s_delay_alu instid0(SALU_CYCLE_1) | instskip(SKIP_1) | instid1(SALU_CYCLE_1)
	s_cmp_lg_u32 s0, 0
	s_add_co_ci_u32 s81, s81, s85
	s_mul_u64 s[82:83], s[82:83], s[80:81]
	s_delay_alu instid0(SALU_CYCLE_1)
	s_mul_hi_u32 s85, s80, s83
	s_mul_i32 s84, s80, s83
	s_mul_hi_u32 s2, s80, s82
	s_mul_i32 s75, s81, s82
	s_add_nc_u64 s[84:85], s[2:3], s[84:85]
	s_mul_hi_u32 s0, s81, s82
	s_mul_hi_u32 s79, s81, s83
	s_add_co_u32 s2, s84, s75
	s_add_co_ci_u32 s2, s85, s0
	s_mul_i32 s82, s81, s83
	s_add_co_ci_u32 s83, s79, 0
	s_delay_alu instid0(SALU_CYCLE_1) | instskip(NEXT) | instid1(SALU_CYCLE_1)
	s_add_nc_u64 s[82:83], s[2:3], s[82:83]
	s_add_co_u32 s0, s80, s82
	s_cselect_b32 s2, -1, 0
	v_nop
	v_mul_hi_u32 v22, v10, s0
	s_cmp_lg_u32 s2, 0
	s_add_co_ci_u32 s2, s81, s83
	s_and_b64 s[80:81], s[0:1], s[68:69]
	v_mul_u64_e32 v[16:17], s[2:3], v[10:11]
	v_mul_u64_e32 v[8:9], s[80:81], v[18:19]
	;; [unrolled: 1-line block ×3, first 2 shown]
	s_delay_alu instid0(VALU_DEP_3) | instskip(NEXT) | instid1(VALU_DEP_1)
	v_add_nc_u64_e32 v[16:17], v[22:23], v[16:17]
	v_add_co_u32 v3, vcc_lo, v16, v8
	s_delay_alu instid0(VALU_DEP_2) | instskip(NEXT) | instid1(VALU_DEP_4)
	v_add_co_ci_u32_e32 v22, vcc_lo, v17, v9, vcc_lo
	v_add_co_ci_u32_e32 v21, vcc_lo, 0, v21, vcc_lo
	s_delay_alu instid0(VALU_DEP_1) | instskip(NEXT) | instid1(VALU_DEP_1)
	v_add_nc_u64_e32 v[8:9], v[22:23], v[20:21]
	v_mul_u64_e32 v[16:17], s[76:77], v[8:9]
	s_delay_alu instid0(VALU_DEP_1) | instskip(NEXT) | instid1(VALU_DEP_2)
	v_sub_nc_u32_e32 v3, v18, v17
	v_sub_co_u32 v7, vcc_lo, v10, v16
	s_delay_alu instid0(VALU_DEP_1) | instskip(NEXT) | instid1(VALU_DEP_3)
	v_sub_co_ci_u32_e64 v12, null, v18, v17, vcc_lo
	v_subrev_co_ci_u32_e64 v3, null, s77, v3, vcc_lo
	s_delay_alu instid0(VALU_DEP_3) | instskip(SKIP_1) | instid1(VALU_DEP_3)
	v_sub_co_u32 v10, s0, v7, s76
	v_add_nc_u64_e32 v[16:17], 1, v[8:9]
	v_subrev_co_ci_u32_e64 v3, null, 0, v3, s0
	s_delay_alu instid0(VALU_DEP_3) | instskip(SKIP_1) | instid1(VALU_DEP_3)
	v_cmp_le_u32_e32 vcc_lo, s76, v10
	v_cndmask_b32_e64 v10, 0, -1, vcc_lo
	v_cmp_le_u32_e32 vcc_lo, s77, v3
	v_cndmask_b32_e64 v11, 0, -1, vcc_lo
	;; [unrolled: 2-line block ×4, first 2 shown]
	v_cmp_eq_u32_e32 vcc_lo, s77, v3
	v_cndmask_b32_e32 v3, v11, v10, vcc_lo
	v_cmp_eq_u32_e32 vcc_lo, s77, v12
	v_add_nc_u64_e32 v[10:11], 2, v[8:9]
	v_cndmask_b32_e32 v7, v18, v7, vcc_lo
	s_delay_alu instid0(VALU_DEP_4) | instskip(NEXT) | instid1(VALU_DEP_2)
	v_cmp_ne_u32_e32 vcc_lo, 0, v3
	v_cmp_ne_u32_e64 s0, 0, v7
	s_delay_alu instid0(VALU_DEP_4) | instskip(NEXT) | instid1(VALU_DEP_1)
	v_dual_cndmask_b32 v3, v17, v11, vcc_lo :: v_dual_cndmask_b32 v7, v16, v10, vcc_lo
	v_dual_cndmask_b32 v3, v9, v3, s0 :: v_dual_bitop2_b32 v10, s74, v6 bitop3:0x14
	s_delay_alu instid0(VALU_DEP_1) | instskip(NEXT) | instid1(VALU_DEP_2)
	v_dual_mov_b32 v11, v10 :: v_dual_cndmask_b32 v7, v8, v7, s0
	v_xor_b32_e32 v9, v3, v10
	s_delay_alu instid0(VALU_DEP_2) | instskip(NEXT) | instid1(VALU_DEP_1)
	v_xor_b32_e32 v8, v7, v10
	v_sub_nc_u64_e32 v[8:9], v[8:9], v[10:11]
.LBB43_33:                              ;   in Loop: Header=BB43_3 Depth=1
	s_and_not1_saveexec_b32 s0, s73
	s_cbranch_execz .LBB43_35
; %bb.34:                               ;   in Loop: Header=BB43_3 Depth=1
	v_cvt_f32_u32_e32 v3, s42
	s_sub_co_i32 s2, 0, s42
	s_delay_alu instid0(VALU_DEP_1) | instskip(SKIP_1) | instid1(TRANS32_DEP_1)
	v_rcp_iflag_f32_e32 v3, v3
	v_nop
	v_mul_f32_e32 v3, 0x4f7ffffe, v3
	s_delay_alu instid0(VALU_DEP_1) | instskip(NEXT) | instid1(VALU_DEP_1)
	v_cvt_u32_f32_e32 v3, v3
	v_mul_lo_u32 v7, s2, v3
	s_delay_alu instid0(VALU_DEP_1) | instskip(NEXT) | instid1(VALU_DEP_1)
	v_mul_hi_u32 v7, v3, v7
	v_add_nc_u32_e32 v3, v3, v7
	s_delay_alu instid0(VALU_DEP_1) | instskip(NEXT) | instid1(VALU_DEP_1)
	v_mul_hi_u32 v3, v0, v3
	v_mul_lo_u32 v7, v3, s42
	s_delay_alu instid0(VALU_DEP_1) | instskip(NEXT) | instid1(VALU_DEP_1)
	v_sub_nc_u32_e32 v7, v0, v7
	v_subrev_nc_u32_e32 v9, s42, v7
	v_cmp_le_u32_e32 vcc_lo, s42, v7
	s_delay_alu instid0(VALU_DEP_2) | instskip(NEXT) | instid1(VALU_DEP_1)
	v_dual_cndmask_b32 v7, v7, v9 :: v_dual_add_nc_u32 v8, 1, v3
	v_dual_cndmask_b32 v3, v3, v8, vcc_lo :: v_dual_mov_b32 v9, v2
	s_delay_alu instid0(VALU_DEP_2) | instskip(NEXT) | instid1(VALU_DEP_2)
	v_cmp_le_u32_e32 vcc_lo, s42, v7
	v_add_nc_u32_e32 v8, 1, v3
	s_delay_alu instid0(VALU_DEP_1)
	v_cndmask_b32_e32 v8, v3, v8, vcc_lo
.LBB43_35:                              ;   in Loop: Header=BB43_3 Depth=1
	s_or_b32 exec_lo, exec_lo, s0
	s_delay_alu instid0(VALU_DEP_1) | instskip(SKIP_1) | instid1(VALU_DEP_1)
	v_mad_nc_u64_u32 v[10:11], s66, v8, v[0:1]
	s_mov_b32 s0, exec_lo
	v_mad_u32 v3, s67, v8, v11
	s_delay_alu instid0(VALU_DEP_1) | instskip(SKIP_2) | instid1(VALU_DEP_3)
	v_mad_u32 v11, s66, v9, v3
	v_mul_u64_e32 v[8:9], s[16:17], v[8:9]
	v_or_b32_e32 v3, s51, v1
	v_mul_u64_e32 v[10:11], s[18:19], v[10:11]
	s_delay_alu instid0(VALU_DEP_3) | instskip(NEXT) | instid1(VALU_DEP_1)
	v_lshl_add_u64 v[8:9], v[8:9], 1, s[40:41]
	v_lshl_add_u64 v[8:9], v[10:11], 1, v[8:9]
                                        ; implicit-def: $vgpr10_vgpr11
	global_load_u16 v12, v[8:9], off
	s_wait_xcnt 0x0
	v_cmpx_ne_u64_e32 0, v[2:3]
	s_xor_b32 s73, exec_lo, s0
	s_cbranch_execnz .LBB43_39
; %bb.36:                               ;   in Loop: Header=BB43_3 Depth=1
	s_and_not1_saveexec_b32 s0, s73
	s_cbranch_execnz .LBB43_40
.LBB43_37:                              ;   in Loop: Header=BB43_3 Depth=1
	s_or_b32 exec_lo, exec_lo, s0
	s_delay_alu instid0(SALU_CYCLE_1)
	s_and_not1_b32 vcc_lo, exec_lo, s1
	s_cbranch_vccnz .LBB43_41
.LBB43_38:                              ;   in Loop: Header=BB43_3 Depth=1
	v_sub_nc_u64_e32 v[6:7], 1, v[4:5]
	v_mad_nc_u64_u32 v[8:9], s64, v4, v[0:1]
	v_sub_nc_u64_e32 v[16:17], 2, v[4:5]
	s_delay_alu instid0(VALU_DEP_3) | instskip(NEXT) | instid1(VALU_DEP_2)
	v_mad_nc_u64_u32 v[18:19], s4, v6, v[0:1]
	v_mad_nc_u64_u32 v[20:21], s4, v16, v[0:1]
	s_delay_alu instid0(VALU_DEP_4) | instskip(NEXT) | instid1(VALU_DEP_3)
	v_mad_u32 v3, s65, v4, v9
	v_mad_u32 v6, s5, v6, v19
	s_delay_alu instid0(VALU_DEP_3) | instskip(NEXT) | instid1(VALU_DEP_3)
	v_mad_u32 v16, s5, v16, v21
	v_mad_u32 v9, s64, v5, v3
	s_delay_alu instid0(VALU_DEP_3) | instskip(NEXT) | instid1(VALU_DEP_3)
	v_mad_u32 v19, s4, v7, v6
	v_mad_u32 v21, s4, v17, v16
	s_delay_alu instid0(VALU_DEP_3) | instskip(SKIP_1) | instid1(VALU_DEP_4)
	v_mul_u64_e32 v[6:7], s[44:45], v[8:9]
	v_mul_u64_e32 v[8:9], s[48:49], v[8:9]
	;; [unrolled: 1-line block ×6, first 2 shown]
	v_lshl_add_u64 v[6:7], v[6:7], 1, s[34:35]
	v_lshl_add_u64 v[8:9], v[8:9], 1, s[46:47]
	global_load_u16 v3, v[6:7], off
	s_wait_xcnt 0x0
	v_lshl_add_u64 v[6:7], v[16:17], 1, s[34:35]
	v_lshl_add_u64 v[16:17], v[18:19], 1, s[46:47]
	;; [unrolled: 1-line block ×4, first 2 shown]
	global_load_u16 v8, v[8:9], off
	global_load_u16 v6, v[6:7], off
	;; [unrolled: 1-line block ×5, first 2 shown]
	s_wait_loadcnt 0x5
	v_cvt_f32_f16_e32 v16, v3
	s_wait_loadcnt 0x4
	v_cvt_f32_f16_e32 v9, v8
	;; [unrolled: 2-line block ×6, first 2 shown]
	s_branch .LBB43_42
.LBB43_39:                              ;   in Loop: Header=BB43_3 Depth=1
	s_ashr_i32 s74, s51, 31
	v_dual_mov_b32 v7, v6 :: v_dual_mov_b32 v11, v2
	s_mov_b32 s75, s74
	v_mov_b32_e32 v19, v2
	s_add_nc_u64 s[76:77], s[50:51], s[74:75]
	s_delay_alu instid0(VALU_DEP_2)
	v_add_nc_u64_e32 v[8:9], v[0:1], v[6:7]
	s_xor_b64 s[76:77], s[76:77], s[74:75]
	v_mov_b32_e32 v23, v2
	s_cvt_f32_u32 s0, s76
	s_cvt_f32_u32 s2, s77
	s_sub_nc_u64 s[82:83], 0, s[76:77]
	s_delay_alu instid0(VALU_DEP_2) | instskip(NEXT) | instid1(SALU_CYCLE_1)
	v_xor_b32_e32 v10, v8, v6
	s_fmamk_f32 s0, s2, 0x4f800000, s0
	v_xor_b32_e32 v18, v9, v6
	v_xor_b32_e32 v6, s74, v6
	s_delay_alu instid0(SALU_CYCLE_1) | instskip(NEXT) | instid1(TRANS32_DEP_1)
	v_s_rcp_f32 s0, s0
	s_mul_f32 s0, s0, 0x5f7ffffc
	s_delay_alu instid0(SALU_CYCLE_3) | instskip(NEXT) | instid1(SALU_CYCLE_3)
	s_mul_f32 s2, s0, 0x2f800000
	s_trunc_f32 s2, s2
	s_delay_alu instid0(SALU_CYCLE_3) | instskip(SKIP_1) | instid1(SALU_CYCLE_2)
	s_fmamk_f32 s0, s2, 0xcf800000, s0
	s_cvt_u32_f32 s81, s2
	s_cvt_u32_f32 s80, s0
	s_delay_alu instid0(SALU_CYCLE_3) | instskip(NEXT) | instid1(SALU_CYCLE_1)
	s_mul_u64 s[84:85], s[82:83], s[80:81]
	s_mul_hi_u32 s87, s80, s85
	s_mul_i32 s86, s80, s85
	s_mul_hi_u32 s2, s80, s84
	s_mul_i32 s75, s81, s84
	s_add_nc_u64 s[86:87], s[2:3], s[86:87]
	s_mul_hi_u32 s0, s81, s84
	s_mul_hi_u32 s79, s81, s85
	s_add_co_u32 s2, s86, s75
	s_add_co_ci_u32 s2, s87, s0
	s_mul_i32 s84, s81, s85
	s_add_co_ci_u32 s85, s79, 0
	s_delay_alu instid0(SALU_CYCLE_1) | instskip(NEXT) | instid1(SALU_CYCLE_1)
	s_add_nc_u64 s[84:85], s[2:3], s[84:85]
	s_add_co_u32 s80, s80, s84
	s_cselect_b32 s0, -1, 0
	s_delay_alu instid0(SALU_CYCLE_1) | instskip(SKIP_1) | instid1(SALU_CYCLE_1)
	s_cmp_lg_u32 s0, 0
	s_add_co_ci_u32 s81, s81, s85
	s_mul_u64 s[82:83], s[82:83], s[80:81]
	s_delay_alu instid0(SALU_CYCLE_1)
	s_mul_hi_u32 s85, s80, s83
	s_mul_i32 s84, s80, s83
	s_mul_hi_u32 s2, s80, s82
	s_mul_i32 s75, s81, s82
	s_add_nc_u64 s[84:85], s[2:3], s[84:85]
	s_mul_hi_u32 s0, s81, s82
	s_mul_hi_u32 s79, s81, s83
	s_add_co_u32 s2, s84, s75
	s_add_co_ci_u32 s2, s85, s0
	s_mul_i32 s82, s81, s83
	s_add_co_ci_u32 s83, s79, 0
	s_delay_alu instid0(SALU_CYCLE_1) | instskip(NEXT) | instid1(SALU_CYCLE_1)
	s_add_nc_u64 s[82:83], s[2:3], s[82:83]
	s_add_co_u32 s0, s80, s82
	s_cselect_b32 s2, -1, 0
	v_nop
	v_mul_hi_u32 v22, v10, s0
	s_cmp_lg_u32 s2, 0
	s_add_co_ci_u32 s2, s81, s83
	s_and_b64 s[80:81], s[0:1], s[68:69]
	v_mul_u64_e32 v[16:17], s[2:3], v[10:11]
	v_mul_u64_e32 v[8:9], s[80:81], v[18:19]
	;; [unrolled: 1-line block ×3, first 2 shown]
	s_delay_alu instid0(VALU_DEP_3) | instskip(NEXT) | instid1(VALU_DEP_1)
	v_add_nc_u64_e32 v[16:17], v[22:23], v[16:17]
	v_add_co_u32 v3, vcc_lo, v16, v8
	s_delay_alu instid0(VALU_DEP_2) | instskip(NEXT) | instid1(VALU_DEP_4)
	v_add_co_ci_u32_e32 v22, vcc_lo, v17, v9, vcc_lo
	v_add_co_ci_u32_e32 v21, vcc_lo, 0, v21, vcc_lo
	s_delay_alu instid0(VALU_DEP_1) | instskip(NEXT) | instid1(VALU_DEP_1)
	v_add_nc_u64_e32 v[8:9], v[22:23], v[20:21]
	v_mul_u64_e32 v[16:17], s[76:77], v[8:9]
	s_delay_alu instid0(VALU_DEP_1) | instskip(NEXT) | instid1(VALU_DEP_2)
	v_sub_nc_u32_e32 v3, v18, v17
	v_sub_co_u32 v7, vcc_lo, v10, v16
	s_delay_alu instid0(VALU_DEP_1) | instskip(NEXT) | instid1(VALU_DEP_3)
	v_sub_co_ci_u32_e64 v18, null, v18, v17, vcc_lo
	v_subrev_co_ci_u32_e64 v3, null, s77, v3, vcc_lo
	s_delay_alu instid0(VALU_DEP_3) | instskip(SKIP_1) | instid1(VALU_DEP_3)
	v_sub_co_u32 v10, s0, v7, s76
	v_add_nc_u64_e32 v[16:17], 1, v[8:9]
	v_subrev_co_ci_u32_e64 v3, null, 0, v3, s0
	s_delay_alu instid0(VALU_DEP_3) | instskip(SKIP_1) | instid1(VALU_DEP_3)
	v_cmp_le_u32_e32 vcc_lo, s76, v10
	v_cndmask_b32_e64 v10, 0, -1, vcc_lo
	v_cmp_le_u32_e32 vcc_lo, s77, v3
	v_cndmask_b32_e64 v11, 0, -1, vcc_lo
	;; [unrolled: 2-line block ×4, first 2 shown]
	v_cmp_eq_u32_e32 vcc_lo, s77, v3
	v_cndmask_b32_e32 v3, v11, v10, vcc_lo
	v_cmp_eq_u32_e32 vcc_lo, s77, v18
	v_add_nc_u64_e32 v[10:11], 2, v[8:9]
	v_cndmask_b32_e32 v7, v19, v7, vcc_lo
	s_delay_alu instid0(VALU_DEP_4) | instskip(NEXT) | instid1(VALU_DEP_2)
	v_cmp_ne_u32_e32 vcc_lo, 0, v3
	v_cmp_ne_u32_e64 s0, 0, v7
	s_delay_alu instid0(VALU_DEP_4) | instskip(NEXT) | instid1(VALU_DEP_1)
	v_dual_cndmask_b32 v3, v17, v11, vcc_lo :: v_dual_cndmask_b32 v7, v16, v10, vcc_lo
	v_cndmask_b32_e64 v3, v9, v3, s0
	s_delay_alu instid0(VALU_DEP_2) | instskip(NEXT) | instid1(VALU_DEP_2)
	v_dual_cndmask_b32 v8, v8, v7, s0 :: v_dual_mov_b32 v7, v6
	v_xor_b32_e32 v9, v3, v6
	s_delay_alu instid0(VALU_DEP_2) | instskip(NEXT) | instid1(VALU_DEP_1)
	v_xor_b32_e32 v8, v8, v6
	v_sub_nc_u64_e32 v[10:11], v[8:9], v[6:7]
	s_and_not1_saveexec_b32 s0, s73
	s_cbranch_execz .LBB43_37
.LBB43_40:                              ;   in Loop: Header=BB43_3 Depth=1
	v_cvt_f32_u32_e32 v3, s50
	s_sub_co_i32 s2, 0, s50
	v_mov_b32_e32 v11, v2
	s_delay_alu instid0(VALU_DEP_2) | instskip(SKIP_1) | instid1(TRANS32_DEP_1)
	v_rcp_iflag_f32_e32 v3, v3
	v_nop
	v_mul_f32_e32 v3, 0x4f7ffffe, v3
	s_delay_alu instid0(VALU_DEP_1) | instskip(NEXT) | instid1(VALU_DEP_1)
	v_cvt_u32_f32_e32 v3, v3
	v_mul_lo_u32 v6, s2, v3
	s_delay_alu instid0(VALU_DEP_1) | instskip(NEXT) | instid1(VALU_DEP_1)
	v_mul_hi_u32 v6, v3, v6
	v_add_nc_u32_e32 v3, v3, v6
	s_delay_alu instid0(VALU_DEP_1) | instskip(NEXT) | instid1(VALU_DEP_1)
	v_mul_hi_u32 v3, v0, v3
	v_mul_lo_u32 v6, v3, s50
	s_delay_alu instid0(VALU_DEP_1) | instskip(NEXT) | instid1(VALU_DEP_1)
	v_dual_add_nc_u32 v7, 1, v3 :: v_dual_sub_nc_u32 v6, v0, v6
	v_subrev_nc_u32_e32 v8, s50, v6
	v_cmp_le_u32_e32 vcc_lo, s50, v6
	s_delay_alu instid0(VALU_DEP_2) | instskip(NEXT) | instid1(VALU_DEP_1)
	v_dual_cndmask_b32 v6, v6, v8 :: v_dual_cndmask_b32 v3, v3, v7
	v_cmp_le_u32_e32 vcc_lo, s50, v6
	s_delay_alu instid0(VALU_DEP_2) | instskip(NEXT) | instid1(VALU_DEP_1)
	v_add_nc_u32_e32 v7, 1, v3
	v_cndmask_b32_e32 v10, v3, v7, vcc_lo
	s_or_b32 exec_lo, exec_lo, s0
	s_delay_alu instid0(SALU_CYCLE_1)
	s_and_not1_b32 vcc_lo, exec_lo, s1
	s_cbranch_vccz .LBB43_38
.LBB43_41:                              ;   in Loop: Header=BB43_3 Depth=1
	v_dual_mov_b32 v8, 0 :: v_dual_mov_b32 v3, 0
	v_dual_mov_b32 v9, 0 :: v_dual_mov_b32 v7, 0
	;; [unrolled: 1-line block ×3, first 2 shown]
.LBB43_42:                              ;   in Loop: Header=BB43_3 Depth=1
	s_wait_loadcnt 0x6
	v_cvt_f32_f16_e32 v17, v29
	s_wait_loadcnt 0x3
	v_cvt_f32_f16_e32 v14, v14
	s_wait_loadcnt 0x1
	v_cvt_f32_f16_e32 v13, v13
	s_delay_alu instid0(VALU_DEP_1) | instskip(NEXT) | instid1(VALU_DEP_1)
	v_dual_add_f32 v14, v17, v14 :: v_dual_add_f32 v13, v8, v13
	v_add_f32_e32 v14, v14, v16
	s_delay_alu instid0(VALU_DEP_1) | instskip(NEXT) | instid1(VALU_DEP_1)
	v_add_f32_e32 v9, v9, v14
	v_mul_f32_e32 v14, 0xbfb8aa3b, v9
	s_delay_alu instid0(VALU_DEP_1) | instskip(SKIP_1) | instid1(VALU_DEP_1)
	v_fma_f32 v16, 0xbfb8aa3b, v9, -v14
	v_rndne_f32_e32 v17, v14
	v_sub_f32_e32 v14, v14, v17
	s_delay_alu instid0(VALU_DEP_3) | instskip(SKIP_1) | instid1(VALU_DEP_2)
	v_fmac_f32_e32 v16, 0xb2a5705f, v9
	v_cmp_nlt_f32_e32 vcc_lo, 0x42ce8ed0, v9
	v_add_f32_e32 v14, v14, v16
	v_cvt_i32_f32_e32 v16, v17
	s_delay_alu instid0(VALU_DEP_2) | instskip(SKIP_1) | instid1(TRANS32_DEP_1)
	v_exp_f32_e32 v14, v14
	v_nop
	v_ldexp_f32 v14, v14, v16
	s_delay_alu instid0(VALU_DEP_1) | instskip(SKIP_1) | instid1(VALU_DEP_2)
	v_cndmask_b32_e32 v14, 0, v14, vcc_lo
	v_cmp_ngt_f32_e32 vcc_lo, 0xc2b17218, v9
	v_cndmask_b32_e32 v9, 0x7f800000, v14, vcc_lo
	s_delay_alu instid0(VALU_DEP_1) | instskip(NEXT) | instid1(VALU_DEP_1)
	v_add_f32_e32 v9, 1.0, v9
	v_div_scale_f32 v14, null, v9, v9, 1.0
	v_div_scale_f32 v18, vcc_lo, 1.0, v9, 1.0
	s_delay_alu instid0(VALU_DEP_2) | instskip(SKIP_1) | instid1(TRANS32_DEP_1)
	v_rcp_f32_e32 v16, v14
	v_nop
	v_fma_f32 v17, -v14, v16, 1.0
	s_delay_alu instid0(VALU_DEP_1) | instskip(NEXT) | instid1(VALU_DEP_1)
	v_fmac_f32_e32 v16, v17, v16
	v_mul_f32_e32 v17, v18, v16
	s_delay_alu instid0(VALU_DEP_1) | instskip(NEXT) | instid1(VALU_DEP_1)
	v_fma_f32 v19, -v14, v17, v18
	v_fmac_f32_e32 v17, v19, v16
	s_delay_alu instid0(VALU_DEP_1) | instskip(SKIP_1) | instid1(VALU_DEP_2)
	v_fma_f32 v14, -v14, v17, v18
	v_cvt_f32_f16_e32 v18, v31
	v_div_fmas_f32 v14, v14, v16, v17
	s_delay_alu instid0(VALU_DEP_2) | instskip(NEXT) | instid1(VALU_DEP_2)
	v_add_f32_e32 v7, v7, v18
	v_div_fixup_f32 v17, v14, v9, 1.0
                                        ; implicit-def: $vgpr14
	s_delay_alu instid0(VALU_DEP_1) | instskip(NEXT) | instid1(VALU_DEP_1)
	v_fmac_f32_e32 v7, v13, v17
	v_cmp_ngt_f32_e64 s0, 0x3f200000, |v7|
	s_wait_xcnt 0x0
	s_and_saveexec_b32 s2, s0
	s_delay_alu instid0(SALU_CYCLE_1)
	s_xor_b32 s0, exec_lo, s2
	s_cbranch_execz .LBB43_44
; %bb.43:                               ;   in Loop: Header=BB43_3 Depth=1
	v_add_f32_e64 v8, |v7|, |v7|
	s_delay_alu instid0(VALU_DEP_1) | instskip(SKIP_1) | instid1(VALU_DEP_2)
	v_mul_f32_e32 v9, 0x3fb8aa3b, v8
	v_cmp_ngt_f32_e32 vcc_lo, 0xc2ce8ed0, v8
	v_rndne_f32_e32 v14, v9
	v_fma_f32 v16, 0x3fb8aa3b, v8, -v9
	s_delay_alu instid0(VALU_DEP_1) | instskip(SKIP_1) | instid1(VALU_DEP_2)
	v_dual_sub_f32 v9, v9, v14 :: v_dual_fmac_f32 v16, 0x32a5705f, v8
	v_cvt_i32_f32_e32 v14, v14
	v_add_f32_e32 v9, v9, v16
	s_delay_alu instid0(VALU_DEP_1) | instskip(SKIP_1) | instid1(TRANS32_DEP_1)
	v_exp_f32_e32 v9, v9
	v_nop
	v_ldexp_f32 v9, v9, v14
	s_delay_alu instid0(VALU_DEP_1) | instskip(SKIP_1) | instid1(VALU_DEP_2)
	v_cndmask_b32_e32 v9, 0, v9, vcc_lo
	v_cmp_nlt_f32_e32 vcc_lo, 0x42b17218, v8
	v_cndmask_b32_e32 v8, 0x7f800000, v9, vcc_lo
	s_delay_alu instid0(VALU_DEP_1) | instskip(NEXT) | instid1(VALU_DEP_1)
	v_add_f32_e32 v8, 1.0, v8
	v_rcp_f32_e32 v8, v8
	v_nop
	s_delay_alu instid0(TRANS32_DEP_1)
	v_fma_f32 v14, v8, -2.0, 1.0
.LBB43_44:                              ;   in Loop: Header=BB43_3 Depth=1
	s_and_not1_saveexec_b32 s0, s0
	s_cbranch_execz .LBB43_46
; %bb.45:                               ;   in Loop: Header=BB43_3 Depth=1
	v_mul_f32_e32 v8, v7, v7
	s_delay_alu instid0(VALU_DEP_1) | instskip(NEXT) | instid1(VALU_DEP_1)
	v_fmaak_f32 v9, s33, v8, 0x3ca908c9
	v_fmaak_f32 v9, v8, v9, 0xbd5c1c4e
	s_delay_alu instid0(VALU_DEP_1) | instskip(NEXT) | instid1(VALU_DEP_1)
	v_fmaak_f32 v9, v8, v9, 0x3e088382
	v_fmaak_f32 v9, v8, v9, 0xbeaaaa99
	s_delay_alu instid0(VALU_DEP_1) | instskip(NEXT) | instid1(VALU_DEP_1)
	v_mul_f32_e64 v9, |v7|, v9
	v_fma_f32 v14, v8, v9, |v7|
.LBB43_46:                              ;   in Loop: Header=BB43_3 Depth=1
	s_or_b32 exec_lo, exec_lo, s0
	v_cvt_f32_f16_e32 v8, v30
	v_cvt_f32_f16_e32 v9, v15
	v_mad_nc_u64_u32 v[18:19], s70, v10, v[0:1]
	s_delay_alu instid0(VALU_DEP_2) | instskip(NEXT) | instid1(VALU_DEP_1)
	v_add_f32_e32 v8, v8, v9
	v_add_f32_e32 v6, v8, v6
	s_delay_alu instid0(VALU_DEP_1) | instskip(NEXT) | instid1(VALU_DEP_1)
	v_add_f32_e32 v3, v3, v6
	v_mul_f32_e32 v6, 0xbfb8aa3b, v3
	v_cmp_nlt_f32_e32 vcc_lo, 0x42ce8ed0, v3
	s_delay_alu instid0(VALU_DEP_2) | instskip(SKIP_1) | instid1(VALU_DEP_2)
	v_fma_f32 v8, 0xbfb8aa3b, v3, -v6
	v_rndne_f32_e32 v9, v6
	v_fmac_f32_e32 v8, 0xb2a5705f, v3
	s_delay_alu instid0(VALU_DEP_2) | instskip(NEXT) | instid1(VALU_DEP_1)
	v_sub_f32_e32 v6, v6, v9
	v_add_f32_e32 v6, v6, v8
	v_cvt_i32_f32_e32 v8, v9
	s_delay_alu instid0(VALU_DEP_2) | instskip(SKIP_1) | instid1(TRANS32_DEP_1)
	v_exp_f32_e32 v6, v6
	v_nop
	v_ldexp_f32 v6, v6, v8
	v_mul_u64_e32 v[8:9], s[62:63], v[4:5]
	s_delay_alu instid0(VALU_DEP_2) | instskip(SKIP_1) | instid1(VALU_DEP_2)
	v_cndmask_b32_e32 v6, 0, v6, vcc_lo
	v_cmp_ngt_f32_e32 vcc_lo, 0xc2b17218, v3
	v_cndmask_b32_e32 v3, 0x7f800000, v6, vcc_lo
	s_delay_alu instid0(VALU_DEP_1) | instskip(SKIP_1) | instid1(VALU_DEP_2)
	v_add_f32_e32 v16, 1.0, v3
	v_mad_u32 v3, s71, v10, v19
	v_div_scale_f32 v6, null, v16, v16, 1.0
	v_div_scale_f32 v15, vcc_lo, 1.0, v16, 1.0
	s_delay_alu instid0(VALU_DEP_2) | instskip(NEXT) | instid1(VALU_DEP_3)
	v_rcp_f32_e32 v20, v6
	v_mad_u32 v19, s70, v11, v3
	v_mul_u64_e32 v[10:11], s[20:21], v[10:11]
	s_delay_alu instid0(TRANS32_DEP_1) | instskip(NEXT) | instid1(VALU_DEP_1)
	v_fma_f32 v3, -v6, v20, 1.0
	v_fmac_f32_e32 v20, v3, v20
	s_delay_alu instid0(VALU_DEP_4) | instskip(NEXT) | instid1(VALU_DEP_2)
	v_mul_u64_e32 v[18:19], s[22:23], v[18:19]
	v_mul_f32_e32 v3, v15, v20
	s_delay_alu instid0(VALU_DEP_1) | instskip(NEXT) | instid1(VALU_DEP_1)
	v_fma_f32 v21, -v6, v3, v15
	v_fmac_f32_e32 v3, v21, v20
	s_delay_alu instid0(VALU_DEP_1) | instskip(SKIP_3) | instid1(VALU_DEP_4)
	v_fma_f32 v21, -v6, v3, v15
	v_bfi_b32 v15, 0x7fffffff, v14, v7
	v_add_nc_u64_e32 v[6:7], v[0:1], v[8:9]
	v_lshl_add_u64 v[10:11], v[10:11], 1, s[52:53]
	v_div_fmas_f32 v14, v21, v20, v3
	s_wait_loadcnt 0x0
	v_cvt_f32_f16_e32 v20, v12
	s_delay_alu instid0(VALU_DEP_4) | instskip(NEXT) | instid1(VALU_DEP_3)
	v_or_b32_e32 v3, s57, v7
	v_div_fixup_f32 v16, v14, v16, 1.0
	s_delay_alu instid0(VALU_DEP_3) | instskip(SKIP_1) | instid1(VALU_DEP_4)
	v_sub_f32_e32 v14, v20, v15
	v_lshl_add_u64 v[10:11], v[18:19], 1, v[10:11]
	v_cmp_ne_u64_e32 vcc_lo, 0, v[2:3]
	s_delay_alu instid0(VALU_DEP_3) | instskip(SKIP_3) | instid1(SALU_CYCLE_1)
	v_fma_mixlo_f16 v3, v16, v14, v15
	global_store_b16 v[10:11], v3, off
                                        ; implicit-def: $vgpr10_vgpr11
	s_wait_xcnt 0x0
	s_and_saveexec_b32 s0, vcc_lo
	s_xor_b32 s73, exec_lo, s0
	s_cbranch_execz .LBB43_48
; %bb.47:                               ;   in Loop: Header=BB43_3 Depth=1
	s_ashr_i32 s74, s57, 31
	v_dual_mov_b32 v19, v2 :: v_dual_ashrrev_i32 v10, 31, v7
	s_mov_b32 s75, s74
	v_mov_b32_e32 v23, v2
	s_add_nc_u64 s[76:77], s[56:57], s[74:75]
	s_delay_alu instid0(VALU_DEP_2)
	v_mov_b32_e32 v11, v10
	s_xor_b64 s[76:77], s[76:77], s[74:75]
	v_mov_b32_e32 v27, v2
	s_cvt_f32_u32 s0, s76
	s_cvt_f32_u32 s2, s77
	s_sub_nc_u64 s[82:83], 0, s[76:77]
	v_add_nc_u64_e32 v[6:7], v[6:7], v[10:11]
	s_delay_alu instid0(SALU_CYCLE_1) | instskip(NEXT) | instid1(SALU_CYCLE_3)
	s_fmamk_f32 s0, s2, 0x4f800000, s0
	v_s_rcp_f32 s0, s0
	s_delay_alu instid0(VALU_DEP_1) | instskip(NEXT) | instid1(VALU_DEP_2)
	v_xor_b32_e32 v18, v6, v10
	v_xor_b32_e32 v22, v7, v10
	;; [unrolled: 1-line block ×3, first 2 shown]
	s_delay_alu instid0(TRANS32_DEP_1) | instskip(NEXT) | instid1(SALU_CYCLE_3)
	s_mul_f32 s0, s0, 0x5f7ffffc
	s_mul_f32 s2, s0, 0x2f800000
	s_delay_alu instid0(SALU_CYCLE_3) | instskip(NEXT) | instid1(SALU_CYCLE_3)
	s_trunc_f32 s2, s2
	s_fmamk_f32 s0, s2, 0xcf800000, s0
	s_cvt_u32_f32 s81, s2
	s_delay_alu instid0(SALU_CYCLE_2) | instskip(NEXT) | instid1(SALU_CYCLE_3)
	s_cvt_u32_f32 s80, s0
	s_mul_u64 s[84:85], s[82:83], s[80:81]
	s_delay_alu instid0(SALU_CYCLE_1)
	s_mul_hi_u32 s87, s80, s85
	s_mul_i32 s86, s80, s85
	s_mul_hi_u32 s2, s80, s84
	s_mul_i32 s75, s81, s84
	s_add_nc_u64 s[86:87], s[2:3], s[86:87]
	s_mul_hi_u32 s0, s81, s84
	s_mul_hi_u32 s79, s81, s85
	s_add_co_u32 s2, s86, s75
	s_add_co_ci_u32 s2, s87, s0
	s_mul_i32 s84, s81, s85
	s_add_co_ci_u32 s85, s79, 0
	s_delay_alu instid0(SALU_CYCLE_1) | instskip(NEXT) | instid1(SALU_CYCLE_1)
	s_add_nc_u64 s[84:85], s[2:3], s[84:85]
	s_add_co_u32 s80, s80, s84
	s_cselect_b32 s0, -1, 0
	s_delay_alu instid0(SALU_CYCLE_1) | instskip(SKIP_1) | instid1(SALU_CYCLE_1)
	s_cmp_lg_u32 s0, 0
	s_add_co_ci_u32 s81, s81, s85
	s_mul_u64 s[82:83], s[82:83], s[80:81]
	s_delay_alu instid0(SALU_CYCLE_1)
	s_mul_hi_u32 s85, s80, s83
	s_mul_i32 s84, s80, s83
	s_mul_hi_u32 s2, s80, s82
	s_mul_i32 s75, s81, s82
	s_add_nc_u64 s[84:85], s[2:3], s[84:85]
	s_mul_hi_u32 s0, s81, s82
	s_mul_hi_u32 s79, s81, s83
	s_add_co_u32 s2, s84, s75
	s_add_co_ci_u32 s2, s85, s0
	s_mul_i32 s82, s81, s83
	s_add_co_ci_u32 s83, s79, 0
	s_delay_alu instid0(SALU_CYCLE_1) | instskip(NEXT) | instid1(SALU_CYCLE_1)
	s_add_nc_u64 s[82:83], s[2:3], s[82:83]
	s_add_co_u32 s0, s80, s82
	s_cselect_b32 s2, -1, 0
	v_mul_hi_u32 v26, v18, s0
	s_cmp_lg_u32 s2, 0
	s_add_co_ci_u32 s2, s81, s83
	s_and_b64 s[80:81], s[0:1], s[68:69]
	v_mul_u64_e32 v[20:21], s[2:3], v[18:19]
	v_mul_u64_e32 v[6:7], s[80:81], v[22:23]
	v_mul_u64_e32 v[24:25], s[2:3], v[22:23]
	s_delay_alu instid0(VALU_DEP_3) | instskip(NEXT) | instid1(VALU_DEP_1)
	v_add_nc_u64_e32 v[20:21], v[26:27], v[20:21]
	v_add_co_u32 v3, vcc_lo, v20, v6
	s_delay_alu instid0(VALU_DEP_2) | instskip(NEXT) | instid1(VALU_DEP_4)
	v_add_co_ci_u32_e32 v26, vcc_lo, v21, v7, vcc_lo
	v_add_co_ci_u32_e32 v25, vcc_lo, 0, v25, vcc_lo
	s_delay_alu instid0(VALU_DEP_1) | instskip(NEXT) | instid1(VALU_DEP_1)
	v_add_nc_u64_e32 v[6:7], v[26:27], v[24:25]
	v_mul_u64_e32 v[20:21], s[76:77], v[6:7]
	s_delay_alu instid0(VALU_DEP_1) | instskip(NEXT) | instid1(VALU_DEP_2)
	v_sub_nc_u32_e32 v3, v22, v21
	v_sub_co_u32 v11, vcc_lo, v18, v20
	s_delay_alu instid0(VALU_DEP_1) | instskip(NEXT) | instid1(VALU_DEP_3)
	v_sub_co_ci_u32_e64 v22, null, v22, v21, vcc_lo
	v_subrev_co_ci_u32_e64 v3, null, s77, v3, vcc_lo
	s_delay_alu instid0(VALU_DEP_3) | instskip(SKIP_1) | instid1(VALU_DEP_3)
	v_sub_co_u32 v14, s0, v11, s76
	v_add_nc_u64_e32 v[20:21], 1, v[6:7]
	v_subrev_co_ci_u32_e64 v3, null, 0, v3, s0
	s_delay_alu instid0(VALU_DEP_3) | instskip(SKIP_1) | instid1(VALU_DEP_3)
	v_cmp_le_u32_e32 vcc_lo, s76, v14
	v_cndmask_b32_e64 v14, 0, -1, vcc_lo
	v_cmp_le_u32_e32 vcc_lo, s77, v3
	v_cndmask_b32_e64 v18, 0, -1, vcc_lo
	v_cmp_le_u32_e32 vcc_lo, s76, v11
	v_cndmask_b32_e64 v11, 0, -1, vcc_lo
	v_cmp_le_u32_e32 vcc_lo, s77, v22
	v_cndmask_b32_e64 v23, 0, -1, vcc_lo
	v_cmp_eq_u32_e32 vcc_lo, s77, v3
	v_cndmask_b32_e32 v3, v18, v14, vcc_lo
	v_cmp_eq_u32_e32 vcc_lo, s77, v22
	v_add_nc_u64_e32 v[18:19], 2, v[6:7]
	v_cndmask_b32_e32 v11, v23, v11, vcc_lo
	s_delay_alu instid0(VALU_DEP_4) | instskip(NEXT) | instid1(VALU_DEP_2)
	v_cmp_ne_u32_e32 vcc_lo, 0, v3
	v_cmp_ne_u32_e64 s0, 0, v11
	s_delay_alu instid0(VALU_DEP_4) | instskip(NEXT) | instid1(VALU_DEP_1)
	v_dual_cndmask_b32 v3, v21, v19, vcc_lo :: v_dual_cndmask_b32 v11, v20, v18, vcc_lo
	v_cndmask_b32_e64 v3, v7, v3, s0
	s_delay_alu instid0(VALU_DEP_2) | instskip(NEXT) | instid1(VALU_DEP_2)
	v_cndmask_b32_e64 v6, v6, v11, s0
	v_dual_mov_b32 v11, v10 :: v_dual_bitop2_b32 v7, v3, v10 bitop3:0x14
	s_delay_alu instid0(VALU_DEP_2) | instskip(NEXT) | instid1(VALU_DEP_1)
	v_xor_b32_e32 v6, v6, v10
	v_sub_nc_u64_e32 v[10:11], v[6:7], v[10:11]
                                        ; implicit-def: $vgpr6_vgpr7
.LBB43_48:                              ;   in Loop: Header=BB43_3 Depth=1
	s_or_saveexec_b32 s0, s73
	v_cvt_f32_u32_e32 v14, s56
	s_xor_b32 exec_lo, exec_lo, s0
	s_cbranch_execz .LBB43_50
; %bb.49:                               ;   in Loop: Header=BB43_3 Depth=1
	s_delay_alu instid0(VALU_DEP_1) | instskip(SKIP_2) | instid1(TRANS32_DEP_1)
	v_rcp_iflag_f32_e32 v3, v14
	s_sub_co_i32 s2, 0, s56
	v_mov_b32_e32 v11, v2
	v_mul_f32_e32 v3, 0x4f7ffffe, v3
	s_delay_alu instid0(VALU_DEP_1) | instskip(NEXT) | instid1(VALU_DEP_1)
	v_cvt_u32_f32_e32 v3, v3
	v_mul_lo_u32 v7, s2, v3
	s_delay_alu instid0(VALU_DEP_1) | instskip(NEXT) | instid1(VALU_DEP_1)
	v_mul_hi_u32 v7, v3, v7
	v_add_nc_u32_e32 v3, v3, v7
	s_delay_alu instid0(VALU_DEP_1) | instskip(NEXT) | instid1(VALU_DEP_1)
	v_mul_hi_u32 v3, v6, v3
	v_mul_lo_u32 v7, v3, s56
	s_delay_alu instid0(VALU_DEP_1) | instskip(SKIP_1) | instid1(VALU_DEP_2)
	v_sub_nc_u32_e32 v6, v6, v7
	v_add_nc_u32_e32 v7, 1, v3
	v_subrev_nc_u32_e32 v10, s56, v6
	v_cmp_le_u32_e32 vcc_lo, s56, v6
	s_delay_alu instid0(VALU_DEP_2) | instskip(NEXT) | instid1(VALU_DEP_1)
	v_dual_cndmask_b32 v6, v6, v10 :: v_dual_cndmask_b32 v3, v3, v7
	v_cmp_le_u32_e32 vcc_lo, s56, v6
	s_delay_alu instid0(VALU_DEP_2) | instskip(NEXT) | instid1(VALU_DEP_1)
	v_add_nc_u32_e32 v7, 1, v3
	v_cndmask_b32_e32 v10, v3, v7, vcc_lo
.LBB43_50:                              ;   in Loop: Header=BB43_3 Depth=1
	s_or_b32 exec_lo, exec_lo, s0
	s_delay_alu instid0(VALU_DEP_1)
	v_mul_u64_e32 v[18:19], s[56:57], v[10:11]
	v_lshlrev_b64_e32 v[6:7], 2, v[4:5]
	v_mul_u64_e32 v[10:11], s[24:25], v[10:11]
	v_alignbit_b32 v4, v5, v4, 30
	v_cvt_f16_f32_e32 v17, v17
	s_mov_b32 s0, exec_lo
	v_sub_nc_u64_e32 v[18:19], v[8:9], v[18:19]
	v_mad_nc_u64_u32 v[8:9], s4, v6, s[4:5]
	v_lshl_add_u64 v[10:11], v[10:11], 1, s[54:55]
	s_delay_alu instid0(VALU_DEP_3) | instskip(NEXT) | instid1(VALU_DEP_3)
	v_add_nc_u64_e32 v[18:19], v[0:1], v[18:19]
	v_mad_u32 v3, s5, v6, v9
	s_delay_alu instid0(VALU_DEP_2) | instskip(NEXT) | instid1(VALU_DEP_2)
	v_mul_u64_e32 v[18:19], s[26:27], v[18:19]
	v_mad_u32 v9, s4, v4, v3
	s_delay_alu instid0(VALU_DEP_1) | instskip(NEXT) | instid1(VALU_DEP_1)
	v_add_nc_u64_e32 v[4:5], v[0:1], v[8:9]
	v_or_b32_e32 v3, s57, v5
	s_delay_alu instid0(VALU_DEP_4)
	v_lshl_add_u64 v[10:11], v[18:19], 1, v[10:11]
	global_store_b16 v[10:11], v17, off
                                        ; implicit-def: $vgpr10_vgpr11
	s_wait_xcnt 0x0
	v_cmpx_ne_u64_e32 0, v[2:3]
	s_xor_b32 s73, exec_lo, s0
	s_cbranch_execz .LBB43_52
; %bb.51:                               ;   in Loop: Header=BB43_3 Depth=1
	s_ashr_i32 s74, s57, 31
	v_dual_mov_b32 v19, v2 :: v_dual_ashrrev_i32 v10, 31, v5
	s_mov_b32 s75, s74
	v_mov_b32_e32 v27, v2
	s_add_nc_u64 s[76:77], s[56:57], s[74:75]
	s_delay_alu instid0(VALU_DEP_2) | instskip(SKIP_1) | instid1(SALU_CYCLE_1)
	v_mov_b32_e32 v11, v10
	s_xor_b64 s[76:77], s[76:77], s[74:75]
	s_cvt_f32_u32 s0, s76
	s_cvt_f32_u32 s2, s77
	s_sub_nc_u64 s[82:83], 0, s[76:77]
	v_add_nc_u64_e32 v[4:5], v[4:5], v[10:11]
	v_mov_b32_e32 v23, v2
	s_fmamk_f32 s0, s2, 0x4f800000, s0
	s_delay_alu instid0(SALU_CYCLE_3) | instskip(NEXT) | instid1(VALU_DEP_2)
	v_s_rcp_f32 s0, s0
	v_xor_b32_e32 v18, v4, v10
	s_delay_alu instid0(VALU_DEP_3) | instskip(SKIP_1) | instid1(TRANS32_DEP_1)
	v_xor_b32_e32 v22, v5, v10
	v_xor_b32_e32 v10, s74, v10
	s_mul_f32 s0, s0, 0x5f7ffffc
	s_delay_alu instid0(SALU_CYCLE_3) | instskip(NEXT) | instid1(SALU_CYCLE_3)
	s_mul_f32 s2, s0, 0x2f800000
	s_trunc_f32 s2, s2
	s_delay_alu instid0(SALU_CYCLE_3) | instskip(SKIP_1) | instid1(SALU_CYCLE_2)
	s_fmamk_f32 s0, s2, 0xcf800000, s0
	s_cvt_u32_f32 s81, s2
	s_cvt_u32_f32 s80, s0
	s_delay_alu instid0(SALU_CYCLE_3) | instskip(NEXT) | instid1(SALU_CYCLE_1)
	s_mul_u64 s[84:85], s[82:83], s[80:81]
	s_mul_hi_u32 s87, s80, s85
	s_mul_i32 s86, s80, s85
	s_mul_hi_u32 s2, s80, s84
	s_mul_i32 s75, s81, s84
	s_add_nc_u64 s[86:87], s[2:3], s[86:87]
	s_mul_hi_u32 s0, s81, s84
	s_mul_hi_u32 s79, s81, s85
	s_add_co_u32 s2, s86, s75
	s_add_co_ci_u32 s2, s87, s0
	s_mul_i32 s84, s81, s85
	s_add_co_ci_u32 s85, s79, 0
	s_delay_alu instid0(SALU_CYCLE_1) | instskip(NEXT) | instid1(SALU_CYCLE_1)
	s_add_nc_u64 s[84:85], s[2:3], s[84:85]
	s_add_co_u32 s80, s80, s84
	s_cselect_b32 s0, -1, 0
	s_delay_alu instid0(SALU_CYCLE_1) | instskip(SKIP_1) | instid1(SALU_CYCLE_1)
	s_cmp_lg_u32 s0, 0
	s_add_co_ci_u32 s81, s81, s85
	s_mul_u64 s[82:83], s[82:83], s[80:81]
	s_delay_alu instid0(SALU_CYCLE_1)
	s_mul_hi_u32 s85, s80, s83
	s_mul_i32 s84, s80, s83
	s_mul_hi_u32 s2, s80, s82
	s_mul_i32 s75, s81, s82
	s_add_nc_u64 s[84:85], s[2:3], s[84:85]
	s_mul_hi_u32 s0, s81, s82
	s_mul_hi_u32 s79, s81, s83
	s_add_co_u32 s2, s84, s75
	s_add_co_ci_u32 s2, s85, s0
	s_mul_i32 s82, s81, s83
	s_add_co_ci_u32 s83, s79, 0
	s_delay_alu instid0(SALU_CYCLE_1) | instskip(NEXT) | instid1(SALU_CYCLE_1)
	s_add_nc_u64 s[82:83], s[2:3], s[82:83]
	s_add_co_u32 s0, s80, s82
	s_cselect_b32 s2, -1, 0
	v_mul_hi_u32 v26, v18, s0
	s_cmp_lg_u32 s2, 0
	s_add_co_ci_u32 s2, s81, s83
	s_and_b64 s[80:81], s[0:1], s[68:69]
	v_mul_u64_e32 v[20:21], s[2:3], v[18:19]
	v_mul_u64_e32 v[4:5], s[80:81], v[22:23]
	;; [unrolled: 1-line block ×3, first 2 shown]
	s_delay_alu instid0(VALU_DEP_3) | instskip(NEXT) | instid1(VALU_DEP_1)
	v_add_nc_u64_e32 v[20:21], v[26:27], v[20:21]
	v_add_co_u32 v3, vcc_lo, v20, v4
	s_delay_alu instid0(VALU_DEP_2) | instskip(NEXT) | instid1(VALU_DEP_4)
	v_add_co_ci_u32_e32 v26, vcc_lo, v21, v5, vcc_lo
	v_add_co_ci_u32_e32 v25, vcc_lo, 0, v25, vcc_lo
	s_delay_alu instid0(VALU_DEP_1) | instskip(NEXT) | instid1(VALU_DEP_1)
	v_add_nc_u64_e32 v[4:5], v[26:27], v[24:25]
	v_mul_u64_e32 v[20:21], s[76:77], v[4:5]
	s_delay_alu instid0(VALU_DEP_1) | instskip(NEXT) | instid1(VALU_DEP_2)
	v_sub_nc_u32_e32 v3, v22, v21
	v_sub_co_u32 v11, vcc_lo, v18, v20
	s_delay_alu instid0(VALU_DEP_1) | instskip(NEXT) | instid1(VALU_DEP_3)
	v_sub_co_ci_u32_e64 v22, null, v22, v21, vcc_lo
	v_subrev_co_ci_u32_e64 v3, null, s77, v3, vcc_lo
	s_delay_alu instid0(VALU_DEP_3) | instskip(SKIP_1) | instid1(VALU_DEP_3)
	v_sub_co_u32 v17, s0, v11, s76
	v_add_nc_u64_e32 v[20:21], 1, v[4:5]
	v_subrev_co_ci_u32_e64 v3, null, 0, v3, s0
	s_delay_alu instid0(VALU_DEP_3) | instskip(SKIP_1) | instid1(VALU_DEP_3)
	v_cmp_le_u32_e32 vcc_lo, s76, v17
	v_cndmask_b32_e64 v17, 0, -1, vcc_lo
	v_cmp_le_u32_e32 vcc_lo, s77, v3
	v_cndmask_b32_e64 v18, 0, -1, vcc_lo
	v_cmp_le_u32_e32 vcc_lo, s76, v11
	v_cndmask_b32_e64 v11, 0, -1, vcc_lo
	v_cmp_le_u32_e32 vcc_lo, s77, v22
	v_cndmask_b32_e64 v23, 0, -1, vcc_lo
	v_cmp_eq_u32_e32 vcc_lo, s77, v3
	v_cndmask_b32_e32 v3, v18, v17, vcc_lo
	v_cmp_eq_u32_e32 vcc_lo, s77, v22
	v_add_nc_u64_e32 v[18:19], 2, v[4:5]
	v_cndmask_b32_e32 v11, v23, v11, vcc_lo
	s_delay_alu instid0(VALU_DEP_4) | instskip(NEXT) | instid1(VALU_DEP_2)
	v_cmp_ne_u32_e32 vcc_lo, 0, v3
	v_cmp_ne_u32_e64 s0, 0, v11
	s_delay_alu instid0(VALU_DEP_4) | instskip(NEXT) | instid1(VALU_DEP_1)
	v_dual_cndmask_b32 v3, v21, v19, vcc_lo :: v_dual_cndmask_b32 v11, v20, v18, vcc_lo
	v_dual_cndmask_b32 v4, v4, v11, s0 :: v_dual_mov_b32 v11, v10
	s_delay_alu instid0(VALU_DEP_1) | instskip(NEXT) | instid1(VALU_DEP_1)
	v_dual_cndmask_b32 v3, v5, v3, s0 :: v_dual_bitop2_b32 v4, v4, v10 bitop3:0x14
	v_xor_b32_e32 v5, v3, v10
	s_delay_alu instid0(VALU_DEP_1)
	v_sub_nc_u64_e32 v[10:11], v[4:5], v[10:11]
                                        ; implicit-def: $vgpr4_vgpr5
.LBB43_52:                              ;   in Loop: Header=BB43_3 Depth=1
	s_and_not1_saveexec_b32 s0, s73
	s_cbranch_execz .LBB43_54
; %bb.53:                               ;   in Loop: Header=BB43_3 Depth=1
	v_rcp_iflag_f32_e32 v3, v14
	s_sub_co_i32 s2, 0, s56
	v_mov_b32_e32 v11, v2
	s_delay_alu instid0(TRANS32_DEP_1) | instskip(NEXT) | instid1(VALU_DEP_1)
	v_mul_f32_e32 v3, 0x4f7ffffe, v3
	v_cvt_u32_f32_e32 v3, v3
	s_delay_alu instid0(VALU_DEP_1) | instskip(NEXT) | instid1(VALU_DEP_1)
	v_mul_lo_u32 v5, s2, v3
	v_mul_hi_u32 v5, v3, v5
	s_delay_alu instid0(VALU_DEP_1) | instskip(NEXT) | instid1(VALU_DEP_1)
	v_add_nc_u32_e32 v3, v3, v5
	v_mul_hi_u32 v3, v4, v3
	s_delay_alu instid0(VALU_DEP_1) | instskip(NEXT) | instid1(VALU_DEP_1)
	v_mul_lo_u32 v5, v3, s56
	v_dual_sub_nc_u32 v4, v4, v5 :: v_dual_add_nc_u32 v5, 1, v3
	s_delay_alu instid0(VALU_DEP_1) | instskip(SKIP_1) | instid1(VALU_DEP_2)
	v_subrev_nc_u32_e32 v10, s56, v4
	v_cmp_le_u32_e32 vcc_lo, s56, v4
	v_dual_cndmask_b32 v4, v4, v10 :: v_dual_cndmask_b32 v3, v3, v5
	s_delay_alu instid0(VALU_DEP_1) | instskip(NEXT) | instid1(VALU_DEP_2)
	v_cmp_le_u32_e32 vcc_lo, s56, v4
	v_add_nc_u32_e32 v5, 1, v3
	s_delay_alu instid0(VALU_DEP_1)
	v_cndmask_b32_e32 v10, v3, v5, vcc_lo
.LBB43_54:                              ;   in Loop: Header=BB43_3 Depth=1
	s_or_b32 exec_lo, exec_lo, s0
	s_delay_alu instid0(VALU_DEP_1) | instskip(SKIP_4) | instid1(VALU_DEP_4)
	v_mul_u64_e32 v[4:5], s[56:57], v[10:11]
	v_add_nc_u64_e32 v[18:19], 2, v[6:7]
	v_mul_u64_e32 v[10:11], s[24:25], v[10:11]
	v_cvt_f16_f32_e32 v16, v16
	s_mov_b32 s0, exec_lo
	v_sub_nc_u64_e32 v[8:9], v[8:9], v[4:5]
	s_delay_alu instid0(VALU_DEP_4) | instskip(NEXT) | instid1(VALU_DEP_4)
	v_mul_u64_e32 v[4:5], s[4:5], v[18:19]
	v_lshl_add_u64 v[10:11], v[10:11], 1, s[54:55]
	s_delay_alu instid0(VALU_DEP_3) | instskip(NEXT) | instid1(VALU_DEP_1)
	v_add_nc_u64_e32 v[8:9], v[0:1], v[8:9]
	v_mul_u64_e32 v[18:19], s[26:27], v[8:9]
	s_delay_alu instid0(VALU_DEP_4) | instskip(NEXT) | instid1(VALU_DEP_1)
	v_add_nc_u64_e32 v[8:9], v[0:1], v[4:5]
	v_or_b32_e32 v3, s57, v9
	s_delay_alu instid0(VALU_DEP_3)
	v_lshl_add_u64 v[10:11], v[18:19], 1, v[10:11]
	global_store_b16 v[10:11], v16, off
                                        ; implicit-def: $vgpr10_vgpr11
	s_wait_xcnt 0x0
	v_cmpx_ne_u64_e32 0, v[2:3]
	s_xor_b32 s73, exec_lo, s0
	s_cbranch_execz .LBB43_56
; %bb.55:                               ;   in Loop: Header=BB43_3 Depth=1
	s_ashr_i32 s74, s57, 31
	v_dual_mov_b32 v17, v2 :: v_dual_ashrrev_i32 v10, 31, v9
	s_mov_b32 s75, s74
	s_delay_alu instid0(SALU_CYCLE_1) | instskip(NEXT) | instid1(VALU_DEP_1)
	s_add_nc_u64 s[76:77], s[56:57], s[74:75]
	v_mov_b32_e32 v11, v10
	s_xor_b64 s[76:77], s[76:77], s[74:75]
	s_delay_alu instid0(SALU_CYCLE_1)
	s_cvt_f32_u32 s0, s76
	s_cvt_f32_u32 s2, s77
	s_sub_nc_u64 s[82:83], 0, s[76:77]
	v_add_nc_u64_e32 v[8:9], v[8:9], v[10:11]
	v_mov_b32_e32 v21, v2
	s_fmamk_f32 s0, s2, 0x4f800000, s0
	s_delay_alu instid0(SALU_CYCLE_3) | instskip(NEXT) | instid1(VALU_DEP_2)
	v_s_rcp_f32 s0, s0
	v_xor_b32_e32 v16, v8, v10
	s_delay_alu instid0(VALU_DEP_3) | instskip(NEXT) | instid1(TRANS32_DEP_1)
	v_dual_mov_b32 v25, v2 :: v_dual_bitop2_b32 v20, v9, v10 bitop3:0x14
	s_mul_f32 s0, s0, 0x5f7ffffc
	s_delay_alu instid0(SALU_CYCLE_3) | instskip(NEXT) | instid1(SALU_CYCLE_3)
	s_mul_f32 s2, s0, 0x2f800000
	s_trunc_f32 s2, s2
	s_delay_alu instid0(SALU_CYCLE_3) | instskip(SKIP_1) | instid1(SALU_CYCLE_2)
	s_fmamk_f32 s0, s2, 0xcf800000, s0
	s_cvt_u32_f32 s81, s2
	s_cvt_u32_f32 s80, s0
	s_delay_alu instid0(SALU_CYCLE_3) | instskip(NEXT) | instid1(SALU_CYCLE_1)
	s_mul_u64 s[84:85], s[82:83], s[80:81]
	s_mul_hi_u32 s87, s80, s85
	s_mul_i32 s86, s80, s85
	s_mul_hi_u32 s2, s80, s84
	s_mul_i32 s75, s81, s84
	s_add_nc_u64 s[86:87], s[2:3], s[86:87]
	s_mul_hi_u32 s0, s81, s84
	s_mul_hi_u32 s79, s81, s85
	s_add_co_u32 s2, s86, s75
	s_add_co_ci_u32 s2, s87, s0
	s_mul_i32 s84, s81, s85
	s_add_co_ci_u32 s85, s79, 0
	s_delay_alu instid0(SALU_CYCLE_1) | instskip(NEXT) | instid1(SALU_CYCLE_1)
	s_add_nc_u64 s[84:85], s[2:3], s[84:85]
	s_add_co_u32 s80, s80, s84
	s_cselect_b32 s0, -1, 0
	s_delay_alu instid0(SALU_CYCLE_1) | instskip(SKIP_1) | instid1(SALU_CYCLE_1)
	s_cmp_lg_u32 s0, 0
	s_add_co_ci_u32 s81, s81, s85
	s_mul_u64 s[82:83], s[82:83], s[80:81]
	s_delay_alu instid0(SALU_CYCLE_1)
	s_mul_hi_u32 s85, s80, s83
	s_mul_i32 s84, s80, s83
	s_mul_hi_u32 s2, s80, s82
	s_mul_i32 s75, s81, s82
	s_add_nc_u64 s[84:85], s[2:3], s[84:85]
	s_mul_hi_u32 s0, s81, s82
	s_mul_hi_u32 s79, s81, s83
	s_add_co_u32 s2, s84, s75
	s_add_co_ci_u32 s2, s85, s0
	s_mul_i32 s82, s81, s83
	s_add_co_ci_u32 s83, s79, 0
	s_delay_alu instid0(SALU_CYCLE_1) | instskip(NEXT) | instid1(SALU_CYCLE_1)
	s_add_nc_u64 s[82:83], s[2:3], s[82:83]
	s_add_co_u32 s0, s80, s82
	s_cselect_b32 s2, -1, 0
	v_mul_hi_u32 v24, v16, s0
	s_cmp_lg_u32 s2, 0
	s_add_co_ci_u32 s2, s81, s83
	s_and_b64 s[80:81], s[0:1], s[68:69]
	v_mul_u64_e32 v[18:19], s[2:3], v[16:17]
	v_mul_u64_e32 v[8:9], s[80:81], v[20:21]
	;; [unrolled: 1-line block ×3, first 2 shown]
	s_delay_alu instid0(VALU_DEP_3) | instskip(NEXT) | instid1(VALU_DEP_1)
	v_add_nc_u64_e32 v[18:19], v[24:25], v[18:19]
	v_add_co_u32 v3, vcc_lo, v18, v8
	s_delay_alu instid0(VALU_DEP_2) | instskip(NEXT) | instid1(VALU_DEP_4)
	v_add_co_ci_u32_e32 v24, vcc_lo, v19, v9, vcc_lo
	v_add_co_ci_u32_e32 v23, vcc_lo, 0, v23, vcc_lo
	s_delay_alu instid0(VALU_DEP_1) | instskip(NEXT) | instid1(VALU_DEP_1)
	v_add_nc_u64_e32 v[8:9], v[24:25], v[22:23]
	v_mul_u64_e32 v[18:19], s[76:77], v[8:9]
	s_delay_alu instid0(VALU_DEP_1) | instskip(NEXT) | instid1(VALU_DEP_2)
	v_sub_nc_u32_e32 v3, v20, v19
	v_sub_co_u32 v11, vcc_lo, v16, v18
	s_delay_alu instid0(VALU_DEP_1) | instskip(NEXT) | instid1(VALU_DEP_3)
	v_sub_co_ci_u32_e64 v20, null, v20, v19, vcc_lo
	v_subrev_co_ci_u32_e64 v3, null, s77, v3, vcc_lo
	s_delay_alu instid0(VALU_DEP_3) | instskip(SKIP_1) | instid1(VALU_DEP_3)
	v_sub_co_u32 v16, s0, v11, s76
	v_add_nc_u64_e32 v[18:19], 1, v[8:9]
	v_subrev_co_ci_u32_e64 v3, null, 0, v3, s0
	s_delay_alu instid0(VALU_DEP_3) | instskip(SKIP_1) | instid1(VALU_DEP_3)
	v_cmp_le_u32_e32 vcc_lo, s76, v16
	v_cndmask_b32_e64 v16, 0, -1, vcc_lo
	v_cmp_le_u32_e32 vcc_lo, s77, v3
	v_cndmask_b32_e64 v17, 0, -1, vcc_lo
	;; [unrolled: 2-line block ×4, first 2 shown]
	v_cmp_eq_u32_e32 vcc_lo, s77, v3
	v_cndmask_b32_e32 v3, v17, v16, vcc_lo
	v_cmp_eq_u32_e32 vcc_lo, s77, v20
	v_add_nc_u64_e32 v[16:17], 2, v[8:9]
	v_cndmask_b32_e32 v11, v21, v11, vcc_lo
	s_delay_alu instid0(VALU_DEP_4) | instskip(NEXT) | instid1(VALU_DEP_3)
	v_cmp_ne_u32_e32 vcc_lo, 0, v3
	v_cndmask_b32_e32 v3, v19, v17, vcc_lo
	s_delay_alu instid0(VALU_DEP_3) | instskip(SKIP_1) | instid1(VALU_DEP_2)
	v_cmp_ne_u32_e64 s0, 0, v11
	v_dual_cndmask_b32 v11, v18, v16, vcc_lo :: v_dual_bitop2_b32 v10, s74, v10 bitop3:0x14
	v_cndmask_b32_e64 v3, v9, v3, s0
	s_delay_alu instid0(VALU_DEP_2) | instskip(NEXT) | instid1(VALU_DEP_2)
	v_dual_cndmask_b32 v8, v8, v11, s0 :: v_dual_mov_b32 v11, v10
	v_xor_b32_e32 v9, v3, v10
	s_delay_alu instid0(VALU_DEP_2) | instskip(NEXT) | instid1(VALU_DEP_1)
	v_xor_b32_e32 v8, v8, v10
	v_sub_nc_u64_e32 v[10:11], v[8:9], v[10:11]
                                        ; implicit-def: $vgpr8_vgpr9
.LBB43_56:                              ;   in Loop: Header=BB43_3 Depth=1
	s_and_not1_saveexec_b32 s0, s73
	s_cbranch_execz .LBB43_58
; %bb.57:                               ;   in Loop: Header=BB43_3 Depth=1
	v_rcp_iflag_f32_e32 v3, v14
	s_sub_co_i32 s2, 0, s56
	v_mov_b32_e32 v11, v2
	s_delay_alu instid0(TRANS32_DEP_1) | instskip(NEXT) | instid1(VALU_DEP_1)
	v_mul_f32_e32 v3, 0x4f7ffffe, v3
	v_cvt_u32_f32_e32 v3, v3
	s_delay_alu instid0(VALU_DEP_1) | instskip(NEXT) | instid1(VALU_DEP_1)
	v_mul_lo_u32 v9, s2, v3
	v_mul_hi_u32 v9, v3, v9
	s_delay_alu instid0(VALU_DEP_1) | instskip(NEXT) | instid1(VALU_DEP_1)
	v_add_nc_u32_e32 v3, v3, v9
	v_mul_hi_u32 v3, v8, v3
	s_delay_alu instid0(VALU_DEP_1) | instskip(NEXT) | instid1(VALU_DEP_1)
	v_mul_lo_u32 v9, v3, s56
	v_dual_sub_nc_u32 v8, v8, v9 :: v_dual_add_nc_u32 v9, 1, v3
	s_delay_alu instid0(VALU_DEP_1) | instskip(SKIP_1) | instid1(VALU_DEP_2)
	v_subrev_nc_u32_e32 v10, s56, v8
	v_cmp_le_u32_e32 vcc_lo, s56, v8
	v_dual_cndmask_b32 v8, v8, v10 :: v_dual_cndmask_b32 v3, v3, v9
	s_delay_alu instid0(VALU_DEP_1) | instskip(NEXT) | instid1(VALU_DEP_2)
	v_cmp_le_u32_e32 vcc_lo, s56, v8
	v_add_nc_u32_e32 v9, 1, v3
	s_delay_alu instid0(VALU_DEP_1)
	v_cndmask_b32_e32 v10, v3, v9, vcc_lo
.LBB43_58:                              ;   in Loop: Header=BB43_3 Depth=1
	s_or_b32 exec_lo, exec_lo, s0
	s_delay_alu instid0(VALU_DEP_1) | instskip(SKIP_4) | instid1(VALU_DEP_4)
	v_mul_u64_e32 v[8:9], s[56:57], v[10:11]
	v_add_nc_u64_e32 v[16:17], 3, v[6:7]
	v_mul_u64_e32 v[10:11], s[24:25], v[10:11]
	v_cvt_f16_f32_e32 v15, v15
	s_mov_b32 s0, exec_lo
	v_sub_nc_u64_e32 v[8:9], v[4:5], v[8:9]
	s_delay_alu instid0(VALU_DEP_4) | instskip(NEXT) | instid1(VALU_DEP_4)
	v_mul_u64_e32 v[4:5], s[4:5], v[16:17]
	v_lshl_add_u64 v[10:11], v[10:11], 1, s[54:55]
	s_delay_alu instid0(VALU_DEP_3) | instskip(NEXT) | instid1(VALU_DEP_1)
	v_add_nc_u64_e32 v[8:9], v[0:1], v[8:9]
	v_mul_u64_e32 v[16:17], s[26:27], v[8:9]
	s_delay_alu instid0(VALU_DEP_4) | instskip(NEXT) | instid1(VALU_DEP_1)
	v_add_nc_u64_e32 v[8:9], v[0:1], v[4:5]
	v_or_b32_e32 v3, s57, v9
	s_delay_alu instid0(VALU_DEP_3)
	v_lshl_add_u64 v[10:11], v[16:17], 1, v[10:11]
	global_store_b16 v[10:11], v15, off
                                        ; implicit-def: $vgpr10_vgpr11
	s_wait_xcnt 0x0
	v_cmpx_ne_u64_e32 0, v[2:3]
	s_xor_b32 s73, exec_lo, s0
	s_cbranch_execz .LBB43_60
; %bb.59:                               ;   in Loop: Header=BB43_3 Depth=1
	s_ashr_i32 s74, s57, 31
	v_dual_mov_b32 v17, v2 :: v_dual_ashrrev_i32 v10, 31, v9
	s_mov_b32 s75, s74
	s_delay_alu instid0(SALU_CYCLE_1) | instskip(NEXT) | instid1(VALU_DEP_1)
	s_add_nc_u64 s[76:77], s[56:57], s[74:75]
	v_mov_b32_e32 v11, v10
	s_xor_b64 s[76:77], s[76:77], s[74:75]
	s_delay_alu instid0(SALU_CYCLE_1)
	s_cvt_f32_u32 s0, s76
	s_cvt_f32_u32 s2, s77
	s_sub_nc_u64 s[82:83], 0, s[76:77]
	v_add_nc_u64_e32 v[8:9], v[8:9], v[10:11]
	v_mov_b32_e32 v21, v2
	s_fmamk_f32 s0, s2, 0x4f800000, s0
	s_delay_alu instid0(SALU_CYCLE_3) | instskip(NEXT) | instid1(VALU_DEP_2)
	v_s_rcp_f32 s0, s0
	v_xor_b32_e32 v16, v8, v10
	s_delay_alu instid0(VALU_DEP_3) | instskip(NEXT) | instid1(TRANS32_DEP_1)
	v_dual_mov_b32 v25, v2 :: v_dual_bitop2_b32 v20, v9, v10 bitop3:0x14
	s_mul_f32 s0, s0, 0x5f7ffffc
	s_delay_alu instid0(SALU_CYCLE_3) | instskip(NEXT) | instid1(SALU_CYCLE_3)
	s_mul_f32 s2, s0, 0x2f800000
	s_trunc_f32 s2, s2
	s_delay_alu instid0(SALU_CYCLE_3) | instskip(SKIP_1) | instid1(SALU_CYCLE_2)
	s_fmamk_f32 s0, s2, 0xcf800000, s0
	s_cvt_u32_f32 s81, s2
	s_cvt_u32_f32 s80, s0
	s_delay_alu instid0(SALU_CYCLE_3) | instskip(NEXT) | instid1(SALU_CYCLE_1)
	s_mul_u64 s[84:85], s[82:83], s[80:81]
	s_mul_hi_u32 s87, s80, s85
	s_mul_i32 s86, s80, s85
	s_mul_hi_u32 s2, s80, s84
	s_mul_i32 s75, s81, s84
	s_add_nc_u64 s[86:87], s[2:3], s[86:87]
	s_mul_hi_u32 s0, s81, s84
	s_mul_hi_u32 s79, s81, s85
	s_add_co_u32 s2, s86, s75
	s_add_co_ci_u32 s2, s87, s0
	s_mul_i32 s84, s81, s85
	s_add_co_ci_u32 s85, s79, 0
	s_delay_alu instid0(SALU_CYCLE_1) | instskip(NEXT) | instid1(SALU_CYCLE_1)
	s_add_nc_u64 s[84:85], s[2:3], s[84:85]
	s_add_co_u32 s80, s80, s84
	s_cselect_b32 s0, -1, 0
	s_delay_alu instid0(SALU_CYCLE_1) | instskip(SKIP_1) | instid1(SALU_CYCLE_1)
	s_cmp_lg_u32 s0, 0
	s_add_co_ci_u32 s81, s81, s85
	s_mul_u64 s[82:83], s[82:83], s[80:81]
	s_delay_alu instid0(SALU_CYCLE_1)
	s_mul_hi_u32 s85, s80, s83
	s_mul_i32 s84, s80, s83
	s_mul_hi_u32 s2, s80, s82
	s_mul_i32 s75, s81, s82
	s_add_nc_u64 s[84:85], s[2:3], s[84:85]
	s_mul_hi_u32 s0, s81, s82
	s_mul_hi_u32 s79, s81, s83
	s_add_co_u32 s2, s84, s75
	s_add_co_ci_u32 s2, s85, s0
	s_mul_i32 s82, s81, s83
	s_add_co_ci_u32 s83, s79, 0
	s_delay_alu instid0(SALU_CYCLE_1) | instskip(NEXT) | instid1(SALU_CYCLE_1)
	s_add_nc_u64 s[82:83], s[2:3], s[82:83]
	s_add_co_u32 s0, s80, s82
	s_cselect_b32 s2, -1, 0
	v_mul_hi_u32 v24, v16, s0
	s_cmp_lg_u32 s2, 0
	s_add_co_ci_u32 s2, s81, s83
	s_and_b64 s[80:81], s[0:1], s[68:69]
	v_mul_u64_e32 v[18:19], s[2:3], v[16:17]
	v_mul_u64_e32 v[8:9], s[80:81], v[20:21]
	;; [unrolled: 1-line block ×3, first 2 shown]
	s_delay_alu instid0(VALU_DEP_3) | instskip(NEXT) | instid1(VALU_DEP_1)
	v_add_nc_u64_e32 v[18:19], v[24:25], v[18:19]
	v_add_co_u32 v3, vcc_lo, v18, v8
	s_delay_alu instid0(VALU_DEP_2) | instskip(NEXT) | instid1(VALU_DEP_4)
	v_add_co_ci_u32_e32 v24, vcc_lo, v19, v9, vcc_lo
	v_add_co_ci_u32_e32 v23, vcc_lo, 0, v23, vcc_lo
	s_delay_alu instid0(VALU_DEP_1) | instskip(NEXT) | instid1(VALU_DEP_1)
	v_add_nc_u64_e32 v[8:9], v[24:25], v[22:23]
	v_mul_u64_e32 v[18:19], s[76:77], v[8:9]
	s_delay_alu instid0(VALU_DEP_1) | instskip(NEXT) | instid1(VALU_DEP_2)
	v_sub_nc_u32_e32 v3, v20, v19
	v_sub_co_u32 v11, vcc_lo, v16, v18
	s_delay_alu instid0(VALU_DEP_1) | instskip(NEXT) | instid1(VALU_DEP_3)
	v_sub_co_ci_u32_e64 v20, null, v20, v19, vcc_lo
	v_subrev_co_ci_u32_e64 v3, null, s77, v3, vcc_lo
	s_delay_alu instid0(VALU_DEP_3) | instskip(SKIP_1) | instid1(VALU_DEP_3)
	v_sub_co_u32 v15, s0, v11, s76
	v_add_nc_u64_e32 v[18:19], 1, v[8:9]
	v_subrev_co_ci_u32_e64 v3, null, 0, v3, s0
	s_delay_alu instid0(VALU_DEP_3) | instskip(SKIP_1) | instid1(VALU_DEP_3)
	v_cmp_le_u32_e32 vcc_lo, s76, v15
	v_cndmask_b32_e64 v15, 0, -1, vcc_lo
	v_cmp_le_u32_e32 vcc_lo, s77, v3
	v_cndmask_b32_e64 v16, 0, -1, vcc_lo
	;; [unrolled: 2-line block ×4, first 2 shown]
	v_cmp_eq_u32_e32 vcc_lo, s77, v3
	v_cndmask_b32_e32 v3, v16, v15, vcc_lo
	v_cmp_eq_u32_e32 vcc_lo, s77, v20
	v_add_nc_u64_e32 v[16:17], 2, v[8:9]
	v_cndmask_b32_e32 v11, v21, v11, vcc_lo
	s_delay_alu instid0(VALU_DEP_4) | instskip(NEXT) | instid1(VALU_DEP_3)
	v_cmp_ne_u32_e32 vcc_lo, 0, v3
	v_cndmask_b32_e32 v3, v19, v17, vcc_lo
	s_delay_alu instid0(VALU_DEP_3) | instskip(SKIP_1) | instid1(VALU_DEP_2)
	v_cmp_ne_u32_e64 s0, 0, v11
	v_dual_cndmask_b32 v11, v18, v16, vcc_lo :: v_dual_bitop2_b32 v10, s74, v10 bitop3:0x14
	v_cndmask_b32_e64 v3, v9, v3, s0
	s_delay_alu instid0(VALU_DEP_2) | instskip(NEXT) | instid1(VALU_DEP_2)
	v_dual_cndmask_b32 v8, v8, v11, s0 :: v_dual_mov_b32 v11, v10
	v_xor_b32_e32 v9, v3, v10
	s_delay_alu instid0(VALU_DEP_2) | instskip(NEXT) | instid1(VALU_DEP_1)
	v_xor_b32_e32 v8, v8, v10
	v_sub_nc_u64_e32 v[10:11], v[8:9], v[10:11]
                                        ; implicit-def: $vgpr8_vgpr9
.LBB43_60:                              ;   in Loop: Header=BB43_3 Depth=1
	s_and_not1_saveexec_b32 s0, s73
	s_cbranch_execz .LBB43_62
; %bb.61:                               ;   in Loop: Header=BB43_3 Depth=1
	v_rcp_iflag_f32_e32 v3, v14
	s_sub_co_i32 s2, 0, s56
	v_mov_b32_e32 v11, v2
	s_delay_alu instid0(TRANS32_DEP_1) | instskip(NEXT) | instid1(VALU_DEP_1)
	v_mul_f32_e32 v3, 0x4f7ffffe, v3
	v_cvt_u32_f32_e32 v3, v3
	s_delay_alu instid0(VALU_DEP_1) | instskip(NEXT) | instid1(VALU_DEP_1)
	v_mul_lo_u32 v9, s2, v3
	v_mul_hi_u32 v9, v3, v9
	s_delay_alu instid0(VALU_DEP_1) | instskip(NEXT) | instid1(VALU_DEP_1)
	v_add_nc_u32_e32 v3, v3, v9
	v_mul_hi_u32 v3, v8, v3
	s_delay_alu instid0(VALU_DEP_1) | instskip(NEXT) | instid1(VALU_DEP_1)
	v_mul_lo_u32 v9, v3, s56
	v_dual_sub_nc_u32 v8, v8, v9 :: v_dual_add_nc_u32 v9, 1, v3
	s_delay_alu instid0(VALU_DEP_1) | instskip(SKIP_1) | instid1(VALU_DEP_2)
	v_subrev_nc_u32_e32 v10, s56, v8
	v_cmp_le_u32_e32 vcc_lo, s56, v8
	v_dual_cndmask_b32 v8, v8, v10 :: v_dual_cndmask_b32 v3, v3, v9
	s_delay_alu instid0(VALU_DEP_1) | instskip(NEXT) | instid1(VALU_DEP_2)
	v_cmp_le_u32_e32 vcc_lo, s56, v8
	v_add_nc_u32_e32 v9, 1, v3
	s_delay_alu instid0(VALU_DEP_1)
	v_cndmask_b32_e32 v10, v3, v9, vcc_lo
.LBB43_62:                              ;   in Loop: Header=BB43_3 Depth=1
	s_or_b32 exec_lo, exec_lo, s0
	s_delay_alu instid0(VALU_DEP_1) | instskip(SKIP_2) | instid1(VALU_DEP_2)
	v_mul_u64_e32 v[8:9], s[56:57], v[10:11]
	v_add_nc_u64_e32 v[6:7], 4, v[6:7]
	s_mov_b32 s0, exec_lo
	v_sub_nc_u64_e32 v[8:9], v[4:5], v[8:9]
	s_delay_alu instid0(VALU_DEP_2) | instskip(NEXT) | instid1(VALU_DEP_2)
	v_mul_u64_e32 v[4:5], s[4:5], v[6:7]
	v_add_nc_u64_e32 v[6:7], v[0:1], v[8:9]
	v_mul_u64_e32 v[8:9], s[24:25], v[10:11]
	s_delay_alu instid0(VALU_DEP_2) | instskip(NEXT) | instid1(VALU_DEP_4)
	v_mul_u64_e32 v[10:11], s[26:27], v[6:7]
	v_add_nc_u64_e32 v[6:7], v[0:1], v[4:5]
	s_delay_alu instid0(VALU_DEP_3) | instskip(NEXT) | instid1(VALU_DEP_2)
	v_lshl_add_u64 v[8:9], v[8:9], 1, s[54:55]
	v_or_b32_e32 v3, s57, v7
	s_delay_alu instid0(VALU_DEP_2)
	v_lshl_add_u64 v[8:9], v[10:11], 1, v[8:9]
	global_store_b16 v[8:9], v12, off
                                        ; implicit-def: $vgpr8_vgpr9
	s_wait_xcnt 0x0
	v_cmpx_ne_u64_e32 0, v[2:3]
	s_xor_b32 s73, exec_lo, s0
	s_cbranch_execz .LBB43_64
; %bb.63:                               ;   in Loop: Header=BB43_3 Depth=1
	s_ashr_i32 s74, s57, 31
	v_dual_mov_b32 v11, v2 :: v_dual_ashrrev_i32 v8, 31, v7
	s_mov_b32 s75, s74
	s_delay_alu instid0(SALU_CYCLE_1) | instskip(NEXT) | instid1(VALU_DEP_1)
	s_add_nc_u64 s[76:77], s[56:57], s[74:75]
	v_mov_b32_e32 v9, v8
	s_xor_b64 s[76:77], s[76:77], s[74:75]
	s_delay_alu instid0(SALU_CYCLE_1)
	s_cvt_f32_u32 s0, s76
	s_cvt_f32_u32 s2, s77
	s_sub_nc_u64 s[82:83], 0, s[76:77]
	v_add_nc_u64_e32 v[6:7], v[6:7], v[8:9]
	v_mov_b32_e32 v17, v2
	s_fmamk_f32 s0, s2, 0x4f800000, s0
	s_delay_alu instid0(SALU_CYCLE_3) | instskip(NEXT) | instid1(VALU_DEP_2)
	v_s_rcp_f32 s0, s0
	v_xor_b32_e32 v10, v6, v8
	s_delay_alu instid0(VALU_DEP_3) | instskip(NEXT) | instid1(TRANS32_DEP_1)
	v_dual_mov_b32 v21, v2 :: v_dual_bitop2_b32 v16, v7, v8 bitop3:0x14
	s_mul_f32 s0, s0, 0x5f7ffffc
	s_delay_alu instid0(SALU_CYCLE_3) | instskip(NEXT) | instid1(SALU_CYCLE_3)
	s_mul_f32 s2, s0, 0x2f800000
	s_trunc_f32 s2, s2
	s_delay_alu instid0(SALU_CYCLE_3) | instskip(SKIP_1) | instid1(SALU_CYCLE_2)
	s_fmamk_f32 s0, s2, 0xcf800000, s0
	s_cvt_u32_f32 s81, s2
	s_cvt_u32_f32 s80, s0
	s_delay_alu instid0(SALU_CYCLE_3) | instskip(NEXT) | instid1(SALU_CYCLE_1)
	s_mul_u64 s[84:85], s[82:83], s[80:81]
	s_mul_hi_u32 s87, s80, s85
	s_mul_i32 s86, s80, s85
	s_mul_hi_u32 s2, s80, s84
	s_mul_i32 s75, s81, s84
	s_add_nc_u64 s[86:87], s[2:3], s[86:87]
	s_mul_hi_u32 s0, s81, s84
	s_mul_hi_u32 s79, s81, s85
	s_add_co_u32 s2, s86, s75
	s_add_co_ci_u32 s2, s87, s0
	s_mul_i32 s84, s81, s85
	s_add_co_ci_u32 s85, s79, 0
	s_delay_alu instid0(SALU_CYCLE_1) | instskip(NEXT) | instid1(SALU_CYCLE_1)
	s_add_nc_u64 s[84:85], s[2:3], s[84:85]
	s_add_co_u32 s80, s80, s84
	s_cselect_b32 s0, -1, 0
	s_delay_alu instid0(SALU_CYCLE_1) | instskip(SKIP_1) | instid1(SALU_CYCLE_1)
	s_cmp_lg_u32 s0, 0
	s_add_co_ci_u32 s81, s81, s85
	s_mul_u64 s[82:83], s[82:83], s[80:81]
	s_delay_alu instid0(SALU_CYCLE_1)
	s_mul_hi_u32 s85, s80, s83
	s_mul_i32 s84, s80, s83
	s_mul_hi_u32 s2, s80, s82
	s_mul_i32 s75, s81, s82
	s_add_nc_u64 s[84:85], s[2:3], s[84:85]
	s_mul_hi_u32 s0, s81, s82
	s_mul_hi_u32 s79, s81, s83
	s_add_co_u32 s2, s84, s75
	s_add_co_ci_u32 s2, s85, s0
	s_mul_i32 s82, s81, s83
	s_add_co_ci_u32 s83, s79, 0
	s_delay_alu instid0(SALU_CYCLE_1) | instskip(NEXT) | instid1(SALU_CYCLE_1)
	s_add_nc_u64 s[82:83], s[2:3], s[82:83]
	s_add_co_u32 s0, s80, s82
	s_cselect_b32 s2, -1, 0
	v_mul_hi_u32 v20, v10, s0
	s_cmp_lg_u32 s2, 0
	s_add_co_ci_u32 s2, s81, s83
	s_and_b64 s[80:81], s[0:1], s[68:69]
	v_mul_u64_e32 v[14:15], s[2:3], v[10:11]
	v_mul_u64_e32 v[6:7], s[80:81], v[16:17]
	;; [unrolled: 1-line block ×3, first 2 shown]
	s_delay_alu instid0(VALU_DEP_3) | instskip(NEXT) | instid1(VALU_DEP_1)
	v_add_nc_u64_e32 v[14:15], v[20:21], v[14:15]
	v_add_co_u32 v3, vcc_lo, v14, v6
	s_delay_alu instid0(VALU_DEP_2) | instskip(NEXT) | instid1(VALU_DEP_4)
	v_add_co_ci_u32_e32 v20, vcc_lo, v15, v7, vcc_lo
	v_add_co_ci_u32_e32 v19, vcc_lo, 0, v19, vcc_lo
	s_delay_alu instid0(VALU_DEP_1) | instskip(NEXT) | instid1(VALU_DEP_1)
	v_add_nc_u64_e32 v[6:7], v[20:21], v[18:19]
	v_mul_u64_e32 v[14:15], s[76:77], v[6:7]
	s_delay_alu instid0(VALU_DEP_1) | instskip(NEXT) | instid1(VALU_DEP_2)
	v_sub_nc_u32_e32 v3, v16, v15
	v_sub_co_u32 v9, vcc_lo, v10, v14
	s_delay_alu instid0(VALU_DEP_1) | instskip(NEXT) | instid1(VALU_DEP_3)
	v_sub_co_ci_u32_e64 v12, null, v16, v15, vcc_lo
	v_subrev_co_ci_u32_e64 v3, null, s77, v3, vcc_lo
	s_delay_alu instid0(VALU_DEP_3) | instskip(SKIP_1) | instid1(VALU_DEP_3)
	v_sub_co_u32 v10, s0, v9, s76
	v_add_nc_u64_e32 v[14:15], 1, v[6:7]
	v_subrev_co_ci_u32_e64 v3, null, 0, v3, s0
	s_delay_alu instid0(VALU_DEP_3) | instskip(SKIP_1) | instid1(VALU_DEP_3)
	v_cmp_le_u32_e32 vcc_lo, s76, v10
	v_cndmask_b32_e64 v10, 0, -1, vcc_lo
	v_cmp_le_u32_e32 vcc_lo, s77, v3
	v_cndmask_b32_e64 v11, 0, -1, vcc_lo
	;; [unrolled: 2-line block ×4, first 2 shown]
	v_cmp_eq_u32_e32 vcc_lo, s77, v3
	v_cndmask_b32_e32 v3, v11, v10, vcc_lo
	v_cmp_eq_u32_e32 vcc_lo, s77, v12
	v_add_nc_u64_e32 v[10:11], 2, v[6:7]
	v_cndmask_b32_e32 v9, v16, v9, vcc_lo
	s_delay_alu instid0(VALU_DEP_4) | instskip(NEXT) | instid1(VALU_DEP_2)
	v_cmp_ne_u32_e32 vcc_lo, 0, v3
	v_cmp_ne_u32_e64 s0, 0, v9
	s_delay_alu instid0(VALU_DEP_4) | instskip(SKIP_1) | instid1(VALU_DEP_2)
	v_dual_cndmask_b32 v3, v15, v11, vcc_lo :: v_dual_cndmask_b32 v9, v14, v10, vcc_lo
	v_xor_b32_e32 v8, s74, v8
                                        ; implicit-def: $vgpr14
	v_dual_cndmask_b32 v3, v7, v3, s0 :: v_dual_cndmask_b32 v6, v6, v9, s0
	s_delay_alu instid0(VALU_DEP_1) | instskip(NEXT) | instid1(VALU_DEP_2)
	v_dual_mov_b32 v9, v8 :: v_dual_bitop2_b32 v7, v3, v8 bitop3:0x14
	v_xor_b32_e32 v6, v6, v8
	s_delay_alu instid0(VALU_DEP_1)
	v_sub_nc_u64_e32 v[8:9], v[6:7], v[8:9]
                                        ; implicit-def: $vgpr6_vgpr7
.LBB43_64:                              ;   in Loop: Header=BB43_3 Depth=1
	s_and_not1_saveexec_b32 s0, s73
	s_cbranch_execz .LBB43_2
; %bb.65:                               ;   in Loop: Header=BB43_3 Depth=1
	v_rcp_iflag_f32_e32 v3, v14
	s_sub_co_i32 s2, 0, s56
	v_mov_b32_e32 v9, v2
	s_delay_alu instid0(TRANS32_DEP_1) | instskip(NEXT) | instid1(VALU_DEP_1)
	v_mul_f32_e32 v3, 0x4f7ffffe, v3
	v_cvt_u32_f32_e32 v3, v3
	s_delay_alu instid0(VALU_DEP_1) | instskip(NEXT) | instid1(VALU_DEP_1)
	v_mul_lo_u32 v7, s2, v3
	v_mul_hi_u32 v7, v3, v7
	s_delay_alu instid0(VALU_DEP_1) | instskip(NEXT) | instid1(VALU_DEP_1)
	v_add_nc_u32_e32 v3, v3, v7
	v_mul_hi_u32 v3, v6, v3
	s_delay_alu instid0(VALU_DEP_1) | instskip(NEXT) | instid1(VALU_DEP_1)
	v_mul_lo_u32 v7, v3, s56
	v_sub_nc_u32_e32 v6, v6, v7
	v_add_nc_u32_e32 v7, 1, v3
	s_delay_alu instid0(VALU_DEP_2) | instskip(SKIP_1) | instid1(VALU_DEP_2)
	v_subrev_nc_u32_e32 v8, s56, v6
	v_cmp_le_u32_e32 vcc_lo, s56, v6
	v_dual_cndmask_b32 v6, v6, v8 :: v_dual_cndmask_b32 v3, v3, v7
	s_delay_alu instid0(VALU_DEP_1) | instskip(NEXT) | instid1(VALU_DEP_2)
	v_cmp_le_u32_e32 vcc_lo, s56, v6
	v_add_nc_u32_e32 v7, 1, v3
	s_delay_alu instid0(VALU_DEP_1)
	v_cndmask_b32_e32 v8, v3, v7, vcc_lo
	s_branch .LBB43_2
.LBB43_66:
	s_endpgm
	.section	.rodata,"a",@progbits
	.p2align	6, 0x0
	.amdhsa_kernel _ZN2at6native12_GLOBAL__N_16kernel16gru_cell_forwardIN3c104HalfEflLi2EEEvNS_4cuda6detail10TensorInfoIT_T1_EESB_SB_SB_SB_SB_SB_SA_SA_
		.amdhsa_group_segment_fixed_size 0
		.amdhsa_private_segment_fixed_size 0
		.amdhsa_kernarg_size 3184
		.amdhsa_user_sgpr_count 2
		.amdhsa_user_sgpr_dispatch_ptr 0
		.amdhsa_user_sgpr_queue_ptr 0
		.amdhsa_user_sgpr_kernarg_segment_ptr 1
		.amdhsa_user_sgpr_dispatch_id 0
		.amdhsa_user_sgpr_kernarg_preload_length 0
		.amdhsa_user_sgpr_kernarg_preload_offset 0
		.amdhsa_user_sgpr_private_segment_size 0
		.amdhsa_wavefront_size32 1
		.amdhsa_uses_dynamic_stack 0
		.amdhsa_enable_private_segment 0
		.amdhsa_system_sgpr_workgroup_id_x 1
		.amdhsa_system_sgpr_workgroup_id_y 0
		.amdhsa_system_sgpr_workgroup_id_z 0
		.amdhsa_system_sgpr_workgroup_info 0
		.amdhsa_system_vgpr_workitem_id 0
		.amdhsa_next_free_vgpr 42
		.amdhsa_next_free_sgpr 88
		.amdhsa_named_barrier_count 0
		.amdhsa_reserve_vcc 1
		.amdhsa_float_round_mode_32 0
		.amdhsa_float_round_mode_16_64 0
		.amdhsa_float_denorm_mode_32 3
		.amdhsa_float_denorm_mode_16_64 3
		.amdhsa_fp16_overflow 0
		.amdhsa_memory_ordered 1
		.amdhsa_forward_progress 1
		.amdhsa_inst_pref_size 101
		.amdhsa_round_robin_scheduling 0
		.amdhsa_exception_fp_ieee_invalid_op 0
		.amdhsa_exception_fp_denorm_src 0
		.amdhsa_exception_fp_ieee_div_zero 0
		.amdhsa_exception_fp_ieee_overflow 0
		.amdhsa_exception_fp_ieee_underflow 0
		.amdhsa_exception_fp_ieee_inexact 0
		.amdhsa_exception_int_div_zero 0
	.end_amdhsa_kernel
	.section	.text._ZN2at6native12_GLOBAL__N_16kernel16gru_cell_forwardIN3c104HalfEflLi2EEEvNS_4cuda6detail10TensorInfoIT_T1_EESB_SB_SB_SB_SB_SB_SA_SA_,"axG",@progbits,_ZN2at6native12_GLOBAL__N_16kernel16gru_cell_forwardIN3c104HalfEflLi2EEEvNS_4cuda6detail10TensorInfoIT_T1_EESB_SB_SB_SB_SB_SB_SA_SA_,comdat
.Lfunc_end43:
	.size	_ZN2at6native12_GLOBAL__N_16kernel16gru_cell_forwardIN3c104HalfEflLi2EEEvNS_4cuda6detail10TensorInfoIT_T1_EESB_SB_SB_SB_SB_SB_SA_SA_, .Lfunc_end43-_ZN2at6native12_GLOBAL__N_16kernel16gru_cell_forwardIN3c104HalfEflLi2EEEvNS_4cuda6detail10TensorInfoIT_T1_EESB_SB_SB_SB_SB_SB_SA_SA_
                                        ; -- End function
	.set _ZN2at6native12_GLOBAL__N_16kernel16gru_cell_forwardIN3c104HalfEflLi2EEEvNS_4cuda6detail10TensorInfoIT_T1_EESB_SB_SB_SB_SB_SB_SA_SA_.num_vgpr, 42
	.set _ZN2at6native12_GLOBAL__N_16kernel16gru_cell_forwardIN3c104HalfEflLi2EEEvNS_4cuda6detail10TensorInfoIT_T1_EESB_SB_SB_SB_SB_SB_SA_SA_.num_agpr, 0
	.set _ZN2at6native12_GLOBAL__N_16kernel16gru_cell_forwardIN3c104HalfEflLi2EEEvNS_4cuda6detail10TensorInfoIT_T1_EESB_SB_SB_SB_SB_SB_SA_SA_.numbered_sgpr, 88
	.set _ZN2at6native12_GLOBAL__N_16kernel16gru_cell_forwardIN3c104HalfEflLi2EEEvNS_4cuda6detail10TensorInfoIT_T1_EESB_SB_SB_SB_SB_SB_SA_SA_.num_named_barrier, 0
	.set _ZN2at6native12_GLOBAL__N_16kernel16gru_cell_forwardIN3c104HalfEflLi2EEEvNS_4cuda6detail10TensorInfoIT_T1_EESB_SB_SB_SB_SB_SB_SA_SA_.private_seg_size, 0
	.set _ZN2at6native12_GLOBAL__N_16kernel16gru_cell_forwardIN3c104HalfEflLi2EEEvNS_4cuda6detail10TensorInfoIT_T1_EESB_SB_SB_SB_SB_SB_SA_SA_.uses_vcc, 1
	.set _ZN2at6native12_GLOBAL__N_16kernel16gru_cell_forwardIN3c104HalfEflLi2EEEvNS_4cuda6detail10TensorInfoIT_T1_EESB_SB_SB_SB_SB_SB_SA_SA_.uses_flat_scratch, 0
	.set _ZN2at6native12_GLOBAL__N_16kernel16gru_cell_forwardIN3c104HalfEflLi2EEEvNS_4cuda6detail10TensorInfoIT_T1_EESB_SB_SB_SB_SB_SB_SA_SA_.has_dyn_sized_stack, 0
	.set _ZN2at6native12_GLOBAL__N_16kernel16gru_cell_forwardIN3c104HalfEflLi2EEEvNS_4cuda6detail10TensorInfoIT_T1_EESB_SB_SB_SB_SB_SB_SA_SA_.has_recursion, 0
	.set _ZN2at6native12_GLOBAL__N_16kernel16gru_cell_forwardIN3c104HalfEflLi2EEEvNS_4cuda6detail10TensorInfoIT_T1_EESB_SB_SB_SB_SB_SB_SA_SA_.has_indirect_call, 0
	.section	.AMDGPU.csdata,"",@progbits
; Kernel info:
; codeLenInByte = 12844
; TotalNumSgprs: 90
; NumVgprs: 42
; ScratchSize: 0
; MemoryBound: 0
; FloatMode: 240
; IeeeMode: 1
; LDSByteSize: 0 bytes/workgroup (compile time only)
; SGPRBlocks: 0
; VGPRBlocks: 2
; NumSGPRsForWavesPerEU: 90
; NumVGPRsForWavesPerEU: 42
; NamedBarCnt: 0
; Occupancy: 16
; WaveLimiterHint : 1
; COMPUTE_PGM_RSRC2:SCRATCH_EN: 0
; COMPUTE_PGM_RSRC2:USER_SGPR: 2
; COMPUTE_PGM_RSRC2:TRAP_HANDLER: 0
; COMPUTE_PGM_RSRC2:TGID_X_EN: 1
; COMPUTE_PGM_RSRC2:TGID_Y_EN: 0
; COMPUTE_PGM_RSRC2:TGID_Z_EN: 0
; COMPUTE_PGM_RSRC2:TIDIG_COMP_CNT: 0
	.section	.text._ZN2at6native12_GLOBAL__N_16kernel16gru_cell_forwardIN3c108BFloat16EfiLi1EEEvNS_4cuda6detail10TensorInfoIT_T1_EESB_SB_SB_SB_SB_SB_SA_SA_,"axG",@progbits,_ZN2at6native12_GLOBAL__N_16kernel16gru_cell_forwardIN3c108BFloat16EfiLi1EEEvNS_4cuda6detail10TensorInfoIT_T1_EESB_SB_SB_SB_SB_SB_SA_SA_,comdat
	.globl	_ZN2at6native12_GLOBAL__N_16kernel16gru_cell_forwardIN3c108BFloat16EfiLi1EEEvNS_4cuda6detail10TensorInfoIT_T1_EESB_SB_SB_SB_SB_SB_SA_SA_ ; -- Begin function _ZN2at6native12_GLOBAL__N_16kernel16gru_cell_forwardIN3c108BFloat16EfiLi1EEEvNS_4cuda6detail10TensorInfoIT_T1_EESB_SB_SB_SB_SB_SB_SA_SA_
	.p2align	8
	.type	_ZN2at6native12_GLOBAL__N_16kernel16gru_cell_forwardIN3c108BFloat16EfiLi1EEEvNS_4cuda6detail10TensorInfoIT_T1_EESB_SB_SB_SB_SB_SB_SA_SA_,@function
_ZN2at6native12_GLOBAL__N_16kernel16gru_cell_forwardIN3c108BFloat16EfiLi1EEEvNS_4cuda6detail10TensorInfoIT_T1_EESB_SB_SB_SB_SB_SB_SA_SA_: ; @_ZN2at6native12_GLOBAL__N_16kernel16gru_cell_forwardIN3c108BFloat16EfiLi1EEEvNS_4cuda6detail10TensorInfoIT_T1_EESB_SB_SB_SB_SB_SB_SA_SA_
; %bb.0:
	s_clause 0x1
	s_load_b32 s4, s[0:1], 0x5fc
	s_load_b64 s[2:3], s[0:1], 0x5e8
	s_bfe_u32 s5, ttmp6, 0x4000c
	s_and_b32 s6, ttmp6, 15
	s_add_co_i32 s5, s5, 1
	s_getreg_b32 s7, hwreg(HW_REG_IB_STS2, 6, 4)
	s_mul_i32 s5, ttmp9, s5
	s_delay_alu instid0(SALU_CYCLE_1)
	s_add_co_i32 s6, s6, s5
	s_wait_kmcnt 0x0
	s_and_b32 s4, s4, 0xffff
	s_cmp_eq_u32 s7, 0
	s_cselect_b32 s5, ttmp9, s6
	s_mov_b32 s6, exec_lo
	v_mad_u32 v4, s5, s4, v0
	s_mov_b32 s5, 0
	s_delay_alu instid0(VALU_DEP_1)
	v_cmpx_gt_i32_e64 s3, v4
	s_cbranch_execz .LBB44_9
; %bb.1:
	s_load_b64 s[6:7], s[0:1], 0x1b0
	s_add_nc_u64 s[10:11], s[0:1], 0x5f0
	s_clause 0x4
	s_load_b32 s20, s[0:1], 0x21c
	s_load_b64 s[8:9], s[0:1], 0x288
	s_load_b32 s21, s[0:1], 0x2f4
	s_load_b32 s31, s[0:1], 0x3cc
	;; [unrolled: 1-line block ×4, first 2 shown]
	s_wait_xcnt 0x0
	s_clause 0x1
	s_load_b64 s[10:11], s[0:1], 0x360
	s_load_b64 s[12:13], s[0:1], 0x438
	v_mov_b32_e32 v1, 0
	s_wait_kmcnt 0x0
	s_cmp_lg_u64 s[6:7], 0
	v_mul_lo_u32 v5, v4, s31
	s_cselect_b32 s22, -1, 0
	s_abs_i32 s23, s2
	v_mul_lo_u32 v6, v4, s33
	s_cvt_f32_u32 s14, s23
	s_sub_co_i32 s34, 0, s23
	s_lshl_b32 s29, s2, 2
	s_sub_co_i32 s30, 0, s2
	v_rcp_iflag_f32_e32 v0, s14
	s_clause 0x5
	s_load_b64 s[14:15], s[0:1], 0x0
	s_load_b32 s24, s[0:1], 0x6c
	s_load_b64 s[16:17], s[0:1], 0xd8
	s_load_b32 s25, s[0:1], 0x144
	;; [unrolled: 2-line block ×3, first 2 shown]
	s_wait_xcnt 0x0
	s_mul_i32 s1, s27, s4
	s_mov_b32 s0, 0xbbbac73d
	s_ashr_i32 s27, s2, 31
	s_mul_i32 s31, s1, s31
	s_mul_i32 s33, s1, s33
	v_nop
	v_readfirstlane_b32 s28, v0
	s_mul_f32 s4, s28, 0x4f7ffffe
	s_lshl_b32 s28, s2, 1
	s_delay_alu instid0(SALU_CYCLE_2) | instskip(NEXT) | instid1(SALU_CYCLE_3)
	s_cvt_u32_f32 s4, s4
	s_mul_i32 s34, s34, s4
	s_delay_alu instid0(SALU_CYCLE_1) | instskip(NEXT) | instid1(SALU_CYCLE_1)
	s_mul_hi_u32 s34, s4, s34
	s_add_co_i32 s4, s4, s34
	s_mov_b32 s34, s5
	s_branch .LBB44_3
.LBB44_2:                               ;   in Loop: Header=BB44_3 Depth=1
	s_or_b32 exec_lo, exec_lo, s35
	v_dual_lshlrev_b32 v10, 16, v10 :: v_dual_lshlrev_b32 v11, 16, v11
	s_delay_alu instid0(VALU_DEP_2) | instskip(SKIP_4) | instid1(VALU_DEP_4)
	v_bfi_b32 v2, 0x7fffffff, v15, v2
	v_bfe_u32 v17, v12, 16, 1
	v_bfe_u32 v19, v3, 16, 1
	v_mad_u32 v9, s29, v9, v4
	v_dual_add_f32 v10, v10, v11 :: v_dual_lshlrev_b32 v8, 2, v8
	v_add3_u32 v17, v12, v17, 0x7fff
	s_wait_loadcnt 0x0
	v_dual_lshlrev_b32 v15, 16, v0 :: v_dual_add_nc_u32 v5, s31, v5
	s_delay_alu instid0(VALU_DEP_3) | instskip(NEXT) | instid1(VALU_DEP_2)
	v_dual_add_f32 v10, v10, v14 :: v_dual_lshlrev_b32 v7, 2, v7
	v_sub_f32_e32 v15, v15, v2
	s_delay_alu instid0(VALU_DEP_2) | instskip(SKIP_1) | instid1(VALU_DEP_4)
	v_add_f32_e32 v10, v13, v10
	v_mul_lo_u32 v9, v9, s26
	v_sub_nc_u32_e32 v7, v8, v7
	v_bfe_u32 v8, v2, 16, 1
	s_delay_alu instid0(VALU_DEP_4) | instskip(SKIP_1) | instid1(VALU_DEP_3)
	v_mul_f32_e32 v11, 0xbfb8aa3b, v10
	v_cmp_nlt_f32_e32 vcc_lo, 0x42ce8ed0, v10
	v_add3_u32 v8, v2, v8, 0x7fff
	s_delay_alu instid0(VALU_DEP_3) | instskip(SKIP_1) | instid1(VALU_DEP_2)
	v_fma_f32 v13, 0xbfb8aa3b, v10, -v11
	v_rndne_f32_e32 v14, v11
	v_dual_fmac_f32 v13, 0xb2a5705f, v10 :: v_dual_lshrrev_b32 v8, 16, v8
	s_delay_alu instid0(VALU_DEP_2) | instskip(NEXT) | instid1(VALU_DEP_1)
	v_sub_f32_e32 v11, v11, v14
	v_add_f32_e32 v11, v11, v13
	v_cvt_i32_f32_e32 v13, v14
	s_delay_alu instid0(VALU_DEP_2) | instskip(SKIP_1) | instid1(TRANS32_DEP_1)
	v_exp_f32_e32 v11, v11
	v_nop
	v_ldexp_f32 v11, v11, v13
	s_delay_alu instid0(VALU_DEP_1) | instskip(SKIP_1) | instid1(VALU_DEP_2)
	v_cndmask_b32_e32 v11, 0, v11, vcc_lo
	v_cmp_ngt_f32_e32 vcc_lo, 0xc2b17218, v10
	v_cndmask_b32_e32 v10, 0x7f800000, v11, vcc_lo
	s_delay_alu instid0(VALU_DEP_1) | instskip(NEXT) | instid1(VALU_DEP_1)
	v_add_f32_e32 v10, 1.0, v10
	v_div_scale_f32 v11, null, v10, v10, 1.0
	v_div_scale_f32 v16, vcc_lo, 1.0, v10, 1.0
	s_delay_alu instid0(VALU_DEP_2) | instskip(SKIP_1) | instid1(TRANS32_DEP_1)
	v_rcp_f32_e32 v13, v11
	v_nop
	v_fma_f32 v14, -v11, v13, 1.0
	s_delay_alu instid0(VALU_DEP_1) | instskip(NEXT) | instid1(VALU_DEP_1)
	v_fmac_f32_e32 v13, v14, v13
	v_mul_f32_e32 v14, v16, v13
	s_delay_alu instid0(VALU_DEP_1) | instskip(NEXT) | instid1(VALU_DEP_1)
	v_fma_f32 v18, -v11, v14, v16
	v_fmac_f32_e32 v14, v18, v13
	v_add3_u32 v18, v3, v19, 0x7fff
	s_delay_alu instid0(VALU_DEP_2) | instskip(NEXT) | instid1(VALU_DEP_2)
	v_dual_fma_f32 v11, -v11, v14, v16 :: v_dual_lshrrev_b32 v16, 16, v17
	v_dual_lshrrev_b32 v18, 16, v18 :: v_dual_bitop2_b32 v17, 1, v7 bitop3:0x54
	s_delay_alu instid0(VALU_DEP_2) | instskip(SKIP_3) | instid1(VALU_DEP_4)
	v_div_fmas_f32 v11, v11, v13, v14
	v_or_b32_e32 v13, 2, v7
	v_dual_add_nc_u32 v7, 4, v7 :: v_dual_bitop2_b32 v14, 3, v7 bitop3:0x54
	v_cmp_o_f32_e32 vcc_lo, v12, v12
	v_div_fixup_f32 v10, v11, v10, 1.0
	s_delay_alu instid0(VALU_DEP_4) | instskip(NEXT) | instid1(VALU_DEP_4)
	v_mad_u32 v13, s2, v13, v4
	v_mad_u32 v14, s2, v14, v4
	;; [unrolled: 1-line block ×3, first 2 shown]
	v_cndmask_b32_e32 v11, 0x7fc0, v16, vcc_lo
	v_fma_f32 v12, v10, v15, v2
	v_mad_u32 v15, s2, v17, v4
	v_add_nc_u32_e32 v4, s1, v4
	v_bfe_u32 v17, v10, 16, 1
	v_cmp_o_f32_e32 vcc_lo, v3, v3
	v_bfe_u32 v16, v12, 16, 1
	v_mul_lo_u32 v13, v13, s26
	s_delay_alu instid0(VALU_DEP_4) | instskip(SKIP_1) | instid1(VALU_DEP_4)
	v_add3_u32 v17, v10, v17, 0x7fff
	v_cndmask_b32_e32 v3, 0x7fc0, v18, vcc_lo
	v_add3_u32 v16, v12, v16, 0x7fff
	v_cmp_o_f32_e32 vcc_lo, v12, v12
	v_mul_lo_u32 v15, v15, s26
	v_mul_lo_u32 v14, v14, s26
	;; [unrolled: 1-line block ×3, first 2 shown]
	v_dual_lshrrev_b32 v16, 16, v16 :: v_dual_lshrrev_b32 v17, 16, v17
	s_delay_alu instid0(VALU_DEP_1) | instskip(SKIP_1) | instid1(VALU_DEP_3)
	v_cndmask_b32_e32 v12, 0x7fc0, v16, vcc_lo
	v_cmp_o_f32_e32 vcc_lo, v10, v10
	v_cndmask_b32_e32 v10, 0x7fc0, v17, vcc_lo
	v_cmp_o_f32_e32 vcc_lo, v2, v2
	global_store_b16 v6, v12, s[12:13] scale_offset
	s_clause 0x1
	global_store_b16 v9, v11, s[18:19] scale_offset
	global_store_b16 v15, v10, s[18:19] scale_offset
	s_wait_xcnt 0x2
	v_add_nc_u32_e32 v6, s33, v6
	v_cndmask_b32_e32 v2, 0x7fc0, v8, vcc_lo
	v_cmp_le_i32_e32 vcc_lo, s3, v4
	global_store_b16 v13, v2, s[18:19] scale_offset
	s_or_b32 s34, vcc_lo, s34
	s_clause 0x1
	global_store_b16 v14, v0, s[18:19] scale_offset
	global_store_b16 v7, v3, s[18:19] scale_offset
	s_wait_xcnt 0x0
	s_and_not1_b32 exec_lo, exec_lo, s34
	s_cbranch_execz .LBB44_9
.LBB44_3:                               ; =>This Inner Loop Header: Depth=1
	v_sub_nc_u32_e32 v0, 0, v4
	s_delay_alu instid0(VALU_DEP_1) | instskip(NEXT) | instid1(VALU_DEP_1)
	v_max_i32_e32 v0, v4, v0
	v_mul_u64_e32 v[2:3], s[4:5], v[0:1]
	s_delay_alu instid0(VALU_DEP_1) | instskip(NEXT) | instid1(VALU_DEP_1)
	v_mul_lo_u32 v2, v3, s23
	v_dual_sub_nc_u32 v0, v0, v2 :: v_dual_add_nc_u32 v2, 1, v3
	s_delay_alu instid0(VALU_DEP_1) | instskip(NEXT) | instid1(VALU_DEP_2)
	v_cmp_le_u32_e32 vcc_lo, s23, v0
	v_dual_cndmask_b32 v2, v3, v2 :: v_dual_ashrrev_i32 v3, 31, v4
	v_subrev_nc_u32_e32 v7, s23, v0
	s_delay_alu instid0(VALU_DEP_1) | instskip(NEXT) | instid1(VALU_DEP_1)
	v_dual_add_nc_u32 v8, 1, v2 :: v_dual_cndmask_b32 v0, v0, v7, vcc_lo
	v_cmp_le_u32_e32 vcc_lo, s23, v0
	s_delay_alu instid0(VALU_DEP_2) | instskip(SKIP_1) | instid1(VALU_DEP_1)
	v_dual_cndmask_b32 v0, v2, v8, vcc_lo :: v_dual_bitop2_b32 v7, s27, v3 bitop3:0x14
	s_and_not1_b32 vcc_lo, exec_lo, s22
	v_dual_lshlrev_b32 v0, 1, v7 :: v_dual_bitop2_b32 v8, v0, v7 bitop3:0x14
	s_delay_alu instid0(VALU_DEP_1) | instskip(NEXT) | instid1(VALU_DEP_1)
	v_dual_lshlrev_b32 v2, 1, v8 :: v_dual_sub_nc_u32 v9, v8, v7
	v_sub_nc_u32_e32 v0, v2, v0
	s_delay_alu instid0(VALU_DEP_2) | instskip(NEXT) | instid1(VALU_DEP_2)
	v_mad_u32 v3, s28, v9, v4
	v_dual_add_nc_u32 v0, 2, v0 :: v_dual_bitop2_b32 v2, 1, v0 bitop3:0x54
	s_delay_alu instid0(VALU_DEP_1) | instskip(NEXT) | instid1(VALU_DEP_2)
	v_mad_u32 v2, s2, v2, v4
	v_mad_u32 v0, s2, v0, v4
	s_wait_kmcnt 0x0
	s_delay_alu instid0(VALU_DEP_4) | instskip(SKIP_1) | instid1(VALU_DEP_4)
	v_mul_lo_u32 v13, v3, s24
	v_mul_lo_u32 v3, v3, s25
	v_mul_lo_u32 v14, v2, s24
	s_delay_alu instid0(VALU_DEP_4)
	v_mul_lo_u32 v18, v0, s24
	v_mul_lo_u32 v2, v2, s25
	;; [unrolled: 1-line block ×3, first 2 shown]
	s_clause 0x2
	global_load_u16 v16, v13, s[14:15] scale_offset
	global_load_u16 v10, v14, s[14:15] scale_offset
	;; [unrolled: 1-line block ×3, first 2 shown]
	s_clause 0x2
	global_load_u16 v17, v3, s[16:17] scale_offset
	global_load_u16 v11, v2, s[16:17] scale_offset
	;; [unrolled: 1-line block ×4, first 2 shown]
	s_wait_xcnt 0x3
	v_dual_mov_b32 v3, 0 :: v_dual_mov_b32 v13, 0
	s_wait_xcnt 0x2
	v_dual_mov_b32 v18, 0 :: v_dual_mov_b32 v2, 0
	;; [unrolled: 2-line block ×3, first 2 shown]
	s_cbranch_vccnz .LBB44_5
; %bb.4:                                ;   in Loop: Header=BB44_3 Depth=1
	v_sub_nc_u32_e32 v2, v7, v8
	v_mad_u32 v13, s30, v9, v4
	s_delay_alu instid0(VALU_DEP_2) | instskip(SKIP_1) | instid1(VALU_DEP_1)
	v_mul_lo_u32 v3, s2, v2
	v_add_nc_u32_e32 v2, 2, v2
	v_mad_u32 v2, s2, v2, v4
	s_delay_alu instid0(VALU_DEP_4) | instskip(SKIP_2) | instid1(VALU_DEP_1)
	v_mul_lo_u32 v14, v13, s20
	v_mul_lo_u32 v13, v13, s21
	v_add3_u32 v3, v3, s2, v4
	v_mul_lo_u32 v18, v3, s20
	v_mul_lo_u32 v19, v2, s20
	;; [unrolled: 1-line block ×4, first 2 shown]
	global_load_u16 v20, v14, s[6:7] scale_offset
	global_load_u16 v21, v13, s[8:9] scale_offset
	s_clause 0x1
	global_load_u16 v22, v18, s[6:7] scale_offset
	global_load_u16 v23, v19, s[6:7] scale_offset
	s_clause 0x1
	global_load_u16 v24, v2, s[8:9] scale_offset
	global_load_u16 v25, v3, s[8:9] scale_offset
	s_wait_loadcnt 0x4
	s_wait_xcnt 0x2
	v_dual_lshlrev_b32 v19, 16, v20 :: v_dual_lshlrev_b32 v18, 16, v21
	s_wait_loadcnt 0x2
	s_wait_xcnt 0x1
	v_dual_lshlrev_b32 v14, 16, v22 :: v_dual_lshlrev_b32 v2, 16, v23
	;; [unrolled: 3-line block ×3, first 2 shown]
.LBB44_5:                               ;   in Loop: Header=BB44_3 Depth=1
	s_wait_loadcnt 0x3
	v_dual_lshlrev_b32 v16, 16, v16 :: v_dual_lshlrev_b32 v17, 16, v17
	s_delay_alu instid0(VALU_DEP_1) | instskip(NEXT) | instid1(VALU_DEP_1)
	v_add_f32_e32 v16, v17, v16
	v_add_f32_e32 v16, v16, v19
	s_delay_alu instid0(VALU_DEP_1) | instskip(NEXT) | instid1(VALU_DEP_1)
	v_add_f32_e32 v16, v18, v16
	v_mul_f32_e32 v17, 0xbfb8aa3b, v16
	v_cmp_nlt_f32_e32 vcc_lo, 0x42ce8ed0, v16
	s_delay_alu instid0(VALU_DEP_2) | instskip(SKIP_1) | instid1(VALU_DEP_1)
	v_fma_f32 v18, 0xbfb8aa3b, v16, -v17
	v_rndne_f32_e32 v19, v17
	v_dual_fmac_f32 v18, 0xb2a5705f, v16 :: v_dual_sub_f32 v17, v17, v19
	s_delay_alu instid0(VALU_DEP_1) | instskip(SKIP_1) | instid1(VALU_DEP_2)
	v_add_f32_e32 v17, v17, v18
	v_cvt_i32_f32_e32 v18, v19
	v_exp_f32_e32 v17, v17
	v_nop
	s_delay_alu instid0(TRANS32_DEP_1) | instskip(NEXT) | instid1(VALU_DEP_1)
	v_ldexp_f32 v17, v17, v18
	v_cndmask_b32_e32 v17, 0, v17, vcc_lo
	v_cmp_ngt_f32_e32 vcc_lo, 0xc2b17218, v16
	s_delay_alu instid0(VALU_DEP_2) | instskip(NEXT) | instid1(VALU_DEP_1)
	v_cndmask_b32_e32 v16, 0x7f800000, v17, vcc_lo
	v_add_f32_e32 v18, 1.0, v16
	s_delay_alu instid0(VALU_DEP_1) | instskip(SKIP_1) | instid1(VALU_DEP_2)
	v_div_scale_f32 v16, null, v18, v18, 1.0
	v_div_scale_f32 v20, vcc_lo, 1.0, v18, 1.0
	v_rcp_f32_e32 v19, v16
	v_nop
	s_delay_alu instid0(TRANS32_DEP_1) | instskip(NEXT) | instid1(VALU_DEP_1)
	v_fma_f32 v17, -v16, v19, 1.0
	v_fmac_f32_e32 v19, v17, v19
	s_delay_alu instid0(VALU_DEP_1) | instskip(NEXT) | instid1(VALU_DEP_1)
	v_mul_f32_e32 v21, v20, v19
	v_fma_f32 v17, -v16, v21, v20
	s_delay_alu instid0(VALU_DEP_1) | instskip(SKIP_1) | instid1(VALU_DEP_1)
	v_fmac_f32_e32 v21, v17, v19
	s_wait_loadcnt 0x1
	v_dual_lshlrev_b32 v17, 16, v15 :: v_dual_fma_f32 v16, -v16, v21, v20
	s_delay_alu instid0(VALU_DEP_1) | instskip(SKIP_1) | instid1(VALU_DEP_2)
	v_div_fmas_f32 v15, v16, v19, v21
	v_lshlrev_b32_e32 v16, 16, v12
	v_div_fixup_f32 v12, v15, v18, 1.0
	s_delay_alu instid0(VALU_DEP_2) | instskip(NEXT) | instid1(VALU_DEP_1)
	v_pk_add_f32 v[2:3], v[2:3], v[16:17]
                                        ; implicit-def: $vgpr15
	v_fma_f32 v2, v3, v12, v2
	s_delay_alu instid0(VALU_DEP_1) | instskip(SKIP_2) | instid1(SALU_CYCLE_1)
	v_cmp_ngt_f32_e64 s35, 0x3f200000, |v2|
	s_wait_xcnt 0x0
	s_and_saveexec_b32 s36, s35
	s_xor_b32 s35, exec_lo, s36
	s_cbranch_execz .LBB44_7
; %bb.6:                                ;   in Loop: Header=BB44_3 Depth=1
	v_add_f32_e64 v15, |v2|, |v2|
	s_delay_alu instid0(VALU_DEP_1) | instskip(SKIP_1) | instid1(VALU_DEP_2)
	v_mul_f32_e32 v16, 0x3fb8aa3b, v15
	v_cmp_ngt_f32_e32 vcc_lo, 0xc2ce8ed0, v15
	v_rndne_f32_e32 v17, v16
	v_fma_f32 v18, 0x3fb8aa3b, v15, -v16
	s_delay_alu instid0(VALU_DEP_2) | instskip(NEXT) | instid1(VALU_DEP_2)
	v_sub_f32_e32 v16, v16, v17
	v_fmac_f32_e32 v18, 0x32a5705f, v15
	v_cvt_i32_f32_e32 v17, v17
	s_delay_alu instid0(VALU_DEP_2) | instskip(NEXT) | instid1(VALU_DEP_1)
	v_add_f32_e32 v16, v16, v18
	v_exp_f32_e32 v16, v16
	v_nop
	s_delay_alu instid0(TRANS32_DEP_1) | instskip(NEXT) | instid1(VALU_DEP_1)
	v_ldexp_f32 v16, v16, v17
	v_cndmask_b32_e32 v16, 0, v16, vcc_lo
	v_cmp_nlt_f32_e32 vcc_lo, 0x42b17218, v15
	s_delay_alu instid0(VALU_DEP_2) | instskip(NEXT) | instid1(VALU_DEP_1)
	v_cndmask_b32_e32 v15, 0x7f800000, v16, vcc_lo
	v_add_f32_e32 v15, 1.0, v15
	s_delay_alu instid0(VALU_DEP_1) | instskip(SKIP_1) | instid1(TRANS32_DEP_1)
	v_rcp_f32_e32 v15, v15
	v_nop
	v_fma_f32 v15, v15, -2.0, 1.0
.LBB44_7:                               ;   in Loop: Header=BB44_3 Depth=1
	s_and_not1_saveexec_b32 s35, s35
	s_cbranch_execz .LBB44_2
; %bb.8:                                ;   in Loop: Header=BB44_3 Depth=1
	v_mul_f32_e32 v15, v2, v2
	s_delay_alu instid0(VALU_DEP_1) | instskip(NEXT) | instid1(VALU_DEP_1)
	v_fmaak_f32 v16, s0, v15, 0x3ca908c9
	v_fmaak_f32 v16, v15, v16, 0xbd5c1c4e
	s_delay_alu instid0(VALU_DEP_1) | instskip(NEXT) | instid1(VALU_DEP_1)
	v_fmaak_f32 v16, v15, v16, 0x3e088382
	v_fmaak_f32 v16, v15, v16, 0xbeaaaa99
	s_delay_alu instid0(VALU_DEP_1) | instskip(NEXT) | instid1(VALU_DEP_1)
	v_mul_f32_e64 v16, |v2|, v16
	v_fma_f32 v15, v15, v16, |v2|
	s_branch .LBB44_2
.LBB44_9:
	s_endpgm
	.section	.rodata,"a",@progbits
	.p2align	6, 0x0
	.amdhsa_kernel _ZN2at6native12_GLOBAL__N_16kernel16gru_cell_forwardIN3c108BFloat16EfiLi1EEEvNS_4cuda6detail10TensorInfoIT_T1_EESB_SB_SB_SB_SB_SB_SA_SA_
		.amdhsa_group_segment_fixed_size 0
		.amdhsa_private_segment_fixed_size 0
		.amdhsa_kernarg_size 1776
		.amdhsa_user_sgpr_count 2
		.amdhsa_user_sgpr_dispatch_ptr 0
		.amdhsa_user_sgpr_queue_ptr 0
		.amdhsa_user_sgpr_kernarg_segment_ptr 1
		.amdhsa_user_sgpr_dispatch_id 0
		.amdhsa_user_sgpr_kernarg_preload_length 0
		.amdhsa_user_sgpr_kernarg_preload_offset 0
		.amdhsa_user_sgpr_private_segment_size 0
		.amdhsa_wavefront_size32 1
		.amdhsa_uses_dynamic_stack 0
		.amdhsa_enable_private_segment 0
		.amdhsa_system_sgpr_workgroup_id_x 1
		.amdhsa_system_sgpr_workgroup_id_y 0
		.amdhsa_system_sgpr_workgroup_id_z 0
		.amdhsa_system_sgpr_workgroup_info 0
		.amdhsa_system_vgpr_workitem_id 0
		.amdhsa_next_free_vgpr 26
		.amdhsa_next_free_sgpr 37
		.amdhsa_named_barrier_count 0
		.amdhsa_reserve_vcc 1
		.amdhsa_float_round_mode_32 0
		.amdhsa_float_round_mode_16_64 0
		.amdhsa_float_denorm_mode_32 3
		.amdhsa_float_denorm_mode_16_64 3
		.amdhsa_fp16_overflow 0
		.amdhsa_memory_ordered 1
		.amdhsa_forward_progress 1
		.amdhsa_inst_pref_size 18
		.amdhsa_round_robin_scheduling 0
		.amdhsa_exception_fp_ieee_invalid_op 0
		.amdhsa_exception_fp_denorm_src 0
		.amdhsa_exception_fp_ieee_div_zero 0
		.amdhsa_exception_fp_ieee_overflow 0
		.amdhsa_exception_fp_ieee_underflow 0
		.amdhsa_exception_fp_ieee_inexact 0
		.amdhsa_exception_int_div_zero 0
	.end_amdhsa_kernel
	.section	.text._ZN2at6native12_GLOBAL__N_16kernel16gru_cell_forwardIN3c108BFloat16EfiLi1EEEvNS_4cuda6detail10TensorInfoIT_T1_EESB_SB_SB_SB_SB_SB_SA_SA_,"axG",@progbits,_ZN2at6native12_GLOBAL__N_16kernel16gru_cell_forwardIN3c108BFloat16EfiLi1EEEvNS_4cuda6detail10TensorInfoIT_T1_EESB_SB_SB_SB_SB_SB_SA_SA_,comdat
.Lfunc_end44:
	.size	_ZN2at6native12_GLOBAL__N_16kernel16gru_cell_forwardIN3c108BFloat16EfiLi1EEEvNS_4cuda6detail10TensorInfoIT_T1_EESB_SB_SB_SB_SB_SB_SA_SA_, .Lfunc_end44-_ZN2at6native12_GLOBAL__N_16kernel16gru_cell_forwardIN3c108BFloat16EfiLi1EEEvNS_4cuda6detail10TensorInfoIT_T1_EESB_SB_SB_SB_SB_SB_SA_SA_
                                        ; -- End function
	.set _ZN2at6native12_GLOBAL__N_16kernel16gru_cell_forwardIN3c108BFloat16EfiLi1EEEvNS_4cuda6detail10TensorInfoIT_T1_EESB_SB_SB_SB_SB_SB_SA_SA_.num_vgpr, 26
	.set _ZN2at6native12_GLOBAL__N_16kernel16gru_cell_forwardIN3c108BFloat16EfiLi1EEEvNS_4cuda6detail10TensorInfoIT_T1_EESB_SB_SB_SB_SB_SB_SA_SA_.num_agpr, 0
	.set _ZN2at6native12_GLOBAL__N_16kernel16gru_cell_forwardIN3c108BFloat16EfiLi1EEEvNS_4cuda6detail10TensorInfoIT_T1_EESB_SB_SB_SB_SB_SB_SA_SA_.numbered_sgpr, 37
	.set _ZN2at6native12_GLOBAL__N_16kernel16gru_cell_forwardIN3c108BFloat16EfiLi1EEEvNS_4cuda6detail10TensorInfoIT_T1_EESB_SB_SB_SB_SB_SB_SA_SA_.num_named_barrier, 0
	.set _ZN2at6native12_GLOBAL__N_16kernel16gru_cell_forwardIN3c108BFloat16EfiLi1EEEvNS_4cuda6detail10TensorInfoIT_T1_EESB_SB_SB_SB_SB_SB_SA_SA_.private_seg_size, 0
	.set _ZN2at6native12_GLOBAL__N_16kernel16gru_cell_forwardIN3c108BFloat16EfiLi1EEEvNS_4cuda6detail10TensorInfoIT_T1_EESB_SB_SB_SB_SB_SB_SA_SA_.uses_vcc, 1
	.set _ZN2at6native12_GLOBAL__N_16kernel16gru_cell_forwardIN3c108BFloat16EfiLi1EEEvNS_4cuda6detail10TensorInfoIT_T1_EESB_SB_SB_SB_SB_SB_SA_SA_.uses_flat_scratch, 0
	.set _ZN2at6native12_GLOBAL__N_16kernel16gru_cell_forwardIN3c108BFloat16EfiLi1EEEvNS_4cuda6detail10TensorInfoIT_T1_EESB_SB_SB_SB_SB_SB_SA_SA_.has_dyn_sized_stack, 0
	.set _ZN2at6native12_GLOBAL__N_16kernel16gru_cell_forwardIN3c108BFloat16EfiLi1EEEvNS_4cuda6detail10TensorInfoIT_T1_EESB_SB_SB_SB_SB_SB_SA_SA_.has_recursion, 0
	.set _ZN2at6native12_GLOBAL__N_16kernel16gru_cell_forwardIN3c108BFloat16EfiLi1EEEvNS_4cuda6detail10TensorInfoIT_T1_EESB_SB_SB_SB_SB_SB_SA_SA_.has_indirect_call, 0
	.section	.AMDGPU.csdata,"",@progbits
; Kernel info:
; codeLenInByte = 2240
; TotalNumSgprs: 39
; NumVgprs: 26
; ScratchSize: 0
; MemoryBound: 0
; FloatMode: 240
; IeeeMode: 1
; LDSByteSize: 0 bytes/workgroup (compile time only)
; SGPRBlocks: 0
; VGPRBlocks: 1
; NumSGPRsForWavesPerEU: 39
; NumVGPRsForWavesPerEU: 26
; NamedBarCnt: 0
; Occupancy: 16
; WaveLimiterHint : 1
; COMPUTE_PGM_RSRC2:SCRATCH_EN: 0
; COMPUTE_PGM_RSRC2:USER_SGPR: 2
; COMPUTE_PGM_RSRC2:TRAP_HANDLER: 0
; COMPUTE_PGM_RSRC2:TGID_X_EN: 1
; COMPUTE_PGM_RSRC2:TGID_Y_EN: 0
; COMPUTE_PGM_RSRC2:TGID_Z_EN: 0
; COMPUTE_PGM_RSRC2:TIDIG_COMP_CNT: 0
	.section	.text._ZN2at6native12_GLOBAL__N_16kernel16gru_cell_forwardIN3c108BFloat16EfiLi2EEEvNS_4cuda6detail10TensorInfoIT_T1_EESB_SB_SB_SB_SB_SB_SA_SA_,"axG",@progbits,_ZN2at6native12_GLOBAL__N_16kernel16gru_cell_forwardIN3c108BFloat16EfiLi2EEEvNS_4cuda6detail10TensorInfoIT_T1_EESB_SB_SB_SB_SB_SB_SA_SA_,comdat
	.globl	_ZN2at6native12_GLOBAL__N_16kernel16gru_cell_forwardIN3c108BFloat16EfiLi2EEEvNS_4cuda6detail10TensorInfoIT_T1_EESB_SB_SB_SB_SB_SB_SA_SA_ ; -- Begin function _ZN2at6native12_GLOBAL__N_16kernel16gru_cell_forwardIN3c108BFloat16EfiLi2EEEvNS_4cuda6detail10TensorInfoIT_T1_EESB_SB_SB_SB_SB_SB_SA_SA_
	.p2align	8
	.type	_ZN2at6native12_GLOBAL__N_16kernel16gru_cell_forwardIN3c108BFloat16EfiLi2EEEvNS_4cuda6detail10TensorInfoIT_T1_EESB_SB_SB_SB_SB_SB_SA_SA_,@function
_ZN2at6native12_GLOBAL__N_16kernel16gru_cell_forwardIN3c108BFloat16EfiLi2EEEvNS_4cuda6detail10TensorInfoIT_T1_EESB_SB_SB_SB_SB_SB_SA_SA_: ; @_ZN2at6native12_GLOBAL__N_16kernel16gru_cell_forwardIN3c108BFloat16EfiLi2EEEvNS_4cuda6detail10TensorInfoIT_T1_EESB_SB_SB_SB_SB_SB_SA_SA_
; %bb.0:
	s_clause 0x1
	s_load_b32 s2, s[0:1], 0x5fc
	s_load_b64 s[4:5], s[0:1], 0x5e8
	s_bfe_u32 s3, ttmp6, 0x4000c
	s_and_b32 s6, ttmp6, 15
	s_add_co_i32 s3, s3, 1
	s_getreg_b32 s7, hwreg(HW_REG_IB_STS2, 6, 4)
	s_mul_i32 s3, ttmp9, s3
	s_delay_alu instid0(SALU_CYCLE_1)
	s_add_co_i32 s6, s6, s3
	s_wait_kmcnt 0x0
	s_and_b32 s2, s2, 0xffff
	s_cmp_eq_u32 s7, 0
	s_mov_b32 s7, 0
	s_cselect_b32 s3, ttmp9, s6
	s_delay_alu instid0(SALU_CYCLE_1) | instskip(SKIP_1) | instid1(VALU_DEP_1)
	v_mad_u32 v4, s3, s2, v0
	s_mov_b32 s3, exec_lo
	v_cmpx_gt_i32_e64 s5, v4
	s_cbranch_execz .LBB45_9
; %bb.1:
	s_clause 0x1
	s_load_b64 s[8:9], s[0:1], 0x1b0
	s_load_b32 s3, s[0:1], 0xc
	s_add_nc_u64 s[22:23], s[0:1], 0x5f0
	s_clause 0x5
	s_load_b64 s[10:11], s[0:1], 0x0
	s_load_b64 s[12:13], s[0:1], 0x6c
	;; [unrolled: 1-line block ×3, first 2 shown]
	s_load_b32 s33, s[0:1], 0xe4
	s_load_b64 s[16:17], s[0:1], 0x144
	s_load_b32 s44, s[0:1], 0x21c
	s_load_b32 s50, s[22:23], 0x0
	s_clause 0x3
	s_load_b64 s[18:19], s[0:1], 0x288
	s_load_b32 s45, s[0:1], 0x2f4
	s_load_b64 s[20:21], s[0:1], 0x360
	s_load_b32 s64, s[0:1], 0x36c
	s_wait_xcnt 0x0
	s_clause 0x6
	s_load_b64 s[22:23], s[0:1], 0x3cc
	s_load_b64 s[24:25], s[0:1], 0x438
	s_load_b32 s65, s[0:1], 0x444
	s_load_b64 s[26:27], s[0:1], 0x4a4
	s_load_b64 s[28:29], s[0:1], 0x510
	s_load_b32 s49, s[0:1], 0x51c
	s_load_b64 s[30:31], s[0:1], 0x57c
	s_mov_b32 s35, s7
	s_mov_b32 s39, s7
	;; [unrolled: 1-line block ×5, first 2 shown]
	s_wait_kmcnt 0x0
	s_mul_i32 s50, s50, s2
	s_cmp_lg_u64 s[8:9], 0
	s_cselect_b32 s46, -1, 0
	s_abs_i32 s47, s4
	s_abs_i32 s48, s3
	s_cvt_f32_u32 s6, s47
	s_cvt_f32_u32 s34, s48
	s_abs_i32 s52, s33
	s_abs_i32 s54, s64
	v_rcp_iflag_f32_e32 v0, s6
	v_rcp_iflag_f32_e32 v1, s34
	s_cvt_f32_u32 s0, s52
	s_sub_co_i32 s6, 0, s47
	s_sub_co_i32 s34, 0, s48
	s_abs_i32 s55, s65
	s_abs_i32 s57, s49
	v_readfirstlane_b32 s1, v0
	v_readfirstlane_b32 s2, v1
	v_rcp_iflag_f32_e32 v0, s0
	s_sub_co_i32 s36, 0, s52
	s_sub_co_i32 s37, 0, s54
	s_mul_f32 s0, s1, 0x4f7ffffe
	s_mul_f32 s1, s2, 0x4f7ffffe
	s_cvt_f32_u32 s2, s54
	s_sub_co_i32 s41, 0, s57
	s_cvt_u32_f32 s0, s0
	s_cvt_u32_f32 s1, s1
	v_rcp_iflag_f32_e32 v1, s2
	v_nop
	v_readfirstlane_b32 s2, v0
	s_mul_i32 s6, s6, s0
	s_mul_i32 s34, s34, s1
	s_mul_hi_u32 s6, s0, s6
	s_mul_hi_u32 s34, s1, s34
	s_add_co_i32 s6, s0, s6
	s_mul_f32 s0, s2, 0x4f7ffffe
	s_cvt_f32_u32 s2, s55
	s_add_co_i32 s34, s1, s34
	v_readfirstlane_b32 s1, v1
	s_cvt_u32_f32 s0, s0
	v_rcp_iflag_f32_e32 v0, s2
	s_cvt_f32_u32 s2, s57
	s_ashr_i32 s51, s4, 31
	s_mul_f32 s1, s1, 0x4f7ffffe
	s_mul_i32 s36, s36, s0
	v_rcp_iflag_f32_e32 v1, s2
	s_mul_hi_u32 s36, s0, s36
	v_nop
	v_readfirstlane_b32 s2, v0
	s_cvt_u32_f32 s1, s1
	s_add_co_i32 s36, s0, s36
	s_ashr_i32 s53, s3, 31
	s_ashr_i32 s56, s33, 31
	v_readfirstlane_b32 s40, v1
	s_mul_i32 s0, s37, s1
	s_mul_f32 s2, s2, 0x4f7ffffe
	s_mul_hi_u32 s0, s1, s0
	v_mov_b32_e32 v1, 0
	s_add_co_i32 s38, s1, s0
	s_cvt_u32_f32 s0, s2
	s_mul_f32 s1, s40, 0x4f7ffffe
	s_sub_co_i32 s2, 0, s55
	s_mov_b32 s37, s7
	s_mul_i32 s2, s2, s0
	s_cvt_u32_f32 s1, s1
	s_mul_hi_u32 s2, s0, s2
	s_ashr_i32 s58, s64, 31
	s_add_co_i32 s40, s0, s2
	s_mul_i32 s0, s41, s1
	s_ashr_i32 s59, s65, 31
	s_mul_hi_u32 s0, s1, s0
	s_mov_b32 s41, s7
	s_ashr_i32 s60, s49, 31
	s_add_co_i32 s42, s1, s0
	s_lshl_b32 s61, s4, 1
	s_lshl_b32 s62, s4, 2
	s_sub_co_i32 s63, 0, s4
	s_sub_co_i32 s64, 0, s64
	;; [unrolled: 1-line block ×3, first 2 shown]
	s_branch .LBB45_3
.LBB45_2:                               ;   in Loop: Header=BB45_3 Depth=1
	s_or_b32 exec_lo, exec_lo, s0
	v_mul_u64_e32 v[16:17], s[40:41], v[0:1]
	v_mul_lo_u32 v16, s62, v10
	v_dual_lshlrev_b32 v6, 2, v6 :: v_dual_lshlrev_b32 v11, 16, v11
	v_bfi_b32 v2, 0x7fffffff, v15, v2
	v_dual_lshlrev_b32 v7, 2, v7 :: v_dual_lshlrev_b32 v12, 16, v12
	s_delay_alu instid0(VALU_DEP_1) | instskip(SKIP_1) | instid1(VALU_DEP_1)
	v_dual_add_f32 v12, v11, v12 :: v_dual_bitop2_b32 v5, s59, v5 bitop3:0x14
	v_add_nc_u32_e32 v10, v4, v16
	v_ashrrev_i32_e32 v20, 31, v10
	s_delay_alu instid0(VALU_DEP_1) | instskip(SKIP_1) | instid1(VALU_DEP_1)
	v_add3_u32 v10, v20, v16, v4
	v_mul_lo_u32 v18, v17, s55
	v_dual_sub_nc_u32 v21, v0, v18 :: v_dual_bitop2_b32 v0, v10, v20 bitop3:0x14
	s_delay_alu instid0(VALU_DEP_1) | instskip(NEXT) | instid1(VALU_DEP_2)
	v_subrev_nc_u32_e32 v31, s55, v21
	v_mul_u64_e32 v[18:19], s[42:43], v[0:1]
	v_sub_nc_u32_e32 v18, v7, v6
	s_delay_alu instid0(VALU_DEP_1) | instskip(NEXT) | instid1(VALU_DEP_1)
	v_or_b32_e32 v6, 1, v18
	v_mul_lo_u32 v22, s4, v6
	s_delay_alu instid0(VALU_DEP_1) | instskip(NEXT) | instid1(VALU_DEP_1)
	v_add_nc_u32_e32 v6, v4, v22
	v_ashrrev_i32_e32 v23, 31, v6
	v_mul_lo_u32 v7, v19, s57
	s_delay_alu instid0(VALU_DEP_2) | instskip(NEXT) | instid1(VALU_DEP_2)
	v_add3_u32 v6, v23, v22, v4
	v_sub_nc_u32_e32 v24, v0, v7
	s_delay_alu instid0(VALU_DEP_2) | instskip(NEXT) | instid1(VALU_DEP_1)
	v_xor_b32_e32 v0, v6, v23
	v_mul_u64_e32 v[6:7], s[42:43], v[0:1]
	s_delay_alu instid0(VALU_DEP_1) | instskip(SKIP_1) | instid1(VALU_DEP_1)
	v_mul_lo_u32 v25, v7, s57
	v_or_b32_e32 v6, 2, v18
	v_mul_lo_u32 v6, s4, v6
	s_delay_alu instid0(VALU_DEP_1) | instskip(NEXT) | instid1(VALU_DEP_1)
	v_add_nc_u32_e32 v10, v4, v6
	v_dual_sub_nc_u32 v25, v0, v25 :: v_dual_ashrrev_i32 v26, 31, v10
	s_delay_alu instid0(VALU_DEP_1) | instskip(NEXT) | instid1(VALU_DEP_1)
	v_add3_u32 v10, v26, v6, v4
	v_xor_b32_e32 v0, v10, v26
	s_delay_alu instid0(VALU_DEP_1) | instskip(SKIP_2) | instid1(VALU_DEP_2)
	v_mul_u64_e32 v[10:11], s[42:43], v[0:1]
	v_add_f32_e32 v10, v12, v14
	v_or_b32_e32 v12, 3, v18
	v_add_f32_e32 v10, v13, v10
	s_delay_alu instid0(VALU_DEP_2) | instskip(NEXT) | instid1(VALU_DEP_2)
	v_mul_lo_u32 v27, s4, v12
	v_cmp_nlt_f32_e32 vcc_lo, 0x42ce8ed0, v10
	v_mul_f32_e32 v13, 0xbfb8aa3b, v10
	s_delay_alu instid0(VALU_DEP_1) | instskip(SKIP_2) | instid1(VALU_DEP_3)
	v_fma_f32 v12, 0xbfb8aa3b, v10, -v13
	v_rndne_f32_e32 v14, v13
	v_add_nc_u32_e32 v28, v4, v27
	v_fmac_f32_e32 v12, 0xb2a5705f, v10
	s_delay_alu instid0(VALU_DEP_2) | instskip(SKIP_1) | instid1(VALU_DEP_2)
	v_dual_sub_f32 v13, v13, v14 :: v_dual_ashrrev_i32 v28, 31, v28
	v_cvt_i32_f32_e32 v14, v14
	v_add_f32_e32 v12, v13, v12
	s_delay_alu instid0(VALU_DEP_3) | instskip(SKIP_1) | instid1(VALU_DEP_1)
	v_add3_u32 v29, v28, v27, v4
	v_mul_lo_u32 v13, v11, s57
	v_sub_nc_u32_e32 v30, v0, v13
	s_delay_alu instid0(VALU_DEP_4) | instskip(NEXT) | instid1(VALU_DEP_3)
	v_exp_f32_e32 v12, v12
	v_xor_b32_e32 v0, v29, v28
	s_delay_alu instid0(TRANS32_DEP_1) | instskip(NEXT) | instid1(VALU_DEP_1)
	v_ldexp_f32 v12, v12, v14
	v_cndmask_b32_e32 v14, 0, v12, vcc_lo
	s_delay_alu instid0(VALU_DEP_3) | instskip(SKIP_2) | instid1(VALU_DEP_2)
	v_mul_u64_e32 v[12:13], s[42:43], v[0:1]
	v_add_nc_u32_e32 v12, 4, v18
	v_cmp_ngt_f32_e32 vcc_lo, 0xc2b17218, v10
	v_mul_lo_u32 v12, s4, v12
	v_cndmask_b32_e32 v10, 0x7f800000, v14, vcc_lo
	v_add_nc_u32_e32 v14, 1, v17
	v_cmp_le_u32_e32 vcc_lo, s55, v21
	s_delay_alu instid0(VALU_DEP_4) | instskip(NEXT) | instid1(VALU_DEP_4)
	v_dual_cndmask_b32 v21, v21, v31, vcc_lo :: v_dual_add_nc_u32 v15, v4, v12
	v_add_f32_e32 v10, 1.0, v10
	s_delay_alu instid0(VALU_DEP_4) | instskip(NEXT) | instid1(VALU_DEP_3)
	v_dual_cndmask_b32 v14, v17, v14, vcc_lo :: v_dual_bitop2_b32 v17, s60, v20 bitop3:0x14
	v_cmp_le_u32_e64 s0, s55, v21
	s_delay_alu instid0(VALU_DEP_4) | instskip(NEXT) | instid1(VALU_DEP_4)
	v_ashrrev_i32_e32 v20, 31, v15
	v_div_scale_f32 v18, null, v10, v10, 1.0
	v_div_scale_f32 v32, vcc_lo, 1.0, v10, 1.0
	s_delay_alu instid0(VALU_DEP_2) | instskip(SKIP_1) | instid1(TRANS32_DEP_1)
	v_rcp_f32_e32 v29, v18
	v_mul_lo_u32 v33, v13, s57
	v_fma_f32 v15, -v18, v29, 1.0
	s_delay_alu instid0(VALU_DEP_1) | instskip(SKIP_1) | instid1(VALU_DEP_2)
	v_dual_add_nc_u32 v31, 1, v14 :: v_dual_fmac_f32 v29, v15, v29
	v_add_nc_u32_e32 v15, 1, v19
	v_cndmask_b32_e64 v14, v14, v31, s0
	v_subrev_nc_u32_e32 v31, s57, v24
	v_cmp_le_u32_e64 s0, s57, v24
	v_mul_f32_e32 v21, v32, v29
	s_delay_alu instid0(VALU_DEP_2) | instskip(SKIP_2) | instid1(VALU_DEP_4)
	v_cndmask_b32_e64 v24, v24, v31, s0
	v_dual_cndmask_b32 v15, v19, v15, s0 :: v_dual_bitop2_b32 v14, v14, v5 bitop3:0x14
	v_add3_u32 v19, v20, v12, v4
	v_fma_f32 v34, -v18, v21, v32
	s_delay_alu instid0(VALU_DEP_3) | instskip(SKIP_1) | instid1(VALU_DEP_4)
	v_dual_sub_nc_u32 v33, v0, v33 :: v_dual_add_nc_u32 v31, 1, v15
	v_cmp_le_u32_e64 s0, s57, v24
	v_dual_sub_nc_u32 v5, v14, v5 :: v_dual_bitop2_b32 v0, v19, v20 bitop3:0x14
	s_wait_loadcnt 0x0
	v_dual_fmac_f32 v21, v34, v29 :: v_dual_lshlrev_b32 v24, 16, v8
	s_delay_alu instid0(VALU_DEP_3) | instskip(NEXT) | instid1(VALU_DEP_3)
	v_cndmask_b32_e64 v19, v15, v31, s0
	v_mul_u64_e32 v[14:15], s[42:43], v[0:1]
	v_bfe_u32 v14, v9, 16, 1
	s_delay_alu instid0(VALU_DEP_4) | instskip(SKIP_1) | instid1(VALU_DEP_3)
	v_fma_f32 v18, -v18, v21, v32
	v_mad_u32 v31, s65, v5, v4
	v_add3_u32 v14, v9, v14, 0x7fff
	s_delay_alu instid0(VALU_DEP_1) | instskip(NEXT) | instid1(VALU_DEP_1)
	v_dual_lshrrev_b32 v14, 16, v14 :: v_dual_bitop2_b32 v19, v19, v17 bitop3:0x14
	v_dual_sub_nc_u32 v17, v19, v17 :: v_dual_sub_f32 v19, v24, v2
	v_div_fmas_f32 v18, v18, v29, v21
	v_xor_b32_e32 v21, s60, v23
	v_mul_lo_u32 v23, v31, s27
	v_xor_b32_e32 v24, s60, v26
	v_cmp_le_u32_e32 vcc_lo, s57, v25
	v_div_fixup_f32 v10, v18, v10, 1.0
	v_mul_lo_u32 v18, v17, s49
	v_dual_add_nc_u32 v28, 1, v7 :: v_dual_bitop2_b32 v26, s60, v28 bitop3:0x14
	v_subrev_nc_u32_e32 v29, s57, v25
	s_delay_alu instid0(VALU_DEP_4) | instskip(NEXT) | instid1(VALU_DEP_3)
	v_dual_fma_f32 v19, v10, v19, v2 :: v_dual_bitop2_b32 v20, s60, v20 bitop3:0x14
	v_cndmask_b32_e32 v7, v7, v28, vcc_lo
	v_mad_u32 v5, v5, s26, v23
	s_delay_alu instid0(VALU_DEP_3) | instskip(SKIP_1) | instid1(VALU_DEP_4)
	v_bfe_u32 v28, v19, 16, 1
	v_dual_sub_nc_u32 v16, v16, v18 :: v_dual_cndmask_b32 v18, v25, v29, vcc_lo
	v_add_nc_u32_e32 v23, 1, v7
	s_delay_alu instid0(VALU_DEP_3) | instskip(SKIP_1) | instid1(VALU_DEP_4)
	v_add3_u32 v25, v19, v28, 0x7fff
	v_mul_lo_u32 v28, v15, s57
	v_add_nc_u32_e32 v16, v4, v16
	v_cmp_le_u32_e32 vcc_lo, s57, v18
	s_delay_alu instid0(VALU_DEP_2)
	v_mul_lo_u32 v16, v16, s31
	v_cndmask_b32_e32 v7, v7, v23, vcc_lo
	v_add_nc_u32_e32 v18, 1, v11
	v_cmp_le_u32_e32 vcc_lo, s57, v30
	v_subrev_nc_u32_e32 v23, s57, v30
	v_dual_sub_nc_u32 v0, v0, v28 :: v_dual_add_nc_u32 v28, 1, v15
	s_delay_alu instid0(VALU_DEP_2) | instskip(SKIP_2) | instid1(VALU_DEP_4)
	v_dual_cndmask_b32 v11, v11, v18, vcc_lo :: v_dual_cndmask_b32 v23, v30, v23, vcc_lo
	v_add_nc_u32_e32 v18, 1, v13
	v_cmp_le_u32_e32 vcc_lo, s57, v33
	v_cmp_le_u32_e64 s0, s57, v0
	v_subrev_nc_u32_e32 v29, s57, v0
	v_xor_b32_e32 v7, v7, v21
	v_mad_u32 v16, v17, s30, v16
	s_delay_alu instid0(VALU_DEP_4) | instskip(SKIP_1) | instid1(VALU_DEP_2)
	v_dual_cndmask_b32 v13, v13, v18, vcc_lo :: v_dual_cndmask_b32 v15, v15, v28, s0
	v_subrev_nc_u32_e32 v18, s57, v33
	v_dual_add_nc_u32 v28, 1, v11 :: v_dual_add_nc_u32 v30, 1, v13
	s_delay_alu instid0(VALU_DEP_2)
	v_cndmask_b32_e32 v18, v33, v18, vcc_lo
	v_cmp_le_u32_e32 vcc_lo, s57, v23
	v_dual_cndmask_b32 v0, v0, v29, s0 :: v_dual_add_nc_u32 v29, 1, v15
	v_cmp_o_f32_e64 s0, v3, v3
	v_cndmask_b32_e32 v11, v11, v28, vcc_lo
	v_cmp_le_u32_e32 vcc_lo, s57, v18
	s_delay_alu instid0(VALU_DEP_2) | instskip(SKIP_2) | instid1(VALU_DEP_3)
	v_dual_cndmask_b32 v13, v13, v30, vcc_lo :: v_dual_bitop2_b32 v11, v11, v24 bitop3:0x14
	v_cmp_le_u32_e32 vcc_lo, s57, v0
	v_cndmask_b32_e32 v0, v15, v29, vcc_lo
	v_dual_sub_nc_u32 v7, v7, v21 :: v_dual_bitop2_b32 v13, v13, v26 bitop3:0x14
	v_lshrrev_b32_e32 v15, 16, v25
	v_cmp_o_f32_e32 vcc_lo, v19, v19
	s_delay_alu instid0(VALU_DEP_4) | instskip(NEXT) | instid1(VALU_DEP_4)
	v_xor_b32_e32 v0, v0, v20
	v_mul_lo_u32 v17, v7, s49
	v_dual_sub_nc_u32 v13, v13, v26 :: v_dual_sub_nc_u32 v11, v11, v24
	s_delay_alu instid0(VALU_DEP_3) | instskip(SKIP_1) | instid1(VALU_DEP_3)
	v_dual_cndmask_b32 v15, 0x7fc0, v15 :: v_dual_sub_nc_u32 v0, v0, v20
	v_cmp_o_f32_e32 vcc_lo, v9, v9
	v_mul_lo_u32 v19, v13, s49
	global_store_b16 v5, v15, s[24:25] scale_offset
	v_mul_lo_u32 v20, v0, s49
	v_cndmask_b32_e32 v9, 0x7fc0, v14, vcc_lo
	s_wait_xcnt 0x0
	v_sub_nc_u32_e32 v5, v22, v17
	v_mul_lo_u32 v18, v11, s49
	v_cmp_o_f32_e32 vcc_lo, v10, v10
	v_bfe_u32 v15, v2, 16, 1
	s_delay_alu instid0(VALU_DEP_4)
	v_dual_add_nc_u32 v5, v4, v5 :: v_dual_sub_nc_u32 v14, v27, v19
	global_store_b16 v16, v9, s[28:29] scale_offset
	s_wait_xcnt 0x0
	v_bfe_u32 v9, v10, 16, 1
	v_bfe_u32 v16, v3, 16, 1
	v_mul_lo_u32 v5, v5, s31
	v_add3_u32 v15, v2, v15, 0x7fff
	v_sub_nc_u32_e32 v6, v6, v18
	v_add3_u32 v9, v10, v9, 0x7fff
	v_sub_nc_u32_e32 v12, v12, v20
	v_add3_u32 v10, v3, v16, 0x7fff
	s_delay_alu instid0(VALU_DEP_3) | instskip(NEXT) | instid1(VALU_DEP_3)
	v_dual_lshrrev_b32 v9, 16, v9 :: v_dual_add_nc_u32 v6, v4, v6
	v_dual_add_nc_u32 v12, v4, v12 :: v_dual_add_nc_u32 v14, v4, v14
	v_mad_u32 v5, v7, s30, v5
	s_delay_alu instid0(VALU_DEP_3) | instskip(NEXT) | instid1(VALU_DEP_4)
	v_cndmask_b32_e32 v9, 0x7fc0, v9, vcc_lo
	v_mul_lo_u32 v6, v6, s31
	s_delay_alu instid0(VALU_DEP_4) | instskip(SKIP_4) | instid1(VALU_DEP_3)
	v_mul_lo_u32 v12, v12, s31
	v_mul_lo_u32 v14, v14, s31
	v_dual_lshrrev_b32 v7, 16, v15 :: v_dual_add_nc_u32 v4, s50, v4
	v_cmp_o_f32_e32 vcc_lo, v2, v2
	v_lshrrev_b32_e32 v10, 16, v10
	v_cndmask_b32_e32 v2, 0x7fc0, v7, vcc_lo
	v_mad_u32 v6, v11, s30, v6
	v_mad_u32 v0, v0, s30, v12
	;; [unrolled: 1-line block ×3, first 2 shown]
	v_cmp_le_i32_e32 vcc_lo, s5, v4
	v_cndmask_b32_e64 v3, 0x7fc0, v10, s0
	s_clause 0x1
	global_store_b16 v5, v9, s[28:29] scale_offset
	global_store_b16 v6, v2, s[28:29] scale_offset
	s_or_b32 s67, vcc_lo, s67
	s_clause 0x1
	global_store_b16 v11, v8, s[28:29] scale_offset
	global_store_b16 v0, v3, s[28:29] scale_offset
	s_wait_xcnt 0x0
	s_and_not1_b32 exec_lo, exec_lo, s67
	s_cbranch_execz .LBB45_9
.LBB45_3:                               ; =>This Inner Loop Header: Depth=1
	v_dual_mov_b32 v9, v1 :: v_dual_sub_nc_u32 v0, 0, v4
	s_delay_alu instid0(VALU_DEP_1) | instskip(NEXT) | instid1(VALU_DEP_1)
	v_dual_mov_b32 v13, v1 :: v_dual_max_i32 v0, v4, v0
	v_mul_u64_e32 v[2:3], s[6:7], v[0:1]
	s_delay_alu instid0(VALU_DEP_1) | instskip(NEXT) | instid1(VALU_DEP_1)
	v_mul_lo_u32 v2, v3, s47
	v_dual_add_nc_u32 v5, 1, v3 :: v_dual_sub_nc_u32 v2, v0, v2
	s_delay_alu instid0(VALU_DEP_1) | instskip(NEXT) | instid1(VALU_DEP_2)
	v_cmp_le_u32_e32 vcc_lo, s47, v2
	v_dual_cndmask_b32 v3, v3, v5, vcc_lo :: v_dual_ashrrev_i32 v5, 31, v4
	v_subrev_nc_u32_e32 v6, s47, v2
	s_delay_alu instid0(VALU_DEP_1) | instskip(NEXT) | instid1(VALU_DEP_1)
	v_dual_cndmask_b32 v2, v2, v6 :: v_dual_add_nc_u32 v7, 1, v3
	v_cmp_le_u32_e32 vcc_lo, s47, v2
	s_delay_alu instid0(VALU_DEP_2) | instskip(NEXT) | instid1(VALU_DEP_1)
	v_dual_cndmask_b32 v2, v3, v7, vcc_lo :: v_dual_bitop2_b32 v6, s51, v5 bitop3:0x14
	v_dual_lshlrev_b32 v8, 1, v6 :: v_dual_bitop2_b32 v7, v2, v6 bitop3:0x14
	v_mul_u64_e32 v[2:3], s[38:39], v[0:1]
	s_delay_alu instid0(VALU_DEP_2) | instskip(NEXT) | instid1(VALU_DEP_1)
	v_dual_lshlrev_b32 v2, 1, v7 :: v_dual_sub_nc_u32 v10, v7, v6
	v_sub_nc_u32_e32 v2, v2, v8
	s_delay_alu instid0(VALU_DEP_2) | instskip(NEXT) | instid1(VALU_DEP_2)
	v_mul_lo_u32 v11, s61, v10
	v_dual_add_nc_u32 v2, 2, v2 :: v_dual_bitop2_b32 v8, 1, v2 bitop3:0x54
	s_delay_alu instid0(VALU_DEP_1) | instskip(NEXT) | instid1(VALU_DEP_2)
	v_mul_lo_u32 v26, s4, v8
	v_mul_lo_u32 v27, s4, v2
	s_delay_alu instid0(VALU_DEP_1) | instskip(NEXT) | instid1(VALU_DEP_1)
	v_add_nc_u32_e32 v8, v4, v27
	v_dual_add_nc_u32 v2, v4, v11 :: v_dual_ashrrev_i32 v30, 31, v8
	s_delay_alu instid0(VALU_DEP_1) | instskip(SKIP_1) | instid1(VALU_DEP_3)
	v_ashrrev_i32_e32 v28, 31, v2
	v_add_nc_u32_e32 v2, v4, v26
	v_add3_u32 v14, v30, v27, v4
	s_delay_alu instid0(VALU_DEP_2) | instskip(NEXT) | instid1(VALU_DEP_4)
	v_ashrrev_i32_e32 v29, 31, v2
	v_add3_u32 v12, v28, v11, v4
	v_mul_lo_u32 v2, v3, s54
	s_delay_alu instid0(VALU_DEP_4) | instskip(NEXT) | instid1(VALU_DEP_3)
	v_xor_b32_e32 v14, v14, v30
	v_xor_b32_e32 v8, v12, v28
	v_add3_u32 v12, v29, v26, v4
	v_mov_b32_e32 v15, v1
	s_delay_alu instid0(VALU_DEP_3) | instskip(SKIP_1) | instid1(VALU_DEP_4)
	v_mul_u64_e32 v[16:17], s[34:35], v[8:9]
	v_mul_u64_e32 v[18:19], s[36:37], v[8:9]
	v_xor_b32_e32 v12, v12, v29
	v_dual_sub_nc_u32 v9, v0, v2 :: v_dual_add_nc_u32 v2, 1, v3
	v_mul_u64_e32 v[22:23], s[34:35], v[14:15]
	s_delay_alu instid0(VALU_DEP_3) | instskip(NEXT) | instid1(VALU_DEP_3)
	v_mul_u64_e32 v[20:21], s[34:35], v[12:13]
	v_cmp_le_u32_e32 vcc_lo, s54, v9
	v_mul_u64_e32 v[24:25], s[36:37], v[12:13]
	v_xor_b32_e32 v24, s56, v30
	v_cndmask_b32_e32 v13, v3, v2, vcc_lo
	v_mul_u64_e32 v[2:3], s[36:37], v[14:15]
	v_subrev_nc_u32_e32 v16, s54, v9
	s_delay_alu instid0(VALU_DEP_1) | instskip(NEXT) | instid1(VALU_DEP_4)
	v_dual_cndmask_b32 v2, v9, v16, vcc_lo :: v_dual_bitop2_b32 v15, s58, v5 bitop3:0x14
	v_add_nc_u32_e32 v9, 1, v13
	v_xor_b32_e32 v16, s53, v29
	s_delay_alu instid0(VALU_DEP_3) | instskip(NEXT) | instid1(VALU_DEP_3)
	v_cmp_le_u32_e32 vcc_lo, s54, v2
	v_dual_cndmask_b32 v2, v13, v9, vcc_lo :: v_dual_bitop2_b32 v9, s53, v28 bitop3:0x14
	v_mul_lo_u32 v20, v17, s48
	v_xor_b32_e32 v13, s56, v28
	v_mul_lo_u32 v28, v19, s52
	v_xor_b32_e32 v18, s53, v30
	v_xor_b32_e32 v22, s56, v29
	v_mul_lo_u32 v33, v23, s48
	v_add_nc_u32_e32 v29, 1, v17
	v_mul_lo_u32 v31, v21, s48
	v_add_nc_u32_e32 v30, 1, v19
	v_xor_b32_e32 v2, v2, v15
	v_mul_lo_u32 v35, v25, s52
	v_dual_sub_nc_u32 v20, v8, v20 :: v_dual_add_nc_u32 v32, 1, v21
	v_sub_nc_u32_e32 v8, v8, v28
	v_mul_lo_u32 v37, v3, s52
	v_add_nc_u32_e32 v34, 1, v23
	s_delay_alu instid0(VALU_DEP_4)
	v_subrev_nc_u32_e32 v38, s48, v20
	v_cmp_le_u32_e32 vcc_lo, s48, v20
	v_add_nc_u32_e32 v28, 1, v3
	v_cmp_le_u32_e64 s0, s52, v8
	v_dual_sub_nc_u32 v31, v12, v31 :: v_dual_sub_nc_u32 v33, v14, v33
	v_dual_cndmask_b32 v20, v20, v38 :: v_dual_cndmask_b32 v17, v17, v29
	s_delay_alu instid0(VALU_DEP_3) | instskip(SKIP_2) | instid1(VALU_DEP_4)
	v_cndmask_b32_e64 v19, v19, v30, s0
	v_subrev_nc_u32_e32 v29, s52, v8
	v_sub_nc_u32_e32 v14, v14, v37
	v_cmp_le_u32_e32 vcc_lo, s48, v20
	v_dual_add_nc_u32 v30, 1, v17 :: v_dual_sub_nc_u32 v12, v12, v35
	s_delay_alu instid0(VALU_DEP_4) | instskip(SKIP_1) | instid1(VALU_DEP_3)
	v_dual_cndmask_b32 v8, v8, v29, s0 :: v_dual_add_nc_u32 v29, 1, v19
	v_cmp_le_u32_e64 s0, s48, v33
	v_cndmask_b32_e32 v17, v17, v30, vcc_lo
	v_cmp_le_u32_e32 vcc_lo, s48, v31
	s_delay_alu instid0(VALU_DEP_4) | instskip(NEXT) | instid1(VALU_DEP_4)
	v_cmp_le_u32_e64 s1, s52, v8
	v_dual_add_nc_u32 v36, 1, v25 :: v_dual_cndmask_b32 v23, v23, v34, s0
	v_subrev_nc_u32_e32 v30, s48, v33
	v_cndmask_b32_e32 v20, v21, v32, vcc_lo
	v_subrev_nc_u32_e32 v21, s48, v31
	v_cndmask_b32_e64 v8, v19, v29, s1
	v_cmp_le_u32_e64 s1, s52, v12
	v_cmp_le_u32_e64 s2, s52, v14
	v_xor_b32_e32 v17, v17, v9
	v_dual_cndmask_b32 v21, v31, v21, vcc_lo :: v_dual_add_nc_u32 v29, 1, v20
	s_delay_alu instid0(VALU_DEP_4)
	v_cndmask_b32_e64 v19, v25, v36, s1
	v_subrev_nc_u32_e32 v25, s52, v12
	v_cndmask_b32_e64 v3, v3, v28, s2
	v_subrev_nc_u32_e32 v28, s52, v14
	v_dual_cndmask_b32 v30, v33, v30, s0 :: v_dual_add_nc_u32 v31, 1, v23
	v_cmp_le_u32_e32 vcc_lo, s48, v21
	s_delay_alu instid0(VALU_DEP_3)
	v_dual_cndmask_b32 v12, v12, v25, s1 :: v_dual_cndmask_b32 v14, v14, v28, s2
	v_dual_add_nc_u32 v28, 1, v3 :: v_dual_sub_nc_u32 v9, v17, v9
	v_cndmask_b32_e32 v17, v20, v29, vcc_lo
	v_cmp_le_u32_e32 vcc_lo, s48, v30
	v_dual_add_nc_u32 v25, 1, v19 :: v_dual_bitop2_b32 v8, v8, v13 bitop3:0x14
	v_sub_nc_u32_e32 v2, v2, v15
	v_cndmask_b32_e32 v20, v23, v31, vcc_lo
	v_cmp_le_u32_e32 vcc_lo, s52, v12
	s_delay_alu instid0(VALU_DEP_4)
	v_cndmask_b32_e32 v12, v19, v25, vcc_lo
	v_cmp_le_u32_e32 vcc_lo, s52, v14
	v_dual_sub_nc_u32 v8, v8, v13 :: v_dual_bitop2_b32 v13, v17, v16 bitop3:0x14
	v_xor_b32_e32 v14, v20, v18
	v_mul_lo_u32 v17, v9, s3
	v_cndmask_b32_e32 v3, v3, v28, vcc_lo
	s_and_not1_b32 vcc_lo, exec_lo, s46
	s_delay_alu instid0(VALU_DEP_3) | instskip(SKIP_1) | instid1(VALU_DEP_3)
	v_dual_sub_nc_u32 v13, v13, v16 :: v_dual_sub_nc_u32 v14, v14, v18
	v_mul_lo_u32 v16, v8, s33
	v_xor_b32_e32 v3, v3, v24
	v_xor_b32_e32 v12, v12, v22
	s_delay_alu instid0(VALU_DEP_4) | instskip(SKIP_1) | instid1(VALU_DEP_3)
	v_mul_lo_u32 v18, v13, s3
	v_mul_lo_u32 v19, v14, s3
	v_dual_sub_nc_u32 v3, v3, v24 :: v_dual_sub_nc_u32 v12, v12, v22
	v_dual_sub_nc_u32 v17, v11, v17 :: v_dual_sub_nc_u32 v11, v11, v16
	s_delay_alu instid0(VALU_DEP_2) | instskip(NEXT) | instid1(VALU_DEP_3)
	v_mul_lo_u32 v15, v12, s33
	v_mul_lo_u32 v20, v3, s33
	s_delay_alu instid0(VALU_DEP_3) | instskip(SKIP_3) | instid1(VALU_DEP_4)
	v_dual_add_nc_u32 v17, v4, v17 :: v_dual_sub_nc_u32 v18, v26, v18
	v_sub_nc_u32_e32 v19, v27, v19
	v_mad_u32 v16, s64, v2, v4
	v_add_nc_u32_e32 v11, v4, v11
	v_mul_lo_u32 v17, v17, s13
	v_add_nc_u32_e32 v18, v4, v18
	s_delay_alu instid0(VALU_DEP_3) | instskip(SKIP_2) | instid1(VALU_DEP_4)
	v_mul_lo_u32 v11, v11, s17
	v_dual_sub_nc_u32 v20, v27, v20 :: v_dual_sub_nc_u32 v15, v26, v15
	v_add_nc_u32_e32 v19, v4, v19
	v_mul_lo_u32 v18, v18, s13
	v_mul_lo_u32 v16, v16, s23
	s_delay_alu instid0(VALU_DEP_4) | instskip(NEXT) | instid1(VALU_DEP_4)
	v_dual_add_nc_u32 v20, v4, v20 :: v_dual_add_nc_u32 v15, v4, v15
	v_mul_lo_u32 v19, v19, s13
	v_mad_u32 v9, v9, s12, v17
	s_delay_alu instid0(VALU_DEP_3) | instskip(NEXT) | instid1(VALU_DEP_4)
	v_mul_lo_u32 v20, v20, s17
	v_mul_lo_u32 v15, v15, s17
	v_mad_u32 v8, v8, s16, v11
	v_mad_u32 v13, v13, s12, v18
	v_mad_u32 v2, v2, s22, v16
	v_mov_b32_e32 v18, v1
	v_mad_u32 v14, v14, s12, v19
	v_mov_b32_e32 v19, v1
	v_mad_u32 v3, v3, s16, v20
	v_mad_u32 v12, v12, s16, v15
	s_clause 0x2
	global_load_u16 v16, v9, s[10:11] scale_offset
	global_load_u16 v11, v13, s[10:11] scale_offset
	;; [unrolled: 1-line block ×3, first 2 shown]
	s_clause 0x2
	global_load_u16 v17, v8, s[14:15] scale_offset
	global_load_u16 v12, v12, s[14:15] scale_offset
	;; [unrolled: 1-line block ×4, first 2 shown]
	s_wait_xcnt 0x1
	v_dual_mov_b32 v3, v1 :: v_dual_mov_b32 v13, v1
	s_wait_xcnt 0x0
	v_dual_mov_b32 v2, v1 :: v_dual_mov_b32 v14, v1
	s_cbranch_vccnz .LBB45_5
; %bb.4:                                ;   in Loop: Header=BB45_3 Depth=1
	v_sub_nc_u32_e32 v2, v6, v7
	v_mad_u32 v13, s63, v10, v4
	s_delay_alu instid0(VALU_DEP_2) | instskip(SKIP_1) | instid1(VALU_DEP_1)
	v_mul_lo_u32 v3, s4, v2
	v_add_nc_u32_e32 v2, 2, v2
	v_mad_u32 v2, s4, v2, v4
	s_delay_alu instid0(VALU_DEP_4) | instskip(SKIP_2) | instid1(VALU_DEP_1)
	v_mul_lo_u32 v14, v13, s44
	v_mul_lo_u32 v13, v13, s45
	v_add3_u32 v3, v3, s4, v4
	v_mul_lo_u32 v18, v3, s44
	v_mul_lo_u32 v19, v2, s44
	;; [unrolled: 1-line block ×4, first 2 shown]
	global_load_u16 v14, v14, s[8:9] scale_offset
	global_load_u16 v13, v13, s[18:19] scale_offset
	s_clause 0x1
	global_load_u16 v20, v18, s[8:9] scale_offset
	global_load_u16 v21, v19, s[8:9] scale_offset
	s_clause 0x1
	global_load_u16 v22, v2, s[18:19] scale_offset
	global_load_u16 v23, v3, s[18:19] scale_offset
	s_wait_loadcnt 0x4
	s_wait_xcnt 0x2
	v_dual_lshlrev_b32 v19, 16, v14 :: v_dual_lshlrev_b32 v18, 16, v13
	s_wait_loadcnt 0x2
	s_wait_xcnt 0x1
	v_dual_lshlrev_b32 v14, 16, v20 :: v_dual_lshlrev_b32 v2, 16, v21
	;; [unrolled: 3-line block ×3, first 2 shown]
.LBB45_5:                               ;   in Loop: Header=BB45_3 Depth=1
	s_wait_loadcnt 0x3
	v_dual_lshlrev_b32 v16, 16, v16 :: v_dual_lshlrev_b32 v17, 16, v17
	s_delay_alu instid0(VALU_DEP_1) | instskip(NEXT) | instid1(VALU_DEP_1)
	v_add_f32_e32 v16, v17, v16
	v_add_f32_e32 v16, v16, v19
	s_delay_alu instid0(VALU_DEP_1) | instskip(NEXT) | instid1(VALU_DEP_1)
	v_add_f32_e32 v16, v18, v16
	v_mul_f32_e32 v17, 0xbfb8aa3b, v16
	v_cmp_nlt_f32_e32 vcc_lo, 0x42ce8ed0, v16
	s_delay_alu instid0(VALU_DEP_2) | instskip(SKIP_1) | instid1(VALU_DEP_1)
	v_fma_f32 v18, 0xbfb8aa3b, v16, -v17
	v_rndne_f32_e32 v19, v17
	v_dual_fmac_f32 v18, 0xb2a5705f, v16 :: v_dual_sub_f32 v17, v17, v19
	s_delay_alu instid0(VALU_DEP_1) | instskip(SKIP_1) | instid1(VALU_DEP_2)
	v_add_f32_e32 v17, v17, v18
	v_cvt_i32_f32_e32 v18, v19
	v_exp_f32_e32 v17, v17
	v_nop
	s_delay_alu instid0(TRANS32_DEP_1) | instskip(NEXT) | instid1(VALU_DEP_1)
	v_ldexp_f32 v17, v17, v18
	v_cndmask_b32_e32 v17, 0, v17, vcc_lo
	v_cmp_ngt_f32_e32 vcc_lo, 0xc2b17218, v16
	s_delay_alu instid0(VALU_DEP_2) | instskip(NEXT) | instid1(VALU_DEP_1)
	v_cndmask_b32_e32 v16, 0x7f800000, v17, vcc_lo
	v_add_f32_e32 v18, 1.0, v16
	s_delay_alu instid0(VALU_DEP_1) | instskip(SKIP_1) | instid1(VALU_DEP_2)
	v_div_scale_f32 v16, null, v18, v18, 1.0
	v_div_scale_f32 v20, vcc_lo, 1.0, v18, 1.0
	v_rcp_f32_e32 v19, v16
	v_nop
	s_delay_alu instid0(TRANS32_DEP_1) | instskip(NEXT) | instid1(VALU_DEP_1)
	v_fma_f32 v17, -v16, v19, 1.0
	v_fmac_f32_e32 v19, v17, v19
	s_delay_alu instid0(VALU_DEP_1) | instskip(NEXT) | instid1(VALU_DEP_1)
	v_mul_f32_e32 v21, v20, v19
	v_fma_f32 v17, -v16, v21, v20
	s_delay_alu instid0(VALU_DEP_1) | instskip(SKIP_1) | instid1(VALU_DEP_1)
	v_fmac_f32_e32 v21, v17, v19
	s_wait_loadcnt 0x1
	v_dual_lshlrev_b32 v17, 16, v15 :: v_dual_fma_f32 v16, -v16, v21, v20
	s_delay_alu instid0(VALU_DEP_1) | instskip(SKIP_1) | instid1(VALU_DEP_2)
	v_div_fmas_f32 v15, v16, v19, v21
	v_lshlrev_b32_e32 v16, 16, v9
	v_div_fixup_f32 v9, v15, v18, 1.0
	s_delay_alu instid0(VALU_DEP_2) | instskip(NEXT) | instid1(VALU_DEP_1)
	v_pk_add_f32 v[2:3], v[2:3], v[16:17]
                                        ; implicit-def: $vgpr15
	v_fma_f32 v2, v3, v9, v2
	s_delay_alu instid0(VALU_DEP_1) | instskip(SKIP_1) | instid1(SALU_CYCLE_1)
	v_cmp_ngt_f32_e64 s0, 0x3f200000, |v2|
	s_and_saveexec_b32 s1, s0
	s_xor_b32 s0, exec_lo, s1
	s_cbranch_execz .LBB45_7
; %bb.6:                                ;   in Loop: Header=BB45_3 Depth=1
	v_add_f32_e64 v15, |v2|, |v2|
	s_delay_alu instid0(VALU_DEP_1) | instskip(SKIP_1) | instid1(VALU_DEP_2)
	v_mul_f32_e32 v16, 0x3fb8aa3b, v15
	v_cmp_ngt_f32_e32 vcc_lo, 0xc2ce8ed0, v15
	v_rndne_f32_e32 v17, v16
	v_fma_f32 v18, 0x3fb8aa3b, v15, -v16
	s_delay_alu instid0(VALU_DEP_2) | instskip(NEXT) | instid1(VALU_DEP_2)
	v_sub_f32_e32 v16, v16, v17
	v_fmac_f32_e32 v18, 0x32a5705f, v15
	v_cvt_i32_f32_e32 v17, v17
	s_delay_alu instid0(VALU_DEP_2) | instskip(NEXT) | instid1(VALU_DEP_1)
	v_add_f32_e32 v16, v16, v18
	v_exp_f32_e32 v16, v16
	v_nop
	s_delay_alu instid0(TRANS32_DEP_1) | instskip(NEXT) | instid1(VALU_DEP_1)
	v_ldexp_f32 v16, v16, v17
	v_cndmask_b32_e32 v16, 0, v16, vcc_lo
	v_cmp_nlt_f32_e32 vcc_lo, 0x42b17218, v15
	s_delay_alu instid0(VALU_DEP_2) | instskip(NEXT) | instid1(VALU_DEP_1)
	v_cndmask_b32_e32 v15, 0x7f800000, v16, vcc_lo
	v_add_f32_e32 v15, 1.0, v15
	s_delay_alu instid0(VALU_DEP_1) | instskip(SKIP_1) | instid1(TRANS32_DEP_1)
	v_rcp_f32_e32 v15, v15
	v_nop
	v_fma_f32 v15, v15, -2.0, 1.0
.LBB45_7:                               ;   in Loop: Header=BB45_3 Depth=1
	s_and_not1_saveexec_b32 s0, s0
	s_cbranch_execz .LBB45_2
; %bb.8:                                ;   in Loop: Header=BB45_3 Depth=1
	v_mul_f32_e32 v15, v2, v2
	s_delay_alu instid0(VALU_DEP_1) | instskip(NEXT) | instid1(VALU_DEP_1)
	v_fmaak_f32 v16, s66, v15, 0x3ca908c9
	v_fmaak_f32 v16, v15, v16, 0xbd5c1c4e
	s_delay_alu instid0(VALU_DEP_1) | instskip(NEXT) | instid1(VALU_DEP_1)
	v_fmaak_f32 v16, v15, v16, 0x3e088382
	v_fmaak_f32 v16, v15, v16, 0xbeaaaa99
	s_delay_alu instid0(VALU_DEP_1) | instskip(NEXT) | instid1(VALU_DEP_1)
	v_mul_f32_e64 v16, |v2|, v16
	v_fma_f32 v15, v15, v16, |v2|
	s_branch .LBB45_2
.LBB45_9:
	s_endpgm
	.section	.rodata,"a",@progbits
	.p2align	6, 0x0
	.amdhsa_kernel _ZN2at6native12_GLOBAL__N_16kernel16gru_cell_forwardIN3c108BFloat16EfiLi2EEEvNS_4cuda6detail10TensorInfoIT_T1_EESB_SB_SB_SB_SB_SB_SA_SA_
		.amdhsa_group_segment_fixed_size 0
		.amdhsa_private_segment_fixed_size 0
		.amdhsa_kernarg_size 1776
		.amdhsa_user_sgpr_count 2
		.amdhsa_user_sgpr_dispatch_ptr 0
		.amdhsa_user_sgpr_queue_ptr 0
		.amdhsa_user_sgpr_kernarg_segment_ptr 1
		.amdhsa_user_sgpr_dispatch_id 0
		.amdhsa_user_sgpr_kernarg_preload_length 0
		.amdhsa_user_sgpr_kernarg_preload_offset 0
		.amdhsa_user_sgpr_private_segment_size 0
		.amdhsa_wavefront_size32 1
		.amdhsa_uses_dynamic_stack 0
		.amdhsa_enable_private_segment 0
		.amdhsa_system_sgpr_workgroup_id_x 1
		.amdhsa_system_sgpr_workgroup_id_y 0
		.amdhsa_system_sgpr_workgroup_id_z 0
		.amdhsa_system_sgpr_workgroup_info 0
		.amdhsa_system_vgpr_workitem_id 0
		.amdhsa_next_free_vgpr 39
		.amdhsa_next_free_sgpr 68
		.amdhsa_named_barrier_count 0
		.amdhsa_reserve_vcc 1
		.amdhsa_float_round_mode_32 0
		.amdhsa_float_round_mode_16_64 0
		.amdhsa_float_denorm_mode_32 3
		.amdhsa_float_denorm_mode_16_64 3
		.amdhsa_fp16_overflow 0
		.amdhsa_memory_ordered 1
		.amdhsa_forward_progress 1
		.amdhsa_inst_pref_size 33
		.amdhsa_round_robin_scheduling 0
		.amdhsa_exception_fp_ieee_invalid_op 0
		.amdhsa_exception_fp_denorm_src 0
		.amdhsa_exception_fp_ieee_div_zero 0
		.amdhsa_exception_fp_ieee_overflow 0
		.amdhsa_exception_fp_ieee_underflow 0
		.amdhsa_exception_fp_ieee_inexact 0
		.amdhsa_exception_int_div_zero 0
	.end_amdhsa_kernel
	.section	.text._ZN2at6native12_GLOBAL__N_16kernel16gru_cell_forwardIN3c108BFloat16EfiLi2EEEvNS_4cuda6detail10TensorInfoIT_T1_EESB_SB_SB_SB_SB_SB_SA_SA_,"axG",@progbits,_ZN2at6native12_GLOBAL__N_16kernel16gru_cell_forwardIN3c108BFloat16EfiLi2EEEvNS_4cuda6detail10TensorInfoIT_T1_EESB_SB_SB_SB_SB_SB_SA_SA_,comdat
.Lfunc_end45:
	.size	_ZN2at6native12_GLOBAL__N_16kernel16gru_cell_forwardIN3c108BFloat16EfiLi2EEEvNS_4cuda6detail10TensorInfoIT_T1_EESB_SB_SB_SB_SB_SB_SA_SA_, .Lfunc_end45-_ZN2at6native12_GLOBAL__N_16kernel16gru_cell_forwardIN3c108BFloat16EfiLi2EEEvNS_4cuda6detail10TensorInfoIT_T1_EESB_SB_SB_SB_SB_SB_SA_SA_
                                        ; -- End function
	.set _ZN2at6native12_GLOBAL__N_16kernel16gru_cell_forwardIN3c108BFloat16EfiLi2EEEvNS_4cuda6detail10TensorInfoIT_T1_EESB_SB_SB_SB_SB_SB_SA_SA_.num_vgpr, 39
	.set _ZN2at6native12_GLOBAL__N_16kernel16gru_cell_forwardIN3c108BFloat16EfiLi2EEEvNS_4cuda6detail10TensorInfoIT_T1_EESB_SB_SB_SB_SB_SB_SA_SA_.num_agpr, 0
	.set _ZN2at6native12_GLOBAL__N_16kernel16gru_cell_forwardIN3c108BFloat16EfiLi2EEEvNS_4cuda6detail10TensorInfoIT_T1_EESB_SB_SB_SB_SB_SB_SA_SA_.numbered_sgpr, 68
	.set _ZN2at6native12_GLOBAL__N_16kernel16gru_cell_forwardIN3c108BFloat16EfiLi2EEEvNS_4cuda6detail10TensorInfoIT_T1_EESB_SB_SB_SB_SB_SB_SA_SA_.num_named_barrier, 0
	.set _ZN2at6native12_GLOBAL__N_16kernel16gru_cell_forwardIN3c108BFloat16EfiLi2EEEvNS_4cuda6detail10TensorInfoIT_T1_EESB_SB_SB_SB_SB_SB_SA_SA_.private_seg_size, 0
	.set _ZN2at6native12_GLOBAL__N_16kernel16gru_cell_forwardIN3c108BFloat16EfiLi2EEEvNS_4cuda6detail10TensorInfoIT_T1_EESB_SB_SB_SB_SB_SB_SA_SA_.uses_vcc, 1
	.set _ZN2at6native12_GLOBAL__N_16kernel16gru_cell_forwardIN3c108BFloat16EfiLi2EEEvNS_4cuda6detail10TensorInfoIT_T1_EESB_SB_SB_SB_SB_SB_SA_SA_.uses_flat_scratch, 0
	.set _ZN2at6native12_GLOBAL__N_16kernel16gru_cell_forwardIN3c108BFloat16EfiLi2EEEvNS_4cuda6detail10TensorInfoIT_T1_EESB_SB_SB_SB_SB_SB_SA_SA_.has_dyn_sized_stack, 0
	.set _ZN2at6native12_GLOBAL__N_16kernel16gru_cell_forwardIN3c108BFloat16EfiLi2EEEvNS_4cuda6detail10TensorInfoIT_T1_EESB_SB_SB_SB_SB_SB_SA_SA_.has_recursion, 0
	.set _ZN2at6native12_GLOBAL__N_16kernel16gru_cell_forwardIN3c108BFloat16EfiLi2EEEvNS_4cuda6detail10TensorInfoIT_T1_EESB_SB_SB_SB_SB_SB_SA_SA_.has_indirect_call, 0
	.section	.AMDGPU.csdata,"",@progbits
; Kernel info:
; codeLenInByte = 4180
; TotalNumSgprs: 70
; NumVgprs: 39
; ScratchSize: 0
; MemoryBound: 0
; FloatMode: 240
; IeeeMode: 1
; LDSByteSize: 0 bytes/workgroup (compile time only)
; SGPRBlocks: 0
; VGPRBlocks: 2
; NumSGPRsForWavesPerEU: 70
; NumVGPRsForWavesPerEU: 39
; NamedBarCnt: 0
; Occupancy: 16
; WaveLimiterHint : 1
; COMPUTE_PGM_RSRC2:SCRATCH_EN: 0
; COMPUTE_PGM_RSRC2:USER_SGPR: 2
; COMPUTE_PGM_RSRC2:TRAP_HANDLER: 0
; COMPUTE_PGM_RSRC2:TGID_X_EN: 1
; COMPUTE_PGM_RSRC2:TGID_Y_EN: 0
; COMPUTE_PGM_RSRC2:TGID_Z_EN: 0
; COMPUTE_PGM_RSRC2:TIDIG_COMP_CNT: 0
	.section	.text._ZN2at6native12_GLOBAL__N_16kernel16gru_cell_forwardIN3c108BFloat16EflLi1EEEvNS_4cuda6detail10TensorInfoIT_T1_EESB_SB_SB_SB_SB_SB_SA_SA_,"axG",@progbits,_ZN2at6native12_GLOBAL__N_16kernel16gru_cell_forwardIN3c108BFloat16EflLi1EEEvNS_4cuda6detail10TensorInfoIT_T1_EESB_SB_SB_SB_SB_SB_SA_SA_,comdat
	.globl	_ZN2at6native12_GLOBAL__N_16kernel16gru_cell_forwardIN3c108BFloat16EflLi1EEEvNS_4cuda6detail10TensorInfoIT_T1_EESB_SB_SB_SB_SB_SB_SA_SA_ ; -- Begin function _ZN2at6native12_GLOBAL__N_16kernel16gru_cell_forwardIN3c108BFloat16EflLi1EEEvNS_4cuda6detail10TensorInfoIT_T1_EESB_SB_SB_SB_SB_SB_SA_SA_
	.p2align	8
	.type	_ZN2at6native12_GLOBAL__N_16kernel16gru_cell_forwardIN3c108BFloat16EflLi1EEEvNS_4cuda6detail10TensorInfoIT_T1_EESB_SB_SB_SB_SB_SB_SA_SA_,@function
_ZN2at6native12_GLOBAL__N_16kernel16gru_cell_forwardIN3c108BFloat16EflLi1EEEvNS_4cuda6detail10TensorInfoIT_T1_EESB_SB_SB_SB_SB_SB_SA_SA_: ; @_ZN2at6native12_GLOBAL__N_16kernel16gru_cell_forwardIN3c108BFloat16EflLi1EEEvNS_4cuda6detail10TensorInfoIT_T1_EESB_SB_SB_SB_SB_SB_SA_SA_
; %bb.0:
	s_clause 0x1
	s_load_b32 s2, s[0:1], 0xb7c
	s_load_b128 s[4:7], s[0:1], 0xb60
	s_bfe_u32 s3, ttmp6, 0x4000c
	s_and_b32 s8, ttmp6, 15
	s_add_co_i32 s3, s3, 1
	s_getreg_b32 s9, hwreg(HW_REG_IB_STS2, 6, 4)
	s_mul_i32 s3, ttmp9, s3
	v_mov_b32_e32 v2, 0
	s_add_co_i32 s8, s8, s3
	s_delay_alu instid0(VALU_DEP_1)
	v_mov_b32_e32 v1, v2
	s_wait_kmcnt 0x0
	s_and_b32 s2, s2, 0xffff
	s_cmp_eq_u32 s9, 0
	s_cselect_b32 s3, ttmp9, s8
	s_mov_b32 s8, exec_lo
	v_mad_u32 v0, s3, s2, v0
	s_mov_b32 s3, 0
	s_delay_alu instid0(VALU_DEP_1)
	v_cmpx_gt_i64_e64 s[6:7], v[0:1]
	s_cbranch_execz .LBB46_14
; %bb.1:
	s_clause 0x2
	s_load_b64 s[40:41], s[0:1], 0x750
	s_load_b64 s[42:43], s[0:1], 0x8f0
	;; [unrolled: 1-line block ×3, first 2 shown]
	v_cvt_f32_u32_e32 v3, s4
	s_add_nc_u64 s[16:17], s[0:1], 0xb70
	s_clause 0x2
	s_load_b64 s[10:11], s[0:1], 0x410
	s_load_b64 s[12:13], s[0:1], 0x4e0
	;; [unrolled: 1-line block ×3, first 2 shown]
	s_load_b32 s28, s[16:17], 0x0
	s_load_b64 s[44:45], s[0:1], 0x820
	v_rcp_iflag_f32_e32 v3, v3
	s_mov_b32 s29, s3
	s_sub_nc_u64 s[30:31], 0, s[4:5]
	s_mov_b64 s[34:35], 0xffffffff
	s_mov_b32 s48, 0
	v_nop
	s_delay_alu instid0(TRANS32_DEP_1) | instskip(NEXT) | instid1(VALU_DEP_1)
	v_mul_f32_e32 v3, 0x4f7ffffe, v3
	v_cvt_u32_f32_e32 v3, v3
	s_wait_kmcnt 0x0
	v_mul_u64_e32 v[4:5], s[40:41], v[0:1]
	v_mul_u64_e32 v[6:7], s[42:43], v[0:1]
	s_cmp_lg_u64 s[8:9], 0
	s_cselect_b32 s33, -1, 0
	s_sub_co_i32 s16, 0, s4
	s_mul_i32 s28, s28, s2
	v_mul_lo_u32 v8, s16, v3
	s_clause 0x6
	s_load_b64 s[46:47], s[0:1], 0x680
	s_load_b64 s[16:17], s[0:1], 0x0
	s_load_b64 s[18:19], s[0:1], 0xd0
	s_load_b64 s[20:21], s[0:1], 0x1a0
	s_load_b64 s[22:23], s[0:1], 0x270
	s_load_b64 s[24:25], s[0:1], 0x9c0
	s_load_b64 s[26:27], s[0:1], 0xa90
	s_wait_xcnt 0x0
	s_mul_u64 s[0:1], s[28:29], s[40:41]
	s_mul_u64 s[42:43], s[28:29], s[42:43]
	s_lshl_b64 s[36:37], s[4:5], 1
	s_lshl_b64 s[38:39], s[4:5], 2
	s_lshl_b64 s[40:41], s[0:1], 1
	s_lshl_b64 s[42:43], s[42:43], 1
	s_mov_b32 s1, 0xbbbac73d
	v_mul_hi_u32 v8, v3, v8
	s_delay_alu instid0(VALU_DEP_1)
	v_add_nc_u32_e32 v12, v3, v8
	s_wait_kmcnt 0x0
	v_lshl_add_u64 v[4:5], v[4:5], 1, s[46:47]
	v_lshl_add_u64 v[6:7], v[6:7], 1, s[44:45]
	s_ashr_i32 s44, s5, 31
	s_branch .LBB46_3
.LBB46_2:                               ;   in Loop: Header=BB46_3 Depth=1
	s_or_b32 exec_lo, exec_lo, s0
	v_dual_lshlrev_b32 v14, 16, v14 :: v_dual_lshlrev_b32 v15, 16, v15
	s_delay_alu instid0(VALU_DEP_2) | instskip(SKIP_4) | instid1(VALU_DEP_1)
	v_bfi_b32 v10, 0x7fffffff, v16, v10
	v_add_nc_u64_e32 v[4:5], s[40:41], v[4:5]
	s_wait_loadcnt 0x0
	v_lshlrev_b32_e32 v36, 16, v3
	v_add_f32_e32 v14, v14, v15
	v_add_f32_e32 v14, v14, v18
	s_delay_alu instid0(VALU_DEP_1) | instskip(NEXT) | instid1(VALU_DEP_1)
	v_add_f32_e32 v14, v17, v14
	v_mul_f32_e32 v15, 0xbfb8aa3b, v14
	v_cmp_nlt_f32_e32 vcc_lo, 0x42ce8ed0, v14
	s_delay_alu instid0(VALU_DEP_2) | instskip(SKIP_1) | instid1(VALU_DEP_2)
	v_fma_f32 v17, 0xbfb8aa3b, v14, -v15
	v_rndne_f32_e32 v18, v15
	v_fmac_f32_e32 v17, 0xb2a5705f, v14
	s_delay_alu instid0(VALU_DEP_2) | instskip(NEXT) | instid1(VALU_DEP_1)
	v_sub_f32_e32 v15, v15, v18
	v_add_f32_e32 v15, v15, v17
	v_cvt_i32_f32_e32 v17, v18
	v_mad_nc_u64_u32 v[18:19], s38, v8, v[0:1]
	s_delay_alu instid0(VALU_DEP_3) | instskip(SKIP_1) | instid1(TRANS32_DEP_1)
	v_exp_f32_e32 v15, v15
	v_nop
	v_ldexp_f32 v15, v15, v17
	s_delay_alu instid0(VALU_DEP_1) | instskip(SKIP_1) | instid1(VALU_DEP_2)
	v_cndmask_b32_e32 v15, 0, v15, vcc_lo
	v_cmp_ngt_f32_e32 vcc_lo, 0xc2b17218, v14
	v_cndmask_b32_e32 v14, 0x7f800000, v15, vcc_lo
	s_delay_alu instid0(VALU_DEP_1) | instskip(SKIP_2) | instid1(VALU_DEP_3)
	v_add_f32_e32 v28, 1.0, v14
	v_lshlrev_b64_e32 v[14:15], 2, v[8:9]
	v_mad_u32 v8, s39, v8, v19
	v_div_scale_f32 v17, null, v28, v28, 1.0
	v_div_scale_f32 v32, vcc_lo, 1.0, v28, 1.0
	s_delay_alu instid0(VALU_DEP_4) | instskip(NEXT) | instid1(VALU_DEP_3)
	v_add_nc_u64_e32 v[20:21], 4, v[14:15]
	v_rcp_f32_e32 v29, v17
	v_mul_lo_u32 v30, s4, v15
	s_delay_alu instid0(TRANS32_DEP_1) | instskip(NEXT) | instid1(VALU_DEP_1)
	v_fma_f32 v19, -v17, v29, 1.0
	v_dual_fmac_f32 v29, v19, v29 :: v_dual_bitop2_b32 v22, 1, v14 bitop3:0x54
	v_mad_u32 v19, s38, v9, v8
	s_delay_alu instid0(VALU_DEP_2) | instskip(SKIP_1) | instid1(VALU_DEP_4)
	v_dual_mul_f32 v35, v32, v29 :: v_dual_bitop2_b32 v24, 2, v14 bitop3:0x54
	v_or_b32_e32 v26, 3, v14
	v_mul_lo_u32 v31, s5, v22
	v_mad_nc_u64_u32 v[14:15], s4, v22, v[0:1]
	v_mad_nc_u64_u32 v[22:23], s4, v20, v[0:1]
	v_mul_u64_e32 v[18:19], s[26:27], v[18:19]
	s_delay_alu instid0(VALU_DEP_3) | instskip(NEXT) | instid1(VALU_DEP_3)
	v_add3_u32 v15, v31, v15, v30
	v_mad_u32 v16, s5, v20, v23
	v_fma_f32 v23, -v17, v35, v32
	v_mul_lo_u32 v33, s5, v24
	v_mad_nc_u64_u32 v[24:25], s4, v24, v[0:1]
	v_mul_u64_e32 v[8:9], s[26:27], v[14:15]
	v_bfe_u32 v20, v13, 16, 1
	v_fmac_f32_e32 v35, v23, v29
	v_mul_lo_u32 v34, s5, v26
	v_mad_nc_u64_u32 v[26:27], s4, v26, v[0:1]
	v_bfe_u32 v31, v11, 16, 1
	v_add_nc_u64_e32 v[0:1], s[28:29], v[0:1]
	v_mad_u32 v23, s4, v21, v16
	v_fma_f32 v21, -v17, v35, v32
	v_add3_u32 v25, v33, v25, v30
	s_delay_alu instid0(VALU_DEP_1)
	v_mul_u64_e32 v[14:15], s[26:27], v[24:25]
	v_add3_u32 v27, v34, v27, v30
	v_sub_f32_e32 v24, v36, v10
	v_div_fmas_f32 v21, v21, v29, v35
	v_add3_u32 v25, v13, v20, 0x7fff
	v_cmp_o_f32_e32 vcc_lo, v13, v13
	v_mul_u64_e32 v[16:17], s[26:27], v[26:27]
	v_bfe_u32 v26, v10, 16, 1
	v_div_fixup_f32 v28, v21, v28, 1.0
	v_mul_u64_e32 v[20:21], s[26:27], v[22:23]
	v_add3_u32 v27, v11, v31, 0x7fff
	v_lshrrev_b32_e32 v22, 16, v25
	v_add3_u32 v23, v10, v26, 0x7fff
	v_fma_f32 v24, v28, v24, v10
	v_bfe_u32 v26, v28, 16, 1
	v_lshrrev_b32_e32 v25, 16, v27
	v_cndmask_b32_e32 v13, 0x7fc0, v22, vcc_lo
	v_cmp_o_f32_e32 vcc_lo, v11, v11
	v_bfe_u32 v22, v24, 16, 1
	v_lshrrev_b32_e32 v23, 16, v23
	v_cmp_o_f32_e64 s0, v24, v24
	v_lshl_add_u64 v[8:9], v[8:9], 1, s[24:25]
	v_cndmask_b32_e32 v25, 0x7fc0, v25, vcc_lo
	v_add3_u32 v11, v24, v22, 0x7fff
	v_cmp_o_f32_e32 vcc_lo, v10, v10
	v_cndmask_b32_e32 v22, 0x7fc0, v23, vcc_lo
	v_add3_u32 v23, v28, v26, 0x7fff
	s_delay_alu instid0(VALU_DEP_4)
	v_lshrrev_b32_e32 v26, 16, v11
	v_lshl_add_u64 v[10:11], v[14:15], 1, s[24:25]
	v_lshl_add_u64 v[14:15], v[18:19], 1, s[24:25]
	v_cmp_le_i64_e32 vcc_lo, s[6:7], v[0:1]
	v_lshrrev_b32_e32 v23, 16, v23
	v_cndmask_b32_e64 v24, 0x7fc0, v26, s0
	v_cmp_o_f32_e64 s0, v28, v28
	global_store_b16 v[6:7], v24, off
	global_store_b16 v[14:15], v13, off
	s_wait_xcnt 0x1
	v_add_nc_u64_e32 v[6:7], s[42:43], v[6:7]
	v_lshl_add_u64 v[16:17], v[16:17], 1, s[24:25]
	v_cndmask_b32_e64 v18, 0x7fc0, v23, s0
	s_wait_xcnt 0x0
	v_lshl_add_u64 v[14:15], v[20:21], 1, s[24:25]
	s_or_b32 s48, vcc_lo, s48
	s_clause 0x3
	global_store_b16 v[8:9], v18, off
	global_store_b16 v[10:11], v22, off
	;; [unrolled: 1-line block ×4, first 2 shown]
	s_wait_xcnt 0x0
	s_and_not1_b32 exec_lo, exec_lo, s48
	s_cbranch_execz .LBB46_14
.LBB46_3:                               ; =>This Inner Loop Header: Depth=1
	v_or_b32_e32 v3, s5, v1
                                        ; implicit-def: $vgpr8_vgpr9
	s_mov_b32 s0, exec_lo
	s_delay_alu instid0(VALU_DEP_1)
	v_cmpx_ne_u64_e32 0, v[2:3]
	s_xor_b32 s49, exec_lo, s0
	s_cbranch_execz .LBB46_5
; %bb.4:                                ;   in Loop: Header=BB46_3 Depth=1
	s_mov_b32 s45, s44
	v_dual_mov_b32 v15, v2 :: v_dual_ashrrev_i32 v8, 31, v1
	s_add_nc_u64 s[46:47], s[4:5], s[44:45]
	v_mov_b32_e32 v23, v2
	s_xor_b64 s[46:47], s[46:47], s[44:45]
	s_delay_alu instid0(VALU_DEP_2) | instskip(SKIP_3) | instid1(VALU_DEP_1)
	v_mov_b32_e32 v9, v8
	s_cvt_f32_u32 s0, s46
	s_cvt_f32_u32 s2, s47
	s_sub_nc_u64 s[52:53], 0, s[46:47]
	v_add_nc_u64_e32 v[10:11], v[0:1], v[8:9]
	s_delay_alu instid0(SALU_CYCLE_1) | instskip(SKIP_1) | instid1(SALU_CYCLE_2)
	s_fmamk_f32 s0, s2, 0x4f800000, s0
	v_mov_b32_e32 v19, v2
	v_s_rcp_f32 s0, s0
	s_delay_alu instid0(VALU_DEP_2) | instskip(NEXT) | instid1(VALU_DEP_3)
	v_xor_b32_e32 v14, v10, v8
	v_xor_b32_e32 v18, v11, v8
	v_xor_b32_e32 v8, s44, v8
	s_delay_alu instid0(TRANS32_DEP_1) | instskip(NEXT) | instid1(SALU_CYCLE_3)
	s_mul_f32 s0, s0, 0x5f7ffffc
	s_mul_f32 s2, s0, 0x2f800000
	s_delay_alu instid0(SALU_CYCLE_3) | instskip(NEXT) | instid1(SALU_CYCLE_3)
	s_trunc_f32 s2, s2
	s_fmamk_f32 s0, s2, 0xcf800000, s0
	s_cvt_u32_f32 s51, s2
	s_delay_alu instid0(SALU_CYCLE_2) | instskip(NEXT) | instid1(SALU_CYCLE_3)
	s_cvt_u32_f32 s50, s0
	s_mul_u64 s[54:55], s[52:53], s[50:51]
	s_delay_alu instid0(SALU_CYCLE_1)
	s_mul_hi_u32 s57, s50, s55
	s_mul_i32 s56, s50, s55
	s_mul_hi_u32 s2, s50, s54
	s_mul_i32 s45, s51, s54
	s_add_nc_u64 s[56:57], s[2:3], s[56:57]
	s_mul_hi_u32 s0, s51, s54
	s_mul_hi_u32 s58, s51, s55
	s_add_co_u32 s2, s56, s45
	s_add_co_ci_u32 s2, s57, s0
	s_mul_i32 s54, s51, s55
	s_add_co_ci_u32 s55, s58, 0
	s_delay_alu instid0(SALU_CYCLE_1) | instskip(NEXT) | instid1(SALU_CYCLE_1)
	s_add_nc_u64 s[54:55], s[2:3], s[54:55]
	s_add_co_u32 s50, s50, s54
	s_cselect_b32 s0, -1, 0
	s_delay_alu instid0(SALU_CYCLE_1) | instskip(SKIP_1) | instid1(SALU_CYCLE_1)
	s_cmp_lg_u32 s0, 0
	s_add_co_ci_u32 s51, s51, s55
	s_mul_u64 s[52:53], s[52:53], s[50:51]
	s_delay_alu instid0(SALU_CYCLE_1)
	s_mul_hi_u32 s55, s50, s53
	s_mul_i32 s54, s50, s53
	s_mul_hi_u32 s2, s50, s52
	s_mul_i32 s45, s51, s52
	s_add_nc_u64 s[54:55], s[2:3], s[54:55]
	s_mul_hi_u32 s0, s51, s52
	s_mul_hi_u32 s56, s51, s53
	s_add_co_u32 s2, s54, s45
	s_add_co_ci_u32 s2, s55, s0
	s_mul_i32 s52, s51, s53
	s_add_co_ci_u32 s53, s56, 0
	s_delay_alu instid0(SALU_CYCLE_1) | instskip(NEXT) | instid1(SALU_CYCLE_1)
	s_add_nc_u64 s[52:53], s[2:3], s[52:53]
	s_add_co_u32 s0, s50, s52
	s_cselect_b32 s2, -1, 0
	v_mul_hi_u32 v22, v14, s0
	s_cmp_lg_u32 s2, 0
	s_add_co_ci_u32 s2, s51, s53
	s_and_b64 s[50:51], s[0:1], s[34:35]
	v_mul_u64_e32 v[16:17], s[2:3], v[14:15]
	v_mul_u64_e32 v[10:11], s[50:51], v[18:19]
	;; [unrolled: 1-line block ×3, first 2 shown]
	s_delay_alu instid0(VALU_DEP_3) | instskip(NEXT) | instid1(VALU_DEP_1)
	v_add_nc_u64_e32 v[16:17], v[22:23], v[16:17]
	v_add_co_u32 v3, vcc_lo, v16, v10
	s_delay_alu instid0(VALU_DEP_2) | instskip(NEXT) | instid1(VALU_DEP_4)
	v_add_co_ci_u32_e32 v22, vcc_lo, v17, v11, vcc_lo
	v_add_co_ci_u32_e32 v21, vcc_lo, 0, v21, vcc_lo
	s_delay_alu instid0(VALU_DEP_1) | instskip(NEXT) | instid1(VALU_DEP_1)
	v_add_nc_u64_e32 v[10:11], v[22:23], v[20:21]
	v_mul_u64_e32 v[16:17], s[46:47], v[10:11]
	s_delay_alu instid0(VALU_DEP_1) | instskip(NEXT) | instid1(VALU_DEP_2)
	v_sub_nc_u32_e32 v3, v18, v17
	v_sub_co_u32 v9, vcc_lo, v14, v16
	s_delay_alu instid0(VALU_DEP_1) | instskip(NEXT) | instid1(VALU_DEP_3)
	v_sub_co_ci_u32_e64 v18, null, v18, v17, vcc_lo
	v_subrev_co_ci_u32_e64 v3, null, s47, v3, vcc_lo
	s_delay_alu instid0(VALU_DEP_3) | instskip(SKIP_1) | instid1(VALU_DEP_3)
	v_sub_co_u32 v13, s0, v9, s46
	v_add_nc_u64_e32 v[16:17], 1, v[10:11]
	v_subrev_co_ci_u32_e64 v3, null, 0, v3, s0
	s_delay_alu instid0(VALU_DEP_3) | instskip(SKIP_1) | instid1(VALU_DEP_3)
	v_cmp_le_u32_e32 vcc_lo, s46, v13
	v_cndmask_b32_e64 v13, 0, -1, vcc_lo
	v_cmp_le_u32_e32 vcc_lo, s47, v3
	v_cndmask_b32_e64 v14, 0, -1, vcc_lo
	;; [unrolled: 2-line block ×4, first 2 shown]
	v_cmp_eq_u32_e32 vcc_lo, s47, v3
	v_cndmask_b32_e32 v3, v14, v13, vcc_lo
	v_cmp_eq_u32_e32 vcc_lo, s47, v18
	v_add_nc_u64_e32 v[14:15], 2, v[10:11]
	v_cndmask_b32_e32 v9, v19, v9, vcc_lo
	s_delay_alu instid0(VALU_DEP_4) | instskip(NEXT) | instid1(VALU_DEP_2)
	v_cmp_ne_u32_e32 vcc_lo, 0, v3
	v_cmp_ne_u32_e64 s0, 0, v9
	s_delay_alu instid0(VALU_DEP_4) | instskip(NEXT) | instid1(VALU_DEP_1)
	v_dual_cndmask_b32 v9, v16, v14, vcc_lo :: v_dual_cndmask_b32 v3, v17, v15, vcc_lo
	v_dual_cndmask_b32 v10, v10, v9, s0 :: v_dual_cndmask_b32 v3, v11, v3, s0
	s_delay_alu instid0(VALU_DEP_1) | instskip(NEXT) | instid1(VALU_DEP_2)
	v_dual_mov_b32 v9, v8 :: v_dual_bitop2_b32 v10, v10, v8 bitop3:0x14
	v_xor_b32_e32 v11, v3, v8
	s_delay_alu instid0(VALU_DEP_1)
	v_sub_nc_u64_e32 v[8:9], v[10:11], v[8:9]
.LBB46_5:                               ;   in Loop: Header=BB46_3 Depth=1
	s_and_not1_saveexec_b32 s0, s49
	s_cbranch_execz .LBB46_7
; %bb.6:                                ;   in Loop: Header=BB46_3 Depth=1
	v_mul_hi_u32 v3, v0, v12
	s_delay_alu instid0(VALU_DEP_1) | instskip(NEXT) | instid1(VALU_DEP_1)
	v_mul_lo_u32 v8, v3, s4
	v_dual_add_nc_u32 v9, 1, v3 :: v_dual_sub_nc_u32 v8, v0, v8
	s_delay_alu instid0(VALU_DEP_1) | instskip(SKIP_1) | instid1(VALU_DEP_2)
	v_subrev_nc_u32_e32 v10, s4, v8
	v_cmp_le_u32_e32 vcc_lo, s4, v8
	v_dual_cndmask_b32 v8, v8, v10 :: v_dual_cndmask_b32 v3, v3, v9
	s_delay_alu instid0(VALU_DEP_1) | instskip(NEXT) | instid1(VALU_DEP_2)
	v_cmp_le_u32_e32 vcc_lo, s4, v8
	v_add_nc_u32_e32 v9, 1, v3
	s_delay_alu instid0(VALU_DEP_1)
	v_dual_cndmask_b32 v8, v3, v9 :: v_dual_mov_b32 v9, v2
.LBB46_7:                               ;   in Loop: Header=BB46_3 Depth=1
	s_or_b32 exec_lo, exec_lo, s0
	s_delay_alu instid0(VALU_DEP_1) | instskip(SKIP_2) | instid1(VALU_DEP_2)
	v_lshlrev_b64_e32 v[10:11], 1, v[8:9]
	v_mad_nc_u64_u32 v[16:17], s36, v8, v[0:1]
	s_and_not1_b32 vcc_lo, exec_lo, s33
	v_add_nc_u64_e32 v[14:15], 2, v[10:11]
	v_or_b32_e32 v3, 1, v10
	s_delay_alu instid0(VALU_DEP_3) | instskip(NEXT) | instid1(VALU_DEP_2)
	v_mad_u32 v10, s37, v8, v17
	v_mad_nc_u64_u32 v[18:19], s4, v3, v[0:1]
	s_delay_alu instid0(VALU_DEP_4) | instskip(NEXT) | instid1(VALU_DEP_3)
	v_mad_nc_u64_u32 v[20:21], s4, v14, v[0:1]
	v_mad_u32 v17, s36, v9, v10
	s_delay_alu instid0(VALU_DEP_3) | instskip(NEXT) | instid1(VALU_DEP_3)
	v_mad_u32 v3, s5, v3, v19
	v_mad_u32 v13, s5, v14, v21
	s_delay_alu instid0(VALU_DEP_2) | instskip(NEXT) | instid1(VALU_DEP_2)
	v_mad_u32 v19, s4, v11, v3
	v_mad_u32 v21, s4, v15, v13
	v_mul_u64_e32 v[10:11], s[18:19], v[16:17]
	v_mul_u64_e32 v[14:15], s[22:23], v[16:17]
	s_delay_alu instid0(VALU_DEP_4) | instskip(NEXT) | instid1(VALU_DEP_4)
	v_mul_u64_e32 v[16:17], s[18:19], v[18:19]
	v_mul_u64_e32 v[22:23], s[18:19], v[20:21]
	;; [unrolled: 1-line block ×4, first 2 shown]
	v_lshl_add_u64 v[10:11], v[10:11], 1, s[16:17]
	v_lshl_add_u64 v[24:25], v[14:15], 1, s[20:21]
	;; [unrolled: 1-line block ×6, first 2 shown]
	s_clause 0x2
	global_load_u16 v19, v[10:11], off
	global_load_u16 v14, v[26:27], off
	;; [unrolled: 1-line block ×3, first 2 shown]
	s_clause 0x2
	global_load_u16 v20, v[24:25], off
	global_load_u16 v15, v[28:29], off
	;; [unrolled: 1-line block ×4, first 2 shown]
	s_cbranch_vccnz .LBB46_9
; %bb.8:                                ;   in Loop: Header=BB46_3 Depth=1
	s_wait_xcnt 0x6
	v_sub_nc_u64_e32 v[10:11], 1, v[8:9]
	s_wait_xcnt 0x4
	v_sub_nc_u64_e32 v[22:23], 2, v[8:9]
	s_wait_xcnt 0x3
	v_mad_nc_u64_u32 v[24:25], s30, v8, v[0:1]
	s_delay_alu instid0(VALU_DEP_3) | instskip(SKIP_1) | instid1(VALU_DEP_3)
	v_mad_nc_u64_u32 v[26:27], s4, v10, v[0:1]
	s_wait_xcnt 0x2
	v_mad_nc_u64_u32 v[28:29], s4, v22, v[0:1]
	s_delay_alu instid0(VALU_DEP_3) | instskip(NEXT) | instid1(VALU_DEP_3)
	v_mad_u32 v17, s31, v8, v25
	v_mad_u32 v10, s5, v10, v27
	s_delay_alu instid0(VALU_DEP_3) | instskip(NEXT) | instid1(VALU_DEP_3)
	v_mad_u32 v18, s5, v22, v29
	v_mad_u32 v25, s30, v9, v17
	;; [unrolled: 3-line block ×3, first 2 shown]
	s_delay_alu instid0(VALU_DEP_3) | instskip(SKIP_1) | instid1(VALU_DEP_4)
	v_mul_u64_e32 v[10:11], s[10:11], v[24:25]
	v_mul_u64_e32 v[22:23], s[14:15], v[24:25]
	;; [unrolled: 1-line block ×3, first 2 shown]
	s_wait_xcnt 0x1
	s_delay_alu instid0(VALU_DEP_4)
	v_mul_u64_e32 v[30:31], s[10:11], v[28:29]
	v_mul_u64_e32 v[28:29], s[14:15], v[28:29]
	;; [unrolled: 1-line block ×3, first 2 shown]
	v_lshl_add_u64 v[10:11], v[10:11], 1, s[8:9]
	v_lshl_add_u64 v[22:23], v[22:23], 1, s[12:13]
	global_load_u16 v17, v[10:11], off
	s_wait_xcnt 0x0
	v_lshl_add_u64 v[10:11], v[24:25], 1, s[8:9]
	v_lshl_add_u64 v[24:25], v[30:31], 1, s[8:9]
	;; [unrolled: 1-line block ×4, first 2 shown]
	global_load_u16 v18, v[22:23], off
	s_clause 0x1
	global_load_u16 v30, v[10:11], off
	global_load_u16 v31, v[24:25], off
	s_clause 0x1
	global_load_u16 v32, v[28:29], off
	global_load_u16 v33, v[26:27], off
	s_wait_loadcnt 0x4
	s_wait_xcnt 0x4
	v_dual_lshlrev_b32 v22, 16, v17 :: v_dual_lshlrev_b32 v21, 16, v18
	s_wait_loadcnt 0x2
	s_wait_xcnt 0x3
	v_dual_lshlrev_b32 v18, 16, v30 :: v_dual_lshlrev_b32 v10, 16, v31
	s_wait_loadcnt 0x0
	v_dual_lshlrev_b32 v11, 16, v32 :: v_dual_lshlrev_b32 v17, 16, v33
	s_branch .LBB46_10
.LBB46_9:                               ;   in Loop: Header=BB46_3 Depth=1
	s_wait_xcnt 0x6
	v_dual_mov_b32 v11, 0 :: v_dual_mov_b32 v17, 0
	s_delay_alu instid0(VALU_DEP_1)
	v_dual_mov_b32 v21, 0 :: v_dual_mov_b32 v10, v11
	s_wait_xcnt 0x4
	v_dual_mov_b32 v18, v11 :: v_dual_mov_b32 v22, v11
.LBB46_10:                              ;   in Loop: Header=BB46_3 Depth=1
	s_wait_loadcnt 0x3
	v_dual_lshlrev_b32 v19, 16, v19 :: v_dual_lshlrev_b32 v20, 16, v20
	s_delay_alu instid0(VALU_DEP_1) | instskip(NEXT) | instid1(VALU_DEP_1)
	v_add_f32_e32 v19, v20, v19
	v_add_f32_e32 v19, v19, v22
	s_delay_alu instid0(VALU_DEP_1) | instskip(NEXT) | instid1(VALU_DEP_1)
	v_add_f32_e32 v19, v21, v19
	v_mul_f32_e32 v20, 0xbfb8aa3b, v19
	v_cmp_nlt_f32_e32 vcc_lo, 0x42ce8ed0, v19
	s_delay_alu instid0(VALU_DEP_2) | instskip(SKIP_1) | instid1(VALU_DEP_1)
	v_fma_f32 v21, 0xbfb8aa3b, v19, -v20
	v_rndne_f32_e32 v22, v20
	v_dual_fmac_f32 v21, 0xb2a5705f, v19 :: v_dual_sub_f32 v20, v20, v22
	s_delay_alu instid0(VALU_DEP_1) | instskip(SKIP_1) | instid1(VALU_DEP_2)
	v_add_f32_e32 v20, v20, v21
	v_cvt_i32_f32_e32 v21, v22
	v_exp_f32_e32 v20, v20
	v_nop
	s_delay_alu instid0(TRANS32_DEP_1) | instskip(NEXT) | instid1(VALU_DEP_1)
	v_ldexp_f32 v20, v20, v21
	v_cndmask_b32_e32 v20, 0, v20, vcc_lo
	v_cmp_ngt_f32_e32 vcc_lo, 0xc2b17218, v19
	s_delay_alu instid0(VALU_DEP_2) | instskip(NEXT) | instid1(VALU_DEP_1)
	v_cndmask_b32_e32 v19, 0x7f800000, v20, vcc_lo
	v_add_f32_e32 v19, 1.0, v19
	s_delay_alu instid0(VALU_DEP_1) | instskip(SKIP_1) | instid1(VALU_DEP_2)
	v_div_scale_f32 v20, null, v19, v19, 1.0
	v_div_scale_f32 v23, vcc_lo, 1.0, v19, 1.0
	v_rcp_f32_e32 v22, v20
	v_nop
	s_delay_alu instid0(TRANS32_DEP_1) | instskip(NEXT) | instid1(VALU_DEP_1)
	v_fma_f32 v21, -v20, v22, 1.0
	v_fmac_f32_e32 v22, v21, v22
	s_wait_xcnt 0x2
	s_delay_alu instid0(VALU_DEP_1) | instskip(NEXT) | instid1(VALU_DEP_1)
	v_mul_f32_e32 v24, v23, v22
	v_fma_f32 v21, -v20, v24, v23
	s_wait_loadcnt 0x1
	s_delay_alu instid0(VALU_DEP_1) | instskip(NEXT) | instid1(VALU_DEP_1)
	v_dual_fmac_f32 v24, v21, v22 :: v_dual_lshlrev_b32 v21, 16, v16
	v_fma_f32 v20, -v20, v24, v23
	s_delay_alu instid0(VALU_DEP_1) | instskip(SKIP_1) | instid1(VALU_DEP_2)
	v_div_fmas_f32 v16, v20, v22, v24
	v_lshlrev_b32_e32 v20, 16, v13
	v_div_fixup_f32 v13, v16, v19, 1.0
	s_delay_alu instid0(VALU_DEP_2) | instskip(NEXT) | instid1(VALU_DEP_1)
	v_pk_add_f32 v[10:11], v[10:11], v[20:21]
                                        ; implicit-def: $vgpr16
	v_fma_f32 v10, v11, v13, v10
	s_delay_alu instid0(VALU_DEP_1) | instskip(SKIP_2) | instid1(SALU_CYCLE_1)
	v_cmp_ngt_f32_e64 s0, 0x3f200000, |v10|
	s_wait_xcnt 0x0
	s_and_saveexec_b32 s2, s0
	s_xor_b32 s0, exec_lo, s2
	s_cbranch_execz .LBB46_12
; %bb.11:                               ;   in Loop: Header=BB46_3 Depth=1
	v_add_f32_e64 v16, |v10|, |v10|
	s_delay_alu instid0(VALU_DEP_1) | instskip(SKIP_1) | instid1(VALU_DEP_2)
	v_mul_f32_e32 v19, 0x3fb8aa3b, v16
	v_cmp_ngt_f32_e32 vcc_lo, 0xc2ce8ed0, v16
	v_rndne_f32_e32 v20, v19
	v_fma_f32 v21, 0x3fb8aa3b, v16, -v19
	s_delay_alu instid0(VALU_DEP_2) | instskip(NEXT) | instid1(VALU_DEP_2)
	v_sub_f32_e32 v19, v19, v20
	v_fmac_f32_e32 v21, 0x32a5705f, v16
	v_cvt_i32_f32_e32 v20, v20
	s_delay_alu instid0(VALU_DEP_2) | instskip(NEXT) | instid1(VALU_DEP_1)
	v_add_f32_e32 v19, v19, v21
	v_exp_f32_e32 v19, v19
	v_nop
	s_delay_alu instid0(TRANS32_DEP_1) | instskip(NEXT) | instid1(VALU_DEP_1)
	v_ldexp_f32 v19, v19, v20
	v_cndmask_b32_e32 v19, 0, v19, vcc_lo
	v_cmp_nlt_f32_e32 vcc_lo, 0x42b17218, v16
	s_delay_alu instid0(VALU_DEP_2) | instskip(NEXT) | instid1(VALU_DEP_1)
	v_cndmask_b32_e32 v16, 0x7f800000, v19, vcc_lo
	v_add_f32_e32 v16, 1.0, v16
	s_delay_alu instid0(VALU_DEP_1) | instskip(SKIP_1) | instid1(TRANS32_DEP_1)
	v_rcp_f32_e32 v16, v16
	v_nop
	v_fma_f32 v16, v16, -2.0, 1.0
.LBB46_12:                              ;   in Loop: Header=BB46_3 Depth=1
	s_and_not1_saveexec_b32 s0, s0
	s_cbranch_execz .LBB46_2
; %bb.13:                               ;   in Loop: Header=BB46_3 Depth=1
	v_mul_f32_e32 v16, v10, v10
	s_delay_alu instid0(VALU_DEP_1) | instskip(NEXT) | instid1(VALU_DEP_1)
	v_fmaak_f32 v19, s1, v16, 0x3ca908c9
	v_fmaak_f32 v19, v16, v19, 0xbd5c1c4e
	s_delay_alu instid0(VALU_DEP_1) | instskip(NEXT) | instid1(VALU_DEP_1)
	v_fmaak_f32 v19, v16, v19, 0x3e088382
	v_fmaak_f32 v19, v16, v19, 0xbeaaaa99
	s_delay_alu instid0(VALU_DEP_1) | instskip(NEXT) | instid1(VALU_DEP_1)
	v_mul_f32_e64 v19, |v10|, v19
	v_fma_f32 v16, v16, v19, |v10|
	s_branch .LBB46_2
.LBB46_14:
	s_endpgm
	.section	.rodata,"a",@progbits
	.p2align	6, 0x0
	.amdhsa_kernel _ZN2at6native12_GLOBAL__N_16kernel16gru_cell_forwardIN3c108BFloat16EflLi1EEEvNS_4cuda6detail10TensorInfoIT_T1_EESB_SB_SB_SB_SB_SB_SA_SA_
		.amdhsa_group_segment_fixed_size 0
		.amdhsa_private_segment_fixed_size 0
		.amdhsa_kernarg_size 3184
		.amdhsa_user_sgpr_count 2
		.amdhsa_user_sgpr_dispatch_ptr 0
		.amdhsa_user_sgpr_queue_ptr 0
		.amdhsa_user_sgpr_kernarg_segment_ptr 1
		.amdhsa_user_sgpr_dispatch_id 0
		.amdhsa_user_sgpr_kernarg_preload_length 0
		.amdhsa_user_sgpr_kernarg_preload_offset 0
		.amdhsa_user_sgpr_private_segment_size 0
		.amdhsa_wavefront_size32 1
		.amdhsa_uses_dynamic_stack 0
		.amdhsa_enable_private_segment 0
		.amdhsa_system_sgpr_workgroup_id_x 1
		.amdhsa_system_sgpr_workgroup_id_y 0
		.amdhsa_system_sgpr_workgroup_id_z 0
		.amdhsa_system_sgpr_workgroup_info 0
		.amdhsa_system_vgpr_workitem_id 0
		.amdhsa_next_free_vgpr 37
		.amdhsa_next_free_sgpr 59
		.amdhsa_named_barrier_count 0
		.amdhsa_reserve_vcc 1
		.amdhsa_float_round_mode_32 0
		.amdhsa_float_round_mode_16_64 0
		.amdhsa_float_denorm_mode_32 3
		.amdhsa_float_denorm_mode_16_64 3
		.amdhsa_fp16_overflow 0
		.amdhsa_memory_ordered 1
		.amdhsa_forward_progress 1
		.amdhsa_inst_pref_size 25
		.amdhsa_round_robin_scheduling 0
		.amdhsa_exception_fp_ieee_invalid_op 0
		.amdhsa_exception_fp_denorm_src 0
		.amdhsa_exception_fp_ieee_div_zero 0
		.amdhsa_exception_fp_ieee_overflow 0
		.amdhsa_exception_fp_ieee_underflow 0
		.amdhsa_exception_fp_ieee_inexact 0
		.amdhsa_exception_int_div_zero 0
	.end_amdhsa_kernel
	.section	.text._ZN2at6native12_GLOBAL__N_16kernel16gru_cell_forwardIN3c108BFloat16EflLi1EEEvNS_4cuda6detail10TensorInfoIT_T1_EESB_SB_SB_SB_SB_SB_SA_SA_,"axG",@progbits,_ZN2at6native12_GLOBAL__N_16kernel16gru_cell_forwardIN3c108BFloat16EflLi1EEEvNS_4cuda6detail10TensorInfoIT_T1_EESB_SB_SB_SB_SB_SB_SA_SA_,comdat
.Lfunc_end46:
	.size	_ZN2at6native12_GLOBAL__N_16kernel16gru_cell_forwardIN3c108BFloat16EflLi1EEEvNS_4cuda6detail10TensorInfoIT_T1_EESB_SB_SB_SB_SB_SB_SA_SA_, .Lfunc_end46-_ZN2at6native12_GLOBAL__N_16kernel16gru_cell_forwardIN3c108BFloat16EflLi1EEEvNS_4cuda6detail10TensorInfoIT_T1_EESB_SB_SB_SB_SB_SB_SA_SA_
                                        ; -- End function
	.set _ZN2at6native12_GLOBAL__N_16kernel16gru_cell_forwardIN3c108BFloat16EflLi1EEEvNS_4cuda6detail10TensorInfoIT_T1_EESB_SB_SB_SB_SB_SB_SA_SA_.num_vgpr, 37
	.set _ZN2at6native12_GLOBAL__N_16kernel16gru_cell_forwardIN3c108BFloat16EflLi1EEEvNS_4cuda6detail10TensorInfoIT_T1_EESB_SB_SB_SB_SB_SB_SA_SA_.num_agpr, 0
	.set _ZN2at6native12_GLOBAL__N_16kernel16gru_cell_forwardIN3c108BFloat16EflLi1EEEvNS_4cuda6detail10TensorInfoIT_T1_EESB_SB_SB_SB_SB_SB_SA_SA_.numbered_sgpr, 59
	.set _ZN2at6native12_GLOBAL__N_16kernel16gru_cell_forwardIN3c108BFloat16EflLi1EEEvNS_4cuda6detail10TensorInfoIT_T1_EESB_SB_SB_SB_SB_SB_SA_SA_.num_named_barrier, 0
	.set _ZN2at6native12_GLOBAL__N_16kernel16gru_cell_forwardIN3c108BFloat16EflLi1EEEvNS_4cuda6detail10TensorInfoIT_T1_EESB_SB_SB_SB_SB_SB_SA_SA_.private_seg_size, 0
	.set _ZN2at6native12_GLOBAL__N_16kernel16gru_cell_forwardIN3c108BFloat16EflLi1EEEvNS_4cuda6detail10TensorInfoIT_T1_EESB_SB_SB_SB_SB_SB_SA_SA_.uses_vcc, 1
	.set _ZN2at6native12_GLOBAL__N_16kernel16gru_cell_forwardIN3c108BFloat16EflLi1EEEvNS_4cuda6detail10TensorInfoIT_T1_EESB_SB_SB_SB_SB_SB_SA_SA_.uses_flat_scratch, 0
	.set _ZN2at6native12_GLOBAL__N_16kernel16gru_cell_forwardIN3c108BFloat16EflLi1EEEvNS_4cuda6detail10TensorInfoIT_T1_EESB_SB_SB_SB_SB_SB_SA_SA_.has_dyn_sized_stack, 0
	.set _ZN2at6native12_GLOBAL__N_16kernel16gru_cell_forwardIN3c108BFloat16EflLi1EEEvNS_4cuda6detail10TensorInfoIT_T1_EESB_SB_SB_SB_SB_SB_SA_SA_.has_recursion, 0
	.set _ZN2at6native12_GLOBAL__N_16kernel16gru_cell_forwardIN3c108BFloat16EflLi1EEEvNS_4cuda6detail10TensorInfoIT_T1_EESB_SB_SB_SB_SB_SB_SA_SA_.has_indirect_call, 0
	.section	.AMDGPU.csdata,"",@progbits
; Kernel info:
; codeLenInByte = 3084
; TotalNumSgprs: 61
; NumVgprs: 37
; ScratchSize: 0
; MemoryBound: 0
; FloatMode: 240
; IeeeMode: 1
; LDSByteSize: 0 bytes/workgroup (compile time only)
; SGPRBlocks: 0
; VGPRBlocks: 2
; NumSGPRsForWavesPerEU: 61
; NumVGPRsForWavesPerEU: 37
; NamedBarCnt: 0
; Occupancy: 16
; WaveLimiterHint : 1
; COMPUTE_PGM_RSRC2:SCRATCH_EN: 0
; COMPUTE_PGM_RSRC2:USER_SGPR: 2
; COMPUTE_PGM_RSRC2:TRAP_HANDLER: 0
; COMPUTE_PGM_RSRC2:TGID_X_EN: 1
; COMPUTE_PGM_RSRC2:TGID_Y_EN: 0
; COMPUTE_PGM_RSRC2:TGID_Z_EN: 0
; COMPUTE_PGM_RSRC2:TIDIG_COMP_CNT: 0
	.section	.text._ZN2at6native12_GLOBAL__N_16kernel16gru_cell_forwardIN3c108BFloat16EflLi2EEEvNS_4cuda6detail10TensorInfoIT_T1_EESB_SB_SB_SB_SB_SB_SA_SA_,"axG",@progbits,_ZN2at6native12_GLOBAL__N_16kernel16gru_cell_forwardIN3c108BFloat16EflLi2EEEvNS_4cuda6detail10TensorInfoIT_T1_EESB_SB_SB_SB_SB_SB_SA_SA_,comdat
	.globl	_ZN2at6native12_GLOBAL__N_16kernel16gru_cell_forwardIN3c108BFloat16EflLi2EEEvNS_4cuda6detail10TensorInfoIT_T1_EESB_SB_SB_SB_SB_SB_SA_SA_ ; -- Begin function _ZN2at6native12_GLOBAL__N_16kernel16gru_cell_forwardIN3c108BFloat16EflLi2EEEvNS_4cuda6detail10TensorInfoIT_T1_EESB_SB_SB_SB_SB_SB_SA_SA_
	.p2align	8
	.type	_ZN2at6native12_GLOBAL__N_16kernel16gru_cell_forwardIN3c108BFloat16EflLi2EEEvNS_4cuda6detail10TensorInfoIT_T1_EESB_SB_SB_SB_SB_SB_SA_SA_,@function
_ZN2at6native12_GLOBAL__N_16kernel16gru_cell_forwardIN3c108BFloat16EflLi2EEEvNS_4cuda6detail10TensorInfoIT_T1_EESB_SB_SB_SB_SB_SB_SA_SA_: ; @_ZN2at6native12_GLOBAL__N_16kernel16gru_cell_forwardIN3c108BFloat16EflLi2EEEvNS_4cuda6detail10TensorInfoIT_T1_EESB_SB_SB_SB_SB_SB_SA_SA_
; %bb.0:
	s_clause 0x1
	s_load_b32 s2, s[0:1], 0xb7c
	s_load_b128 s[4:7], s[0:1], 0xb60
	s_bfe_u32 s3, ttmp6, 0x4000c
	s_and_b32 s8, ttmp6, 15
	s_add_co_i32 s3, s3, 1
	s_getreg_b32 s9, hwreg(HW_REG_IB_STS2, 6, 4)
	s_mul_i32 s3, ttmp9, s3
	v_mov_b32_e32 v2, 0
	s_add_co_i32 s8, s8, s3
	s_delay_alu instid0(VALU_DEP_1)
	v_mov_b32_e32 v1, v2
	s_wait_kmcnt 0x0
	s_and_b32 s2, s2, 0xffff
	s_cmp_eq_u32 s9, 0
	s_cselect_b32 s3, ttmp9, s8
	s_mov_b32 s8, exec_lo
	v_mad_u32 v0, s3, s2, v0
	s_mov_b32 s3, 0
	s_delay_alu instid0(VALU_DEP_1)
	v_cmpx_gt_i64_e64 s[6:7], v[0:1]
	s_cbranch_execz .LBB47_66
; %bb.1:
	s_add_nc_u64 s[20:21], s[0:1], 0xb70
	v_cvt_f32_u32_e32 v3, s4
	s_clause 0x4
	s_load_b64 s[28:29], s[0:1], 0x0
	s_load_b64 s[30:31], s[0:1], 0x10
	;; [unrolled: 1-line block ×3, first 2 shown]
	s_load_b128 s[8:11], s[0:1], 0xd0
	s_load_b64 s[36:37], s[0:1], 0x1a0
	s_load_b32 s33, s[20:21], 0x0
	s_clause 0x9
	s_load_b64 s[38:39], s[0:1], 0x1b0
	s_load_b128 s[12:15], s[0:1], 0x270
	s_load_b64 s[40:41], s[0:1], 0x680
	s_load_b64 s[42:43], s[0:1], 0x690
	s_load_b64 s[44:45], s[0:1], 0x410
	s_load_b64 s[46:47], s[0:1], 0x4e0
	s_load_b64 s[48:49], s[0:1], 0x5b0
	s_load_b64 s[50:51], s[0:1], 0x830
	s_load_b128 s[16:19], s[0:1], 0x750
	; meta instruction
	s_load_b64 s[52:53], s[0:1], 0x820
	s_wait_xcnt 0x0
	s_clause 0x3
	s_load_b128 s[20:23], s[0:1], 0x8f0
	s_load_b64 s[54:55], s[0:1], 0x9c0
	s_load_b64 s[56:57], s[0:1], 0x9d0
	s_load_b128 s[24:27], s[0:1], 0xa90
	s_mov_b32 s59, s3
	s_sub_nc_u64 s[64:65], 0, s[4:5]
	v_rcp_iflag_f32_e32 v3, v3
	s_wait_kmcnt 0x0
	s_cmp_lg_u64 s[34:35], 0
	s_mov_b64 s[68:69], 0xffffffff
	s_cselect_b32 s1, -1, 0
	s_mul_i32 s58, s33, s2
	s_lshl_b64 s[60:61], s[4:5], 1
	s_lshl_b64 s[62:63], s[4:5], 2
	v_nop
	v_mul_f32_e32 v3, 0x4f7ffffe, v3
	s_sub_nc_u64 s[66:67], 0, s[42:43]
	s_mov_b32 s33, 0xbbbac73d
	s_ashr_i32 s72, s5, 31
	s_mov_b32 s78, 0
	v_cvt_u32_f32_e32 v28, v3
	s_sub_nc_u64 s[70:71], 0, s[50:51]
	s_branch .LBB47_3
.LBB47_2:                               ;   in Loop: Header=BB47_3 Depth=1
	s_or_b32 exec_lo, exec_lo, s0
	s_delay_alu instid0(VALU_DEP_1) | instskip(SKIP_2) | instid1(VALU_DEP_2)
	v_mul_u64_e32 v[8:9], s[56:57], v[10:11]
	v_bfe_u32 v3, v7, 16, 1
	v_cmp_o_f32_e64 s0, v7, v7
	v_add3_u32 v3, v7, v3, 0x7fff
	s_delay_alu instid0(VALU_DEP_1) | instskip(NEXT) | instid1(VALU_DEP_1)
	v_lshrrev_b32_e32 v3, 16, v3
	v_cndmask_b32_e64 v3, 0x7fc0, v3, s0
	v_sub_nc_u64_e32 v[4:5], v[4:5], v[8:9]
	v_mul_u64_e32 v[8:9], s[24:25], v[10:11]
	s_delay_alu instid0(VALU_DEP_2) | instskip(SKIP_1) | instid1(VALU_DEP_2)
	v_add_nc_u64_e32 v[4:5], v[0:1], v[4:5]
	v_add_nc_u64_e32 v[0:1], s[58:59], v[0:1]
	v_mul_u64_e32 v[4:5], s[26:27], v[4:5]
	s_delay_alu instid0(VALU_DEP_2) | instskip(SKIP_2) | instid1(VALU_DEP_1)
	v_cmp_le_i64_e32 vcc_lo, s[6:7], v[0:1]
	s_or_b32 s78, vcc_lo, s78
	v_lshl_add_u64 v[8:9], v[8:9], 1, s[54:55]
	v_lshl_add_u64 v[4:5], v[4:5], 1, v[8:9]
	global_store_b16 v[4:5], v3, off
	s_wait_xcnt 0x0
	s_and_not1_b32 exec_lo, exec_lo, s78
	s_cbranch_execz .LBB47_66
.LBB47_3:                               ; =>This Inner Loop Header: Depth=1
	v_dual_ashrrev_i32 v6, 31, v1 :: v_dual_bitop2_b32 v3, s5, v1 bitop3:0x54
                                        ; implicit-def: $vgpr4_vgpr5
	s_mov_b32 s0, exec_lo
	s_delay_alu instid0(VALU_DEP_1)
	v_cmpx_ne_u64_e32 0, v[2:3]
	s_xor_b32 s76, exec_lo, s0
	s_cbranch_execz .LBB47_5
; %bb.4:                                ;   in Loop: Header=BB47_3 Depth=1
	s_mov_b32 s73, s72
	v_dual_mov_b32 v7, v6 :: v_dual_mov_b32 v9, v2
	s_add_nc_u64 s[74:75], s[4:5], s[72:73]
	v_mov_b32_e32 v13, v2
	s_xor_b64 s[74:75], s[74:75], s[72:73]
	s_delay_alu instid0(VALU_DEP_2) | instskip(SKIP_4) | instid1(SALU_CYCLE_1)
	v_add_nc_u64_e32 v[4:5], v[0:1], v[6:7]
	s_cvt_f32_u32 s0, s74
	s_cvt_f32_u32 s2, s75
	s_sub_nc_u64 s[82:83], 0, s[74:75]
	v_mov_b32_e32 v17, v2
	s_fmamk_f32 s0, s2, 0x4f800000, s0
	s_delay_alu instid0(VALU_DEP_2) | instskip(SKIP_1) | instid1(SALU_CYCLE_1)
	v_xor_b32_e32 v8, v4, v6
	v_xor_b32_e32 v12, v5, v6
	v_s_rcp_f32 s0, s0
	s_delay_alu instid0(TRANS32_DEP_1) | instskip(NEXT) | instid1(SALU_CYCLE_3)
	s_mul_f32 s0, s0, 0x5f7ffffc
	s_mul_f32 s2, s0, 0x2f800000
	s_delay_alu instid0(SALU_CYCLE_3) | instskip(NEXT) | instid1(SALU_CYCLE_3)
	s_trunc_f32 s2, s2
	s_fmamk_f32 s0, s2, 0xcf800000, s0
	s_cvt_u32_f32 s81, s2
	s_delay_alu instid0(SALU_CYCLE_2) | instskip(NEXT) | instid1(SALU_CYCLE_3)
	s_cvt_u32_f32 s80, s0
	s_mul_u64 s[84:85], s[82:83], s[80:81]
	s_delay_alu instid0(SALU_CYCLE_1)
	s_mul_hi_u32 s87, s80, s85
	s_mul_i32 s86, s80, s85
	s_mul_hi_u32 s2, s80, s84
	s_mul_i32 s73, s81, s84
	s_add_nc_u64 s[86:87], s[2:3], s[86:87]
	s_mul_hi_u32 s0, s81, s84
	s_mul_hi_u32 s77, s81, s85
	s_add_co_u32 s2, s86, s73
	s_add_co_ci_u32 s2, s87, s0
	s_mul_i32 s84, s81, s85
	s_add_co_ci_u32 s85, s77, 0
	s_delay_alu instid0(SALU_CYCLE_1) | instskip(NEXT) | instid1(SALU_CYCLE_1)
	s_add_nc_u64 s[84:85], s[2:3], s[84:85]
	s_add_co_u32 s80, s80, s84
	s_cselect_b32 s0, -1, 0
	s_delay_alu instid0(SALU_CYCLE_1) | instskip(SKIP_1) | instid1(SALU_CYCLE_1)
	s_cmp_lg_u32 s0, 0
	s_add_co_ci_u32 s81, s81, s85
	s_mul_u64 s[82:83], s[82:83], s[80:81]
	s_delay_alu instid0(SALU_CYCLE_1)
	s_mul_hi_u32 s85, s80, s83
	s_mul_i32 s84, s80, s83
	s_mul_hi_u32 s2, s80, s82
	s_mul_i32 s73, s81, s82
	s_add_nc_u64 s[84:85], s[2:3], s[84:85]
	s_mul_hi_u32 s0, s81, s82
	s_mul_hi_u32 s77, s81, s83
	s_add_co_u32 s2, s84, s73
	s_add_co_ci_u32 s2, s85, s0
	s_mul_i32 s82, s81, s83
	s_add_co_ci_u32 s83, s77, 0
	s_delay_alu instid0(SALU_CYCLE_1) | instskip(NEXT) | instid1(SALU_CYCLE_1)
	s_add_nc_u64 s[82:83], s[2:3], s[82:83]
	s_add_co_u32 s0, s80, s82
	s_cselect_b32 s2, -1, 0
	v_nop
	v_mul_hi_u32 v16, v8, s0
	s_cmp_lg_u32 s2, 0
	s_add_co_ci_u32 s2, s81, s83
	s_and_b64 s[80:81], s[0:1], s[68:69]
	v_mul_u64_e32 v[10:11], s[2:3], v[8:9]
	v_mul_u64_e32 v[4:5], s[80:81], v[12:13]
	;; [unrolled: 1-line block ×3, first 2 shown]
	s_delay_alu instid0(VALU_DEP_3) | instskip(NEXT) | instid1(VALU_DEP_1)
	v_add_nc_u64_e32 v[10:11], v[16:17], v[10:11]
	v_add_co_u32 v3, vcc_lo, v10, v4
	s_delay_alu instid0(VALU_DEP_2) | instskip(NEXT) | instid1(VALU_DEP_4)
	v_add_co_ci_u32_e32 v16, vcc_lo, v11, v5, vcc_lo
	v_add_co_ci_u32_e32 v15, vcc_lo, 0, v15, vcc_lo
	s_delay_alu instid0(VALU_DEP_1) | instskip(NEXT) | instid1(VALU_DEP_1)
	v_add_nc_u64_e32 v[4:5], v[16:17], v[14:15]
	v_mul_u64_e32 v[10:11], s[74:75], v[4:5]
	s_delay_alu instid0(VALU_DEP_1) | instskip(NEXT) | instid1(VALU_DEP_2)
	v_sub_nc_u32_e32 v3, v12, v11
	v_sub_co_u32 v7, vcc_lo, v8, v10
	s_delay_alu instid0(VALU_DEP_1) | instskip(NEXT) | instid1(VALU_DEP_3)
	v_sub_co_ci_u32_e64 v12, null, v12, v11, vcc_lo
	v_subrev_co_ci_u32_e64 v3, null, s75, v3, vcc_lo
	s_delay_alu instid0(VALU_DEP_3) | instskip(SKIP_1) | instid1(VALU_DEP_3)
	v_sub_co_u32 v8, s0, v7, s74
	v_add_nc_u64_e32 v[10:11], 1, v[4:5]
	v_subrev_co_ci_u32_e64 v3, null, 0, v3, s0
	s_delay_alu instid0(VALU_DEP_3) | instskip(SKIP_1) | instid1(VALU_DEP_3)
	v_cmp_le_u32_e32 vcc_lo, s74, v8
	v_cndmask_b32_e64 v8, 0, -1, vcc_lo
	v_cmp_le_u32_e32 vcc_lo, s75, v3
	v_cndmask_b32_e64 v9, 0, -1, vcc_lo
	;; [unrolled: 2-line block ×4, first 2 shown]
	v_cmp_eq_u32_e32 vcc_lo, s75, v3
	v_cndmask_b32_e32 v3, v9, v8, vcc_lo
	v_cmp_eq_u32_e32 vcc_lo, s75, v12
	v_add_nc_u64_e32 v[8:9], 2, v[4:5]
	v_cndmask_b32_e32 v7, v13, v7, vcc_lo
	s_delay_alu instid0(VALU_DEP_4) | instskip(NEXT) | instid1(VALU_DEP_3)
	v_cmp_ne_u32_e32 vcc_lo, 0, v3
	v_cndmask_b32_e32 v3, v11, v9, vcc_lo
	s_delay_alu instid0(VALU_DEP_3) | instskip(SKIP_1) | instid1(VALU_DEP_1)
	v_cmp_ne_u32_e64 s0, 0, v7
	v_dual_cndmask_b32 v7, v10, v8, vcc_lo :: v_dual_bitop2_b32 v8, s72, v6 bitop3:0x14
	v_dual_cndmask_b32 v3, v5, v3, s0 :: v_dual_mov_b32 v9, v8
	s_delay_alu instid0(VALU_DEP_1) | instskip(NEXT) | instid1(VALU_DEP_1)
	v_dual_cndmask_b32 v4, v4, v7, s0 :: v_dual_bitop2_b32 v5, v3, v8 bitop3:0x14
	v_xor_b32_e32 v4, v4, v8
	s_delay_alu instid0(VALU_DEP_1)
	v_sub_nc_u64_e32 v[4:5], v[4:5], v[8:9]
.LBB47_5:                               ;   in Loop: Header=BB47_3 Depth=1
	s_and_not1_saveexec_b32 s0, s76
	s_cbranch_execz .LBB47_7
; %bb.6:                                ;   in Loop: Header=BB47_3 Depth=1
	s_sub_co_i32 s2, 0, s4
	s_delay_alu instid0(SALU_CYCLE_1) | instskip(NEXT) | instid1(VALU_DEP_1)
	v_mul_lo_u32 v3, s2, v28
	v_mul_hi_u32 v3, v28, v3
	s_delay_alu instid0(VALU_DEP_1) | instskip(NEXT) | instid1(VALU_DEP_1)
	v_add_nc_u32_e32 v3, v28, v3
	v_mul_hi_u32 v3, v0, v3
	s_delay_alu instid0(VALU_DEP_1) | instskip(NEXT) | instid1(VALU_DEP_1)
	v_mul_lo_u32 v4, v3, s4
	v_dual_add_nc_u32 v5, 1, v3 :: v_dual_sub_nc_u32 v4, v0, v4
	s_delay_alu instid0(VALU_DEP_1) | instskip(SKIP_1) | instid1(VALU_DEP_2)
	v_subrev_nc_u32_e32 v7, s4, v4
	v_cmp_le_u32_e32 vcc_lo, s4, v4
	v_dual_cndmask_b32 v4, v4, v7 :: v_dual_cndmask_b32 v3, v3, v5
	s_delay_alu instid0(VALU_DEP_1) | instskip(NEXT) | instid1(VALU_DEP_2)
	v_cmp_le_u32_e32 vcc_lo, s4, v4
	v_add_nc_u32_e32 v5, 1, v3
	s_delay_alu instid0(VALU_DEP_1)
	v_dual_cndmask_b32 v4, v3, v5 :: v_dual_mov_b32 v5, v2
.LBB47_7:                               ;   in Loop: Header=BB47_3 Depth=1
	s_or_b32 exec_lo, exec_lo, s0
	s_delay_alu instid0(VALU_DEP_1) | instskip(SKIP_1) | instid1(VALU_DEP_1)
	v_mul_u64_e32 v[8:9], s[60:61], v[4:5]
                                        ; implicit-def: $vgpr10_vgpr11
	s_mov_b32 s0, exec_lo
	v_add_nc_u64_e32 v[20:21], v[0:1], v[8:9]
	s_delay_alu instid0(VALU_DEP_1) | instskip(NEXT) | instid1(VALU_DEP_1)
	v_dual_ashrrev_i32 v14, 31, v21 :: v_dual_bitop2_b32 v3, s31, v21 bitop3:0x54
	v_cmpx_ne_u64_e32 0, v[2:3]
	s_xor_b32 s73, exec_lo, s0
	s_cbranch_execz .LBB47_9
; %bb.8:                                ;   in Loop: Header=BB47_3 Depth=1
	s_ashr_i32 s74, s31, 31
	v_dual_mov_b32 v15, v14 :: v_dual_mov_b32 v13, v2
	s_mov_b32 s75, s74
	v_mov_b32_e32 v25, v2
	s_add_nc_u64 s[76:77], s[30:31], s[74:75]
	s_delay_alu instid0(VALU_DEP_2)
	v_add_nc_u64_e32 v[10:11], v[20:21], v[14:15]
	s_xor_b64 s[76:77], s[76:77], s[74:75]
	v_mov_b32_e32 v19, v2
	s_cvt_f32_u32 s0, s76
	s_cvt_f32_u32 s2, s77
	s_sub_nc_u64 s[82:83], 0, s[76:77]
	s_delay_alu instid0(VALU_DEP_2) | instskip(NEXT) | instid1(SALU_CYCLE_1)
	v_xor_b32_e32 v12, v10, v14
	s_fmamk_f32 s0, s2, 0x4f800000, s0
	v_xor_b32_e32 v18, v11, v14
	s_delay_alu instid0(SALU_CYCLE_2) | instskip(NEXT) | instid1(TRANS32_DEP_1)
	v_s_rcp_f32 s0, s0
	s_mul_f32 s0, s0, 0x5f7ffffc
	s_delay_alu instid0(SALU_CYCLE_3) | instskip(NEXT) | instid1(SALU_CYCLE_3)
	s_mul_f32 s2, s0, 0x2f800000
	s_trunc_f32 s2, s2
	s_delay_alu instid0(SALU_CYCLE_3) | instskip(SKIP_1) | instid1(SALU_CYCLE_2)
	s_fmamk_f32 s0, s2, 0xcf800000, s0
	s_cvt_u32_f32 s81, s2
	s_cvt_u32_f32 s80, s0
	s_delay_alu instid0(SALU_CYCLE_3) | instskip(NEXT) | instid1(SALU_CYCLE_1)
	s_mul_u64 s[84:85], s[82:83], s[80:81]
	s_mul_hi_u32 s87, s80, s85
	s_mul_i32 s86, s80, s85
	s_mul_hi_u32 s2, s80, s84
	s_mul_i32 s75, s81, s84
	s_add_nc_u64 s[86:87], s[2:3], s[86:87]
	s_mul_hi_u32 s0, s81, s84
	s_mul_hi_u32 s79, s81, s85
	s_add_co_u32 s2, s86, s75
	s_add_co_ci_u32 s2, s87, s0
	s_mul_i32 s84, s81, s85
	s_add_co_ci_u32 s85, s79, 0
	s_delay_alu instid0(SALU_CYCLE_1) | instskip(NEXT) | instid1(SALU_CYCLE_1)
	s_add_nc_u64 s[84:85], s[2:3], s[84:85]
	s_add_co_u32 s80, s80, s84
	s_cselect_b32 s0, -1, 0
	s_delay_alu instid0(SALU_CYCLE_1) | instskip(SKIP_1) | instid1(SALU_CYCLE_1)
	s_cmp_lg_u32 s0, 0
	s_add_co_ci_u32 s81, s81, s85
	s_mul_u64 s[82:83], s[82:83], s[80:81]
	s_delay_alu instid0(SALU_CYCLE_1)
	s_mul_hi_u32 s85, s80, s83
	s_mul_i32 s84, s80, s83
	s_mul_hi_u32 s2, s80, s82
	s_mul_i32 s75, s81, s82
	s_add_nc_u64 s[84:85], s[2:3], s[84:85]
	s_mul_hi_u32 s0, s81, s82
	s_mul_hi_u32 s79, s81, s83
	s_add_co_u32 s2, s84, s75
	s_add_co_ci_u32 s2, s85, s0
	s_mul_i32 s82, s81, s83
	s_add_co_ci_u32 s83, s79, 0
	s_delay_alu instid0(SALU_CYCLE_1) | instskip(NEXT) | instid1(SALU_CYCLE_1)
	s_add_nc_u64 s[82:83], s[2:3], s[82:83]
	s_add_co_u32 s0, s80, s82
	s_cselect_b32 s2, -1, 0
	v_nop
	v_mul_hi_u32 v24, v12, s0
	s_cmp_lg_u32 s2, 0
	s_add_co_ci_u32 s2, s81, s83
	s_and_b64 s[80:81], s[0:1], s[68:69]
	v_mul_u64_e32 v[16:17], s[2:3], v[12:13]
	v_mul_u64_e32 v[10:11], s[80:81], v[18:19]
	;; [unrolled: 1-line block ×3, first 2 shown]
	s_delay_alu instid0(VALU_DEP_3) | instskip(NEXT) | instid1(VALU_DEP_1)
	v_add_nc_u64_e32 v[16:17], v[24:25], v[16:17]
	v_add_co_u32 v3, vcc_lo, v16, v10
	s_delay_alu instid0(VALU_DEP_2) | instskip(NEXT) | instid1(VALU_DEP_4)
	v_add_co_ci_u32_e32 v24, vcc_lo, v17, v11, vcc_lo
	v_add_co_ci_u32_e32 v23, vcc_lo, 0, v23, vcc_lo
	s_delay_alu instid0(VALU_DEP_1) | instskip(NEXT) | instid1(VALU_DEP_1)
	v_add_nc_u64_e32 v[10:11], v[24:25], v[22:23]
	v_mul_u64_e32 v[16:17], s[76:77], v[10:11]
	s_delay_alu instid0(VALU_DEP_1) | instskip(NEXT) | instid1(VALU_DEP_2)
	v_sub_nc_u32_e32 v3, v18, v17
	v_sub_co_u32 v7, vcc_lo, v12, v16
	s_delay_alu instid0(VALU_DEP_1) | instskip(NEXT) | instid1(VALU_DEP_3)
	v_sub_co_ci_u32_e64 v15, null, v18, v17, vcc_lo
	v_subrev_co_ci_u32_e64 v3, null, s77, v3, vcc_lo
	s_delay_alu instid0(VALU_DEP_3) | instskip(SKIP_1) | instid1(VALU_DEP_3)
	v_sub_co_u32 v12, s0, v7, s76
	v_add_nc_u64_e32 v[16:17], 1, v[10:11]
	v_subrev_co_ci_u32_e64 v3, null, 0, v3, s0
	s_delay_alu instid0(VALU_DEP_3) | instskip(SKIP_1) | instid1(VALU_DEP_3)
	v_cmp_le_u32_e32 vcc_lo, s76, v12
	v_cndmask_b32_e64 v12, 0, -1, vcc_lo
	v_cmp_le_u32_e32 vcc_lo, s77, v3
	v_cndmask_b32_e64 v13, 0, -1, vcc_lo
	v_cmp_le_u32_e32 vcc_lo, s76, v7
	v_cndmask_b32_e64 v7, 0, -1, vcc_lo
	v_cmp_le_u32_e32 vcc_lo, s77, v15
	v_cndmask_b32_e64 v18, 0, -1, vcc_lo
	v_cmp_eq_u32_e32 vcc_lo, s77, v3
	v_cndmask_b32_e32 v3, v13, v12, vcc_lo
	v_cmp_eq_u32_e32 vcc_lo, s77, v15
	v_add_nc_u64_e32 v[12:13], 2, v[10:11]
	v_cndmask_b32_e32 v7, v18, v7, vcc_lo
	s_delay_alu instid0(VALU_DEP_4) | instskip(NEXT) | instid1(VALU_DEP_2)
	v_cmp_ne_u32_e32 vcc_lo, 0, v3
	v_cmp_ne_u32_e64 s0, 0, v7
	s_delay_alu instid0(VALU_DEP_4) | instskip(NEXT) | instid1(VALU_DEP_1)
	v_dual_cndmask_b32 v3, v17, v13, vcc_lo :: v_dual_cndmask_b32 v7, v16, v12, vcc_lo
	v_dual_cndmask_b32 v3, v11, v3, s0 :: v_dual_bitop2_b32 v12, s74, v14 bitop3:0x14
	s_delay_alu instid0(VALU_DEP_1) | instskip(NEXT) | instid1(VALU_DEP_2)
	v_dual_mov_b32 v13, v12 :: v_dual_cndmask_b32 v7, v10, v7, s0
	v_xor_b32_e32 v11, v3, v12
	s_delay_alu instid0(VALU_DEP_2) | instskip(NEXT) | instid1(VALU_DEP_1)
	v_xor_b32_e32 v10, v7, v12
	v_sub_nc_u64_e32 v[10:11], v[10:11], v[12:13]
.LBB47_9:                               ;   in Loop: Header=BB47_3 Depth=1
	s_or_saveexec_b32 s0, s73
	v_cvt_f32_u32_e32 v7, s30
	s_xor_b32 exec_lo, exec_lo, s0
	s_cbranch_execz .LBB47_11
; %bb.10:                               ;   in Loop: Header=BB47_3 Depth=1
	s_delay_alu instid0(VALU_DEP_1) | instskip(SKIP_2) | instid1(TRANS32_DEP_1)
	v_rcp_iflag_f32_e32 v3, v7
	s_sub_co_i32 s2, 0, s30
	v_nop
	v_mul_f32_e32 v3, 0x4f7ffffe, v3
	s_delay_alu instid0(VALU_DEP_1) | instskip(NEXT) | instid1(VALU_DEP_1)
	v_cvt_u32_f32_e32 v3, v3
	v_mul_lo_u32 v10, s2, v3
	s_delay_alu instid0(VALU_DEP_1) | instskip(NEXT) | instid1(VALU_DEP_1)
	v_mul_hi_u32 v10, v3, v10
	v_add_nc_u32_e32 v3, v3, v10
	s_delay_alu instid0(VALU_DEP_1) | instskip(NEXT) | instid1(VALU_DEP_1)
	v_mul_hi_u32 v3, v20, v3
	v_mul_lo_u32 v10, v3, s30
	s_delay_alu instid0(VALU_DEP_1) | instskip(NEXT) | instid1(VALU_DEP_1)
	v_dual_add_nc_u32 v11, 1, v3 :: v_dual_sub_nc_u32 v10, v20, v10
	v_subrev_nc_u32_e32 v12, s30, v10
	v_cmp_le_u32_e32 vcc_lo, s30, v10
	s_delay_alu instid0(VALU_DEP_2) | instskip(NEXT) | instid1(VALU_DEP_1)
	v_dual_cndmask_b32 v10, v10, v12 :: v_dual_cndmask_b32 v3, v3, v11
	v_cmp_le_u32_e32 vcc_lo, s30, v10
	s_delay_alu instid0(VALU_DEP_2) | instskip(NEXT) | instid1(VALU_DEP_1)
	v_add_nc_u32_e32 v11, 1, v3
	v_dual_cndmask_b32 v10, v3, v11 :: v_dual_mov_b32 v11, v2
.LBB47_11:                              ;   in Loop: Header=BB47_3 Depth=1
	s_or_b32 exec_lo, exec_lo, s0
	s_delay_alu instid0(VALU_DEP_1) | instskip(SKIP_2) | instid1(VALU_DEP_2)
	v_mul_u64_e32 v[12:13], s[30:31], v[10:11]
	v_mul_u64_e32 v[10:11], s[8:9], v[10:11]
                                        ; implicit-def: $vgpr16_vgpr17
	s_mov_b32 s0, exec_lo
	v_sub_nc_u64_e32 v[12:13], v[8:9], v[12:13]
	s_delay_alu instid0(VALU_DEP_2) | instskip(NEXT) | instid1(VALU_DEP_2)
	v_lshl_add_u64 v[10:11], v[10:11], 1, s[28:29]
	v_add_nc_u64_e32 v[12:13], v[0:1], v[12:13]
	s_delay_alu instid0(VALU_DEP_1) | instskip(NEXT) | instid1(VALU_DEP_1)
	v_mul_u64_e32 v[12:13], s[10:11], v[12:13]
	v_lshl_add_u64 v[10:11], v[12:13], 1, v[10:11]
	v_lshlrev_b64_e32 v[12:13], 1, v[4:5]
	global_load_u16 v29, v[10:11], off
	s_wait_xcnt 0x0
	v_mad_nc_u64_u32 v[10:11], s4, v12, s[4:5]
	s_delay_alu instid0(VALU_DEP_1) | instskip(SKIP_1) | instid1(VALU_DEP_1)
	v_mad_u32 v3, s5, v12, v11
	v_alignbit_b32 v11, v5, v4, 31
	v_mad_u32 v11, s4, v11, v3
	s_delay_alu instid0(VALU_DEP_1) | instskip(NEXT) | instid1(VALU_DEP_1)
	v_add_nc_u64_e32 v[24:25], v[0:1], v[10:11]
	v_dual_ashrrev_i32 v18, 31, v25 :: v_dual_bitop2_b32 v3, s31, v25 bitop3:0x54
	s_delay_alu instid0(VALU_DEP_1)
	v_cmpx_ne_u64_e32 0, v[2:3]
	s_xor_b32 s73, exec_lo, s0
	s_cbranch_execz .LBB47_13
; %bb.12:                               ;   in Loop: Header=BB47_3 Depth=1
	s_ashr_i32 s74, s31, 31
	v_dual_mov_b32 v19, v18 :: v_dual_mov_b32 v23, v2
	s_mov_b32 s75, s74
	v_mov_b32_e32 v31, v2
	s_add_nc_u64 s[76:77], s[30:31], s[74:75]
	s_delay_alu instid0(VALU_DEP_2)
	v_add_nc_u64_e32 v[16:17], v[24:25], v[18:19]
	s_xor_b64 s[76:77], s[76:77], s[74:75]
	v_mov_b32_e32 v35, v2
	s_cvt_f32_u32 s0, s76
	s_cvt_f32_u32 s2, s77
	s_sub_nc_u64 s[82:83], 0, s[76:77]
	s_delay_alu instid0(VALU_DEP_2) | instskip(NEXT) | instid1(SALU_CYCLE_1)
	v_xor_b32_e32 v22, v16, v18
	s_fmamk_f32 s0, s2, 0x4f800000, s0
	v_xor_b32_e32 v30, v17, v18
	s_delay_alu instid0(SALU_CYCLE_2) | instskip(NEXT) | instid1(TRANS32_DEP_1)
	v_s_rcp_f32 s0, s0
	s_mul_f32 s0, s0, 0x5f7ffffc
	s_delay_alu instid0(SALU_CYCLE_3) | instskip(NEXT) | instid1(SALU_CYCLE_3)
	s_mul_f32 s2, s0, 0x2f800000
	s_trunc_f32 s2, s2
	s_delay_alu instid0(SALU_CYCLE_3) | instskip(SKIP_1) | instid1(SALU_CYCLE_2)
	s_fmamk_f32 s0, s2, 0xcf800000, s0
	s_cvt_u32_f32 s81, s2
	s_cvt_u32_f32 s80, s0
	s_delay_alu instid0(SALU_CYCLE_3) | instskip(NEXT) | instid1(SALU_CYCLE_1)
	s_mul_u64 s[84:85], s[82:83], s[80:81]
	s_mul_hi_u32 s87, s80, s85
	s_mul_i32 s86, s80, s85
	s_mul_hi_u32 s2, s80, s84
	s_mul_i32 s75, s81, s84
	s_add_nc_u64 s[86:87], s[2:3], s[86:87]
	s_mul_hi_u32 s0, s81, s84
	s_mul_hi_u32 s79, s81, s85
	s_add_co_u32 s2, s86, s75
	s_add_co_ci_u32 s2, s87, s0
	s_mul_i32 s84, s81, s85
	s_add_co_ci_u32 s85, s79, 0
	s_delay_alu instid0(SALU_CYCLE_1) | instskip(NEXT) | instid1(SALU_CYCLE_1)
	s_add_nc_u64 s[84:85], s[2:3], s[84:85]
	s_add_co_u32 s80, s80, s84
	s_cselect_b32 s0, -1, 0
	s_delay_alu instid0(SALU_CYCLE_1) | instskip(SKIP_1) | instid1(SALU_CYCLE_1)
	s_cmp_lg_u32 s0, 0
	s_add_co_ci_u32 s81, s81, s85
	s_mul_u64 s[82:83], s[82:83], s[80:81]
	s_delay_alu instid0(SALU_CYCLE_1)
	s_mul_hi_u32 s85, s80, s83
	s_mul_i32 s84, s80, s83
	s_mul_hi_u32 s2, s80, s82
	s_mul_i32 s75, s81, s82
	s_add_nc_u64 s[84:85], s[2:3], s[84:85]
	s_mul_hi_u32 s0, s81, s82
	s_mul_hi_u32 s79, s81, s83
	s_add_co_u32 s2, s84, s75
	s_add_co_ci_u32 s2, s85, s0
	s_mul_i32 s82, s81, s83
	s_add_co_ci_u32 s83, s79, 0
	s_delay_alu instid0(SALU_CYCLE_1) | instskip(NEXT) | instid1(SALU_CYCLE_1)
	s_add_nc_u64 s[82:83], s[2:3], s[82:83]
	s_add_co_u32 s0, s80, s82
	s_cselect_b32 s2, -1, 0
	v_nop
	v_mul_hi_u32 v34, v22, s0
	s_cmp_lg_u32 s2, 0
	s_add_co_ci_u32 s2, s81, s83
	s_and_b64 s[80:81], s[0:1], s[68:69]
	v_mul_u64_e32 v[26:27], s[2:3], v[22:23]
	v_mul_u64_e32 v[16:17], s[80:81], v[30:31]
	v_mul_u64_e32 v[32:33], s[2:3], v[30:31]
	s_delay_alu instid0(VALU_DEP_3) | instskip(NEXT) | instid1(VALU_DEP_1)
	v_add_nc_u64_e32 v[26:27], v[34:35], v[26:27]
	v_add_co_u32 v3, vcc_lo, v26, v16
	s_delay_alu instid0(VALU_DEP_2) | instskip(NEXT) | instid1(VALU_DEP_4)
	v_add_co_ci_u32_e32 v34, vcc_lo, v27, v17, vcc_lo
	v_add_co_ci_u32_e32 v33, vcc_lo, 0, v33, vcc_lo
	s_delay_alu instid0(VALU_DEP_1) | instskip(NEXT) | instid1(VALU_DEP_1)
	v_add_nc_u64_e32 v[16:17], v[34:35], v[32:33]
	v_mul_u64_e32 v[26:27], s[76:77], v[16:17]
	s_delay_alu instid0(VALU_DEP_1) | instskip(NEXT) | instid1(VALU_DEP_2)
	v_sub_nc_u32_e32 v3, v30, v27
	v_sub_co_u32 v15, vcc_lo, v22, v26
	s_delay_alu instid0(VALU_DEP_1) | instskip(NEXT) | instid1(VALU_DEP_3)
	v_sub_co_ci_u32_e64 v30, null, v30, v27, vcc_lo
	v_subrev_co_ci_u32_e64 v3, null, s77, v3, vcc_lo
	s_delay_alu instid0(VALU_DEP_3) | instskip(SKIP_1) | instid1(VALU_DEP_3)
	v_sub_co_u32 v19, s0, v15, s76
	v_add_nc_u64_e32 v[26:27], 1, v[16:17]
	v_subrev_co_ci_u32_e64 v3, null, 0, v3, s0
	s_delay_alu instid0(VALU_DEP_3) | instskip(SKIP_1) | instid1(VALU_DEP_3)
	v_cmp_le_u32_e32 vcc_lo, s76, v19
	v_cndmask_b32_e64 v19, 0, -1, vcc_lo
	v_cmp_le_u32_e32 vcc_lo, s77, v3
	v_cndmask_b32_e64 v22, 0, -1, vcc_lo
	;; [unrolled: 2-line block ×4, first 2 shown]
	v_cmp_eq_u32_e32 vcc_lo, s77, v3
	v_cndmask_b32_e32 v3, v22, v19, vcc_lo
	v_cmp_eq_u32_e32 vcc_lo, s77, v30
	v_add_nc_u64_e32 v[22:23], 2, v[16:17]
	v_cndmask_b32_e32 v15, v31, v15, vcc_lo
	s_delay_alu instid0(VALU_DEP_4) | instskip(NEXT) | instid1(VALU_DEP_2)
	v_cmp_ne_u32_e32 vcc_lo, 0, v3
	v_cmp_ne_u32_e64 s0, 0, v15
	s_delay_alu instid0(VALU_DEP_4) | instskip(NEXT) | instid1(VALU_DEP_1)
	v_dual_cndmask_b32 v3, v27, v23, vcc_lo :: v_dual_cndmask_b32 v15, v26, v22, vcc_lo
	v_dual_cndmask_b32 v15, v16, v15, s0 :: v_dual_bitop2_b32 v22, s74, v18 bitop3:0x14
	s_delay_alu instid0(VALU_DEP_1) | instskip(NEXT) | instid1(VALU_DEP_2)
	v_dual_cndmask_b32 v3, v17, v3, s0 :: v_dual_mov_b32 v23, v22
	v_xor_b32_e32 v16, v15, v22
	s_delay_alu instid0(VALU_DEP_2) | instskip(NEXT) | instid1(VALU_DEP_1)
	v_xor_b32_e32 v17, v3, v22
	v_sub_nc_u64_e32 v[16:17], v[16:17], v[22:23]
.LBB47_13:                              ;   in Loop: Header=BB47_3 Depth=1
	s_and_not1_saveexec_b32 s0, s73
	s_cbranch_execz .LBB47_15
; %bb.14:                               ;   in Loop: Header=BB47_3 Depth=1
	v_rcp_iflag_f32_e32 v3, v7
	s_sub_co_i32 s2, 0, s30
	v_nop
	s_delay_alu instid0(TRANS32_DEP_1) | instskip(NEXT) | instid1(VALU_DEP_1)
	v_mul_f32_e32 v3, 0x4f7ffffe, v3
	v_cvt_u32_f32_e32 v3, v3
	s_delay_alu instid0(VALU_DEP_1) | instskip(NEXT) | instid1(VALU_DEP_1)
	v_mul_lo_u32 v15, s2, v3
	v_mul_hi_u32 v15, v3, v15
	s_delay_alu instid0(VALU_DEP_1) | instskip(NEXT) | instid1(VALU_DEP_1)
	v_add_nc_u32_e32 v3, v3, v15
	v_mul_hi_u32 v3, v24, v3
	s_delay_alu instid0(VALU_DEP_1) | instskip(NEXT) | instid1(VALU_DEP_1)
	v_mul_lo_u32 v15, v3, s30
	v_sub_nc_u32_e32 v15, v24, v15
	s_delay_alu instid0(VALU_DEP_1) | instskip(SKIP_1) | instid1(VALU_DEP_2)
	v_subrev_nc_u32_e32 v17, s30, v15
	v_cmp_le_u32_e32 vcc_lo, s30, v15
	v_dual_cndmask_b32 v15, v15, v17 :: v_dual_add_nc_u32 v16, 1, v3
	s_delay_alu instid0(VALU_DEP_1) | instskip(NEXT) | instid1(VALU_DEP_2)
	v_dual_cndmask_b32 v3, v3, v16, vcc_lo :: v_dual_mov_b32 v17, v2
	v_cmp_le_u32_e32 vcc_lo, s30, v15
	s_delay_alu instid0(VALU_DEP_2) | instskip(NEXT) | instid1(VALU_DEP_1)
	v_add_nc_u32_e32 v16, 1, v3
	v_cndmask_b32_e32 v16, v3, v16, vcc_lo
.LBB47_15:                              ;   in Loop: Header=BB47_3 Depth=1
	s_or_b32 exec_lo, exec_lo, s0
	s_delay_alu instid0(VALU_DEP_1) | instskip(SKIP_3) | instid1(VALU_DEP_1)
	v_mul_u64_e32 v[22:23], s[30:31], v[16:17]
	v_mul_u64_e32 v[16:17], s[8:9], v[16:17]
	v_add_nc_u64_e32 v[12:13], 2, v[12:13]
                                        ; implicit-def: $vgpr26_vgpr27
	s_mov_b32 s0, exec_lo
	v_mul_u64_e32 v[12:13], s[4:5], v[12:13]
	s_delay_alu instid0(VALU_DEP_4) | instskip(NEXT) | instid1(VALU_DEP_4)
	v_sub_nc_u64_e32 v[22:23], v[10:11], v[22:23]
	v_lshl_add_u64 v[16:17], v[16:17], 1, s[28:29]
	s_delay_alu instid0(VALU_DEP_2) | instskip(NEXT) | instid1(VALU_DEP_1)
	v_add_nc_u64_e32 v[22:23], v[0:1], v[22:23]
	v_mul_u64_e32 v[22:23], s[10:11], v[22:23]
	s_delay_alu instid0(VALU_DEP_1) | instskip(SKIP_4) | instid1(VALU_DEP_1)
	v_lshl_add_u64 v[16:17], v[22:23], 1, v[16:17]
	v_add_nc_u64_e32 v[22:23], v[0:1], v[12:13]
	global_load_u16 v30, v[16:17], off
	s_wait_xcnt 0x0
	v_dual_ashrrev_i32 v16, 31, v23 :: v_dual_bitop2_b32 v3, s31, v23 bitop3:0x54
	v_cmpx_ne_u64_e32 0, v[2:3]
	s_xor_b32 s73, exec_lo, s0
	s_cbranch_execz .LBB47_17
; %bb.16:                               ;   in Loop: Header=BB47_3 Depth=1
	s_ashr_i32 s74, s31, 31
	v_dual_mov_b32 v17, v16 :: v_dual_mov_b32 v33, v2
	s_mov_b32 s75, s74
	v_mov_b32_e32 v41, v2
	s_add_nc_u64 s[76:77], s[30:31], s[74:75]
	s_delay_alu instid0(VALU_DEP_2)
	v_add_nc_u64_e32 v[26:27], v[22:23], v[16:17]
	s_xor_b64 s[76:77], s[76:77], s[74:75]
	v_mov_b32_e32 v37, v2
	s_cvt_f32_u32 s0, s76
	s_cvt_f32_u32 s2, s77
	s_sub_nc_u64 s[82:83], 0, s[76:77]
	s_delay_alu instid0(VALU_DEP_2) | instskip(NEXT) | instid1(SALU_CYCLE_1)
	v_xor_b32_e32 v36, v27, v16
	s_fmamk_f32 s0, s2, 0x4f800000, s0
	v_xor_b32_e32 v32, v26, v16
	s_delay_alu instid0(SALU_CYCLE_2) | instskip(NEXT) | instid1(TRANS32_DEP_1)
	v_s_rcp_f32 s0, s0
	s_mul_f32 s0, s0, 0x5f7ffffc
	s_delay_alu instid0(SALU_CYCLE_3) | instskip(NEXT) | instid1(SALU_CYCLE_3)
	s_mul_f32 s2, s0, 0x2f800000
	s_trunc_f32 s2, s2
	s_delay_alu instid0(SALU_CYCLE_3) | instskip(SKIP_1) | instid1(SALU_CYCLE_2)
	s_fmamk_f32 s0, s2, 0xcf800000, s0
	s_cvt_u32_f32 s81, s2
	s_cvt_u32_f32 s80, s0
	s_delay_alu instid0(SALU_CYCLE_3) | instskip(NEXT) | instid1(SALU_CYCLE_1)
	s_mul_u64 s[84:85], s[82:83], s[80:81]
	s_mul_hi_u32 s87, s80, s85
	s_mul_i32 s86, s80, s85
	s_mul_hi_u32 s2, s80, s84
	s_mul_i32 s75, s81, s84
	s_add_nc_u64 s[86:87], s[2:3], s[86:87]
	s_mul_hi_u32 s0, s81, s84
	s_mul_hi_u32 s79, s81, s85
	s_add_co_u32 s2, s86, s75
	s_add_co_ci_u32 s2, s87, s0
	s_mul_i32 s84, s81, s85
	s_add_co_ci_u32 s85, s79, 0
	s_delay_alu instid0(SALU_CYCLE_1) | instskip(NEXT) | instid1(SALU_CYCLE_1)
	s_add_nc_u64 s[84:85], s[2:3], s[84:85]
	s_add_co_u32 s80, s80, s84
	s_cselect_b32 s0, -1, 0
	s_delay_alu instid0(SALU_CYCLE_1) | instskip(SKIP_1) | instid1(SALU_CYCLE_1)
	s_cmp_lg_u32 s0, 0
	s_add_co_ci_u32 s81, s81, s85
	s_mul_u64 s[82:83], s[82:83], s[80:81]
	s_delay_alu instid0(SALU_CYCLE_1)
	s_mul_hi_u32 s85, s80, s83
	s_mul_i32 s84, s80, s83
	s_mul_hi_u32 s2, s80, s82
	s_mul_i32 s75, s81, s82
	s_add_nc_u64 s[84:85], s[2:3], s[84:85]
	s_mul_hi_u32 s0, s81, s82
	s_mul_hi_u32 s79, s81, s83
	s_add_co_u32 s2, s84, s75
	s_add_co_ci_u32 s2, s85, s0
	s_mul_i32 s82, s81, s83
	s_add_co_ci_u32 s83, s79, 0
	s_delay_alu instid0(SALU_CYCLE_1) | instskip(NEXT) | instid1(SALU_CYCLE_1)
	s_add_nc_u64 s[82:83], s[2:3], s[82:83]
	s_add_co_u32 s0, s80, s82
	s_cselect_b32 s2, -1, 0
	v_nop
	v_mul_hi_u32 v40, v32, s0
	s_cmp_lg_u32 s2, 0
	s_add_co_ci_u32 s2, s81, s83
	s_and_b64 s[80:81], s[0:1], s[68:69]
	v_mul_u64_e32 v[34:35], s[2:3], v[32:33]
	v_mul_u64_e32 v[26:27], s[80:81], v[36:37]
	;; [unrolled: 1-line block ×3, first 2 shown]
	s_delay_alu instid0(VALU_DEP_3) | instskip(NEXT) | instid1(VALU_DEP_1)
	v_add_nc_u64_e32 v[34:35], v[40:41], v[34:35]
	v_add_co_u32 v3, vcc_lo, v34, v26
	s_delay_alu instid0(VALU_DEP_2) | instskip(NEXT) | instid1(VALU_DEP_4)
	v_add_co_ci_u32_e32 v40, vcc_lo, v35, v27, vcc_lo
	v_add_co_ci_u32_e32 v39, vcc_lo, 0, v39, vcc_lo
	s_delay_alu instid0(VALU_DEP_1) | instskip(NEXT) | instid1(VALU_DEP_1)
	v_add_nc_u64_e32 v[26:27], v[40:41], v[38:39]
	v_mul_u64_e32 v[34:35], s[76:77], v[26:27]
	s_delay_alu instid0(VALU_DEP_1) | instskip(NEXT) | instid1(VALU_DEP_2)
	v_sub_nc_u32_e32 v3, v36, v35
	v_sub_co_u32 v7, vcc_lo, v32, v34
	s_delay_alu instid0(VALU_DEP_1) | instskip(NEXT) | instid1(VALU_DEP_3)
	v_sub_co_ci_u32_e64 v17, null, v36, v35, vcc_lo
	v_subrev_co_ci_u32_e64 v3, null, s77, v3, vcc_lo
	s_delay_alu instid0(VALU_DEP_3) | instskip(SKIP_1) | instid1(VALU_DEP_3)
	v_sub_co_u32 v15, s0, v7, s76
	v_add_nc_u64_e32 v[32:33], 2, v[26:27]
	v_subrev_co_ci_u32_e64 v3, null, 0, v3, s0
	s_delay_alu instid0(VALU_DEP_3) | instskip(SKIP_2) | instid1(VALU_DEP_4)
	v_cmp_le_u32_e32 vcc_lo, s76, v15
	v_add_nc_u64_e32 v[34:35], 1, v[26:27]
	v_cndmask_b32_e64 v15, 0, -1, vcc_lo
	v_cmp_le_u32_e32 vcc_lo, s77, v3
	v_cndmask_b32_e64 v19, 0, -1, vcc_lo
	v_cmp_le_u32_e32 vcc_lo, s76, v7
	;; [unrolled: 2-line block ×3, first 2 shown]
	v_cndmask_b32_e64 v31, 0, -1, vcc_lo
	v_cmp_eq_u32_e32 vcc_lo, s77, v3
	v_cndmask_b32_e32 v3, v19, v15, vcc_lo
	v_cmp_eq_u32_e32 vcc_lo, s77, v17
	s_delay_alu instid0(VALU_DEP_4) | instskip(NEXT) | instid1(VALU_DEP_3)
	v_cndmask_b32_e32 v7, v31, v7, vcc_lo
	v_cmp_ne_u32_e32 vcc_lo, 0, v3
	s_delay_alu instid0(VALU_DEP_2) | instskip(SKIP_1) | instid1(VALU_DEP_1)
	v_cmp_ne_u32_e64 s0, 0, v7
	v_dual_cndmask_b32 v3, v35, v33, vcc_lo :: v_dual_cndmask_b32 v7, v34, v32, vcc_lo
	v_dual_cndmask_b32 v3, v27, v3, s0 :: v_dual_bitop2_b32 v32, s74, v16 bitop3:0x14
	s_delay_alu instid0(VALU_DEP_1) | instskip(NEXT) | instid1(VALU_DEP_2)
	v_dual_mov_b32 v33, v32 :: v_dual_cndmask_b32 v7, v26, v7, s0
	v_xor_b32_e32 v27, v3, v32
	s_delay_alu instid0(VALU_DEP_2) | instskip(NEXT) | instid1(VALU_DEP_1)
	v_xor_b32_e32 v26, v7, v32
                                        ; implicit-def: $vgpr7
	v_sub_nc_u64_e32 v[26:27], v[26:27], v[32:33]
.LBB47_17:                              ;   in Loop: Header=BB47_3 Depth=1
	s_and_not1_saveexec_b32 s0, s73
	s_cbranch_execz .LBB47_19
; %bb.18:                               ;   in Loop: Header=BB47_3 Depth=1
	v_rcp_iflag_f32_e32 v3, v7
	s_sub_co_i32 s2, 0, s30
	v_mov_b32_e32 v27, v2
	s_delay_alu instid0(TRANS32_DEP_1) | instskip(NEXT) | instid1(VALU_DEP_1)
	v_mul_f32_e32 v3, 0x4f7ffffe, v3
	v_cvt_u32_f32_e32 v3, v3
	s_delay_alu instid0(VALU_DEP_1) | instskip(NEXT) | instid1(VALU_DEP_1)
	v_mul_lo_u32 v7, s2, v3
	v_mul_hi_u32 v7, v3, v7
	s_delay_alu instid0(VALU_DEP_1) | instskip(NEXT) | instid1(VALU_DEP_1)
	v_add_nc_u32_e32 v3, v3, v7
	v_mul_hi_u32 v3, v22, v3
	s_delay_alu instid0(VALU_DEP_1) | instskip(NEXT) | instid1(VALU_DEP_1)
	v_mul_lo_u32 v7, v3, s30
	v_sub_nc_u32_e32 v7, v22, v7
	s_delay_alu instid0(VALU_DEP_1) | instskip(SKIP_1) | instid1(VALU_DEP_2)
	v_subrev_nc_u32_e32 v17, s30, v7
	v_cmp_le_u32_e32 vcc_lo, s30, v7
	v_dual_add_nc_u32 v15, 1, v3 :: v_dual_cndmask_b32 v7, v7, v17, vcc_lo
	s_delay_alu instid0(VALU_DEP_1) | instskip(NEXT) | instid1(VALU_DEP_2)
	v_cndmask_b32_e32 v3, v3, v15, vcc_lo
	v_cmp_le_u32_e32 vcc_lo, s30, v7
	s_delay_alu instid0(VALU_DEP_2) | instskip(NEXT) | instid1(VALU_DEP_1)
	v_add_nc_u32_e32 v15, 1, v3
	v_cndmask_b32_e32 v26, v3, v15, vcc_lo
.LBB47_19:                              ;   in Loop: Header=BB47_3 Depth=1
	s_or_b32 exec_lo, exec_lo, s0
	s_delay_alu instid0(VALU_DEP_1) | instskip(SKIP_3) | instid1(VALU_DEP_3)
	v_mul_u64_e32 v[32:33], s[30:31], v[26:27]
	v_mul_u64_e32 v[26:27], s[8:9], v[26:27]
	v_or_b32_e32 v3, s39, v21
	s_mov_b32 s0, exec_lo
	v_sub_nc_u64_e32 v[32:33], v[12:13], v[32:33]
	s_delay_alu instid0(VALU_DEP_3) | instskip(NEXT) | instid1(VALU_DEP_2)
	v_lshl_add_u64 v[26:27], v[26:27], 1, s[28:29]
	v_add_nc_u64_e32 v[32:33], v[0:1], v[32:33]
	s_delay_alu instid0(VALU_DEP_1) | instskip(NEXT) | instid1(VALU_DEP_1)
	v_mul_u64_e32 v[32:33], s[10:11], v[32:33]
	v_lshl_add_u64 v[26:27], v[32:33], 1, v[26:27]
	global_load_u16 v31, v[26:27], off
                                        ; implicit-def: $vgpr26_vgpr27
	s_wait_xcnt 0x0
	v_cmpx_ne_u64_e32 0, v[2:3]
	s_xor_b32 s73, exec_lo, s0
	s_cbranch_execz .LBB47_21
; %bb.20:                               ;   in Loop: Header=BB47_3 Depth=1
	s_ashr_i32 s74, s39, 31
	v_dual_mov_b32 v15, v14 :: v_dual_mov_b32 v27, v2
	s_mov_b32 s75, s74
	v_mov_b32_e32 v35, v2
	s_add_nc_u64 s[76:77], s[38:39], s[74:75]
	s_delay_alu instid0(VALU_DEP_2)
	v_add_nc_u64_e32 v[20:21], v[20:21], v[14:15]
	s_xor_b64 s[76:77], s[76:77], s[74:75]
	v_mov_b32_e32 v39, v2
	s_cvt_f32_u32 s0, s76
	s_cvt_f32_u32 s2, s77
	s_sub_nc_u64 s[82:83], 0, s[76:77]
	s_delay_alu instid0(VALU_DEP_2) | instskip(NEXT) | instid1(SALU_CYCLE_1)
	v_xor_b32_e32 v26, v20, v14
	s_fmamk_f32 s0, s2, 0x4f800000, s0
	v_xor_b32_e32 v34, v21, v14
	v_xor_b32_e32 v14, s74, v14
	s_delay_alu instid0(SALU_CYCLE_1) | instskip(NEXT) | instid1(TRANS32_DEP_1)
	v_s_rcp_f32 s0, s0
	s_mul_f32 s0, s0, 0x5f7ffffc
	s_delay_alu instid0(SALU_CYCLE_3) | instskip(NEXT) | instid1(SALU_CYCLE_3)
	s_mul_f32 s2, s0, 0x2f800000
	s_trunc_f32 s2, s2
	s_delay_alu instid0(SALU_CYCLE_3) | instskip(SKIP_1) | instid1(SALU_CYCLE_2)
	s_fmamk_f32 s0, s2, 0xcf800000, s0
	s_cvt_u32_f32 s81, s2
	s_cvt_u32_f32 s80, s0
	s_delay_alu instid0(SALU_CYCLE_3) | instskip(NEXT) | instid1(SALU_CYCLE_1)
	s_mul_u64 s[84:85], s[82:83], s[80:81]
	s_mul_hi_u32 s87, s80, s85
	s_mul_i32 s86, s80, s85
	s_mul_hi_u32 s2, s80, s84
	s_mul_i32 s75, s81, s84
	s_add_nc_u64 s[86:87], s[2:3], s[86:87]
	s_mul_hi_u32 s0, s81, s84
	s_mul_hi_u32 s79, s81, s85
	s_add_co_u32 s2, s86, s75
	s_add_co_ci_u32 s2, s87, s0
	s_mul_i32 s84, s81, s85
	s_add_co_ci_u32 s85, s79, 0
	s_delay_alu instid0(SALU_CYCLE_1) | instskip(NEXT) | instid1(SALU_CYCLE_1)
	s_add_nc_u64 s[84:85], s[2:3], s[84:85]
	s_add_co_u32 s80, s80, s84
	s_cselect_b32 s0, -1, 0
	s_delay_alu instid0(SALU_CYCLE_1) | instskip(SKIP_1) | instid1(SALU_CYCLE_1)
	s_cmp_lg_u32 s0, 0
	s_add_co_ci_u32 s81, s81, s85
	s_mul_u64 s[82:83], s[82:83], s[80:81]
	s_delay_alu instid0(SALU_CYCLE_1)
	s_mul_hi_u32 s85, s80, s83
	s_mul_i32 s84, s80, s83
	s_mul_hi_u32 s2, s80, s82
	s_mul_i32 s75, s81, s82
	s_add_nc_u64 s[84:85], s[2:3], s[84:85]
	s_mul_hi_u32 s0, s81, s82
	s_mul_hi_u32 s79, s81, s83
	s_add_co_u32 s2, s84, s75
	s_add_co_ci_u32 s2, s85, s0
	s_mul_i32 s82, s81, s83
	s_add_co_ci_u32 s83, s79, 0
	s_delay_alu instid0(SALU_CYCLE_1) | instskip(NEXT) | instid1(SALU_CYCLE_1)
	s_add_nc_u64 s[82:83], s[2:3], s[82:83]
	s_add_co_u32 s0, s80, s82
	s_cselect_b32 s2, -1, 0
	v_nop
	v_mul_hi_u32 v38, v26, s0
	s_cmp_lg_u32 s2, 0
	s_add_co_ci_u32 s2, s81, s83
	s_and_b64 s[80:81], s[0:1], s[68:69]
	v_mul_u64_e32 v[32:33], s[2:3], v[26:27]
	v_mul_u64_e32 v[20:21], s[80:81], v[34:35]
	;; [unrolled: 1-line block ×3, first 2 shown]
	s_delay_alu instid0(VALU_DEP_3) | instskip(NEXT) | instid1(VALU_DEP_1)
	v_add_nc_u64_e32 v[32:33], v[38:39], v[32:33]
	v_add_co_u32 v3, vcc_lo, v32, v20
	s_delay_alu instid0(VALU_DEP_2) | instskip(NEXT) | instid1(VALU_DEP_4)
	v_add_co_ci_u32_e32 v38, vcc_lo, v33, v21, vcc_lo
	v_add_co_ci_u32_e32 v37, vcc_lo, 0, v37, vcc_lo
	s_delay_alu instid0(VALU_DEP_1) | instskip(NEXT) | instid1(VALU_DEP_1)
	v_add_nc_u64_e32 v[20:21], v[38:39], v[36:37]
	v_mul_u64_e32 v[32:33], s[76:77], v[20:21]
	s_delay_alu instid0(VALU_DEP_1) | instskip(NEXT) | instid1(VALU_DEP_2)
	v_sub_nc_u32_e32 v3, v34, v33
	v_sub_co_u32 v7, vcc_lo, v26, v32
	s_delay_alu instid0(VALU_DEP_1) | instskip(NEXT) | instid1(VALU_DEP_3)
	v_sub_co_ci_u32_e64 v17, null, v34, v33, vcc_lo
	v_subrev_co_ci_u32_e64 v3, null, s77, v3, vcc_lo
	s_delay_alu instid0(VALU_DEP_3) | instskip(SKIP_1) | instid1(VALU_DEP_3)
	v_sub_co_u32 v15, s0, v7, s76
	v_add_nc_u64_e32 v[26:27], 2, v[20:21]
	v_subrev_co_ci_u32_e64 v3, null, 0, v3, s0
	s_delay_alu instid0(VALU_DEP_3) | instskip(SKIP_2) | instid1(VALU_DEP_4)
	v_cmp_le_u32_e32 vcc_lo, s76, v15
	v_add_nc_u64_e32 v[32:33], 1, v[20:21]
	v_cndmask_b32_e64 v15, 0, -1, vcc_lo
	v_cmp_le_u32_e32 vcc_lo, s77, v3
	v_cndmask_b32_e64 v19, 0, -1, vcc_lo
	v_cmp_le_u32_e32 vcc_lo, s76, v7
	;; [unrolled: 2-line block ×3, first 2 shown]
	v_cndmask_b32_e64 v34, 0, -1, vcc_lo
	v_cmp_eq_u32_e32 vcc_lo, s77, v3
	v_cndmask_b32_e32 v3, v19, v15, vcc_lo
	v_cmp_eq_u32_e32 vcc_lo, s77, v17
	v_mov_b32_e32 v15, v14
	v_cndmask_b32_e32 v7, v34, v7, vcc_lo
	s_delay_alu instid0(VALU_DEP_4) | instskip(NEXT) | instid1(VALU_DEP_2)
	v_cmp_ne_u32_e32 vcc_lo, 0, v3
	v_cmp_ne_u32_e64 s0, 0, v7
	v_dual_cndmask_b32 v3, v33, v27, vcc_lo :: v_dual_cndmask_b32 v7, v32, v26, vcc_lo
	s_delay_alu instid0(VALU_DEP_1) | instskip(NEXT) | instid1(VALU_DEP_1)
	v_cndmask_b32_e64 v3, v21, v3, s0
	v_dual_cndmask_b32 v7, v20, v7, s0 :: v_dual_bitop2_b32 v21, v3, v14 bitop3:0x14
	s_delay_alu instid0(VALU_DEP_1) | instskip(NEXT) | instid1(VALU_DEP_1)
	v_xor_b32_e32 v20, v7, v14
	v_sub_nc_u64_e32 v[26:27], v[20:21], v[14:15]
                                        ; implicit-def: $vgpr20_vgpr21
.LBB47_21:                              ;   in Loop: Header=BB47_3 Depth=1
	s_or_saveexec_b32 s0, s73
	v_cvt_f32_u32_e32 v7, s38
	s_xor_b32 exec_lo, exec_lo, s0
	s_cbranch_execz .LBB47_23
; %bb.22:                               ;   in Loop: Header=BB47_3 Depth=1
	s_delay_alu instid0(VALU_DEP_1) | instskip(SKIP_2) | instid1(TRANS32_DEP_1)
	v_rcp_iflag_f32_e32 v3, v7
	s_sub_co_i32 s2, 0, s38
	v_mov_b32_e32 v27, v2
	v_mul_f32_e32 v3, 0x4f7ffffe, v3
	s_delay_alu instid0(VALU_DEP_1) | instskip(NEXT) | instid1(VALU_DEP_1)
	v_cvt_u32_f32_e32 v3, v3
	v_mul_lo_u32 v14, s2, v3
	s_delay_alu instid0(VALU_DEP_1) | instskip(NEXT) | instid1(VALU_DEP_1)
	v_mul_hi_u32 v14, v3, v14
	v_add_nc_u32_e32 v3, v3, v14
	s_delay_alu instid0(VALU_DEP_1) | instskip(NEXT) | instid1(VALU_DEP_1)
	v_mul_hi_u32 v3, v20, v3
	v_mul_lo_u32 v14, v3, s38
	s_delay_alu instid0(VALU_DEP_1) | instskip(NEXT) | instid1(VALU_DEP_1)
	v_dual_add_nc_u32 v15, 1, v3 :: v_dual_sub_nc_u32 v14, v20, v14
	v_subrev_nc_u32_e32 v17, s38, v14
	v_cmp_le_u32_e32 vcc_lo, s38, v14
	s_delay_alu instid0(VALU_DEP_2) | instskip(NEXT) | instid1(VALU_DEP_1)
	v_dual_cndmask_b32 v14, v14, v17 :: v_dual_cndmask_b32 v3, v3, v15
	v_cmp_le_u32_e32 vcc_lo, s38, v14
	s_delay_alu instid0(VALU_DEP_2) | instskip(NEXT) | instid1(VALU_DEP_1)
	v_add_nc_u32_e32 v15, 1, v3
	v_cndmask_b32_e32 v26, v3, v15, vcc_lo
.LBB47_23:                              ;   in Loop: Header=BB47_3 Depth=1
	s_or_b32 exec_lo, exec_lo, s0
	s_delay_alu instid0(VALU_DEP_1) | instskip(SKIP_2) | instid1(VALU_DEP_2)
	v_mul_u64_e32 v[14:15], s[38:39], v[26:27]
	v_or_b32_e32 v3, s39, v25
	s_mov_b32 s0, exec_lo
	v_sub_nc_u64_e32 v[8:9], v[8:9], v[14:15]
	v_mul_u64_e32 v[14:15], s[12:13], v[26:27]
	s_delay_alu instid0(VALU_DEP_2) | instskip(NEXT) | instid1(VALU_DEP_1)
	v_add_nc_u64_e32 v[8:9], v[0:1], v[8:9]
	v_mul_u64_e32 v[8:9], s[14:15], v[8:9]
	s_delay_alu instid0(VALU_DEP_3) | instskip(NEXT) | instid1(VALU_DEP_1)
	v_lshl_add_u64 v[14:15], v[14:15], 1, s[36:37]
	v_lshl_add_u64 v[8:9], v[8:9], 1, v[14:15]
	global_load_u16 v15, v[8:9], off
                                        ; implicit-def: $vgpr8_vgpr9
	s_wait_xcnt 0x0
	v_cmpx_ne_u64_e32 0, v[2:3]
	s_xor_b32 s73, exec_lo, s0
	s_cbranch_execz .LBB47_25
; %bb.24:                               ;   in Loop: Header=BB47_3 Depth=1
	s_ashr_i32 s74, s39, 31
	v_dual_mov_b32 v19, v18 :: v_dual_mov_b32 v21, v2
	s_mov_b32 s75, s74
	v_mov_b32_e32 v27, v2
	s_add_nc_u64 s[76:77], s[38:39], s[74:75]
	s_delay_alu instid0(VALU_DEP_2)
	v_add_nc_u64_e32 v[8:9], v[24:25], v[18:19]
	s_xor_b64 s[76:77], s[76:77], s[74:75]
	v_mov_b32_e32 v35, v2
	s_cvt_f32_u32 s0, s76
	s_cvt_f32_u32 s2, s77
	s_sub_nc_u64 s[82:83], 0, s[76:77]
	s_delay_alu instid0(VALU_DEP_2) | instskip(NEXT) | instid1(SALU_CYCLE_1)
	v_xor_b32_e32 v20, v8, v18
	s_fmamk_f32 s0, s2, 0x4f800000, s0
	v_xor_b32_e32 v26, v9, v18
	v_xor_b32_e32 v18, s74, v18
	s_delay_alu instid0(SALU_CYCLE_1) | instskip(NEXT) | instid1(TRANS32_DEP_1)
	v_s_rcp_f32 s0, s0
	s_mul_f32 s0, s0, 0x5f7ffffc
	s_delay_alu instid0(SALU_CYCLE_3) | instskip(NEXT) | instid1(SALU_CYCLE_3)
	s_mul_f32 s2, s0, 0x2f800000
	s_trunc_f32 s2, s2
	s_delay_alu instid0(SALU_CYCLE_3) | instskip(SKIP_1) | instid1(SALU_CYCLE_2)
	s_fmamk_f32 s0, s2, 0xcf800000, s0
	s_cvt_u32_f32 s81, s2
	s_cvt_u32_f32 s80, s0
	s_delay_alu instid0(SALU_CYCLE_3) | instskip(NEXT) | instid1(SALU_CYCLE_1)
	s_mul_u64 s[84:85], s[82:83], s[80:81]
	s_mul_hi_u32 s87, s80, s85
	s_mul_i32 s86, s80, s85
	s_mul_hi_u32 s2, s80, s84
	s_mul_i32 s75, s81, s84
	s_add_nc_u64 s[86:87], s[2:3], s[86:87]
	s_mul_hi_u32 s0, s81, s84
	s_mul_hi_u32 s79, s81, s85
	s_add_co_u32 s2, s86, s75
	s_add_co_ci_u32 s2, s87, s0
	s_mul_i32 s84, s81, s85
	s_add_co_ci_u32 s85, s79, 0
	s_delay_alu instid0(SALU_CYCLE_1) | instskip(NEXT) | instid1(SALU_CYCLE_1)
	s_add_nc_u64 s[84:85], s[2:3], s[84:85]
	s_add_co_u32 s80, s80, s84
	s_cselect_b32 s0, -1, 0
	s_delay_alu instid0(SALU_CYCLE_1) | instskip(SKIP_1) | instid1(SALU_CYCLE_1)
	s_cmp_lg_u32 s0, 0
	s_add_co_ci_u32 s81, s81, s85
	s_mul_u64 s[82:83], s[82:83], s[80:81]
	s_delay_alu instid0(SALU_CYCLE_1)
	s_mul_hi_u32 s85, s80, s83
	s_mul_i32 s84, s80, s83
	s_mul_hi_u32 s2, s80, s82
	s_mul_i32 s75, s81, s82
	s_add_nc_u64 s[84:85], s[2:3], s[84:85]
	s_mul_hi_u32 s0, s81, s82
	s_mul_hi_u32 s79, s81, s83
	s_add_co_u32 s2, s84, s75
	s_add_co_ci_u32 s2, s85, s0
	s_mul_i32 s82, s81, s83
	s_add_co_ci_u32 s83, s79, 0
	s_delay_alu instid0(SALU_CYCLE_1) | instskip(NEXT) | instid1(SALU_CYCLE_1)
	s_add_nc_u64 s[82:83], s[2:3], s[82:83]
	s_add_co_u32 s0, s80, s82
	s_cselect_b32 s2, -1, 0
	v_nop
	v_mul_hi_u32 v34, v20, s0
	s_cmp_lg_u32 s2, 0
	s_add_co_ci_u32 s2, s81, s83
	s_and_b64 s[80:81], s[0:1], s[68:69]
	v_mul_u64_e32 v[24:25], s[2:3], v[20:21]
	v_mul_u64_e32 v[8:9], s[80:81], v[26:27]
	;; [unrolled: 1-line block ×3, first 2 shown]
	s_delay_alu instid0(VALU_DEP_3) | instskip(NEXT) | instid1(VALU_DEP_1)
	v_add_nc_u64_e32 v[24:25], v[34:35], v[24:25]
	v_add_co_u32 v3, vcc_lo, v24, v8
	s_delay_alu instid0(VALU_DEP_2) | instskip(NEXT) | instid1(VALU_DEP_4)
	v_add_co_ci_u32_e32 v34, vcc_lo, v25, v9, vcc_lo
	v_add_co_ci_u32_e32 v33, vcc_lo, 0, v33, vcc_lo
	s_delay_alu instid0(VALU_DEP_1) | instskip(NEXT) | instid1(VALU_DEP_1)
	v_add_nc_u64_e32 v[8:9], v[34:35], v[32:33]
	v_mul_u64_e32 v[24:25], s[76:77], v[8:9]
	s_delay_alu instid0(VALU_DEP_1) | instskip(NEXT) | instid1(VALU_DEP_2)
	v_sub_nc_u32_e32 v3, v26, v25
	v_sub_co_u32 v14, vcc_lo, v20, v24
	s_delay_alu instid0(VALU_DEP_1) | instskip(NEXT) | instid1(VALU_DEP_3)
	v_sub_co_ci_u32_e64 v19, null, v26, v25, vcc_lo
	v_subrev_co_ci_u32_e64 v3, null, s77, v3, vcc_lo
	s_delay_alu instid0(VALU_DEP_3) | instskip(SKIP_1) | instid1(VALU_DEP_3)
	v_sub_co_u32 v17, s0, v14, s76
	v_add_nc_u64_e32 v[24:25], 1, v[8:9]
	v_subrev_co_ci_u32_e64 v3, null, 0, v3, s0
	s_delay_alu instid0(VALU_DEP_3) | instskip(SKIP_1) | instid1(VALU_DEP_3)
	v_cmp_le_u32_e32 vcc_lo, s76, v17
	v_cndmask_b32_e64 v17, 0, -1, vcc_lo
	v_cmp_le_u32_e32 vcc_lo, s77, v3
	v_cndmask_b32_e64 v20, 0, -1, vcc_lo
	;; [unrolled: 2-line block ×4, first 2 shown]
	v_cmp_eq_u32_e32 vcc_lo, s77, v3
	v_cndmask_b32_e32 v3, v20, v17, vcc_lo
	v_cmp_eq_u32_e32 vcc_lo, s77, v19
	v_add_nc_u64_e32 v[20:21], 2, v[8:9]
	v_cndmask_b32_e32 v14, v26, v14, vcc_lo
	s_delay_alu instid0(VALU_DEP_4) | instskip(NEXT) | instid1(VALU_DEP_2)
	v_cmp_ne_u32_e32 vcc_lo, 0, v3
	v_cmp_ne_u32_e64 s0, 0, v14
	s_delay_alu instid0(VALU_DEP_4) | instskip(NEXT) | instid1(VALU_DEP_1)
	v_dual_cndmask_b32 v3, v25, v21 :: v_dual_cndmask_b32 v14, v24, v20
                                        ; implicit-def: $vgpr24_vgpr25
	v_dual_cndmask_b32 v3, v9, v3, s0 :: v_dual_cndmask_b32 v8, v8, v14, s0
	s_delay_alu instid0(VALU_DEP_1) | instskip(NEXT) | instid1(VALU_DEP_2)
	v_dual_mov_b32 v19, v18 :: v_dual_bitop2_b32 v9, v3, v18 bitop3:0x14
	v_xor_b32_e32 v8, v8, v18
	s_delay_alu instid0(VALU_DEP_1)
	v_sub_nc_u64_e32 v[8:9], v[8:9], v[18:19]
.LBB47_25:                              ;   in Loop: Header=BB47_3 Depth=1
	s_and_not1_saveexec_b32 s0, s73
	s_cbranch_execz .LBB47_27
; %bb.26:                               ;   in Loop: Header=BB47_3 Depth=1
	v_rcp_iflag_f32_e32 v3, v7
	s_sub_co_i32 s2, 0, s38
	v_nop
	s_delay_alu instid0(TRANS32_DEP_1) | instskip(NEXT) | instid1(VALU_DEP_1)
	v_mul_f32_e32 v3, 0x4f7ffffe, v3
	v_cvt_u32_f32_e32 v3, v3
	s_delay_alu instid0(VALU_DEP_1) | instskip(NEXT) | instid1(VALU_DEP_1)
	v_mul_lo_u32 v8, s2, v3
	v_mul_hi_u32 v8, v3, v8
	s_delay_alu instid0(VALU_DEP_1) | instskip(NEXT) | instid1(VALU_DEP_1)
	v_add_nc_u32_e32 v3, v3, v8
	v_mul_hi_u32 v3, v24, v3
	s_delay_alu instid0(VALU_DEP_1) | instskip(NEXT) | instid1(VALU_DEP_1)
	v_mul_lo_u32 v8, v3, s38
	v_dual_add_nc_u32 v9, 1, v3 :: v_dual_sub_nc_u32 v8, v24, v8
	s_delay_alu instid0(VALU_DEP_1) | instskip(SKIP_1) | instid1(VALU_DEP_2)
	v_subrev_nc_u32_e32 v14, s38, v8
	v_cmp_le_u32_e32 vcc_lo, s38, v8
	v_dual_cndmask_b32 v8, v8, v14 :: v_dual_cndmask_b32 v3, v3, v9
	s_delay_alu instid0(VALU_DEP_1) | instskip(NEXT) | instid1(VALU_DEP_2)
	v_cmp_le_u32_e32 vcc_lo, s38, v8
	v_add_nc_u32_e32 v9, 1, v3
	s_delay_alu instid0(VALU_DEP_1)
	v_dual_cndmask_b32 v8, v3, v9 :: v_dual_mov_b32 v9, v2
.LBB47_27:                              ;   in Loop: Header=BB47_3 Depth=1
	s_or_b32 exec_lo, exec_lo, s0
	s_delay_alu instid0(VALU_DEP_1) | instskip(SKIP_3) | instid1(VALU_DEP_3)
	v_mul_u64_e32 v[18:19], s[38:39], v[8:9]
	v_mul_u64_e32 v[8:9], s[12:13], v[8:9]
	v_or_b32_e32 v3, s39, v23
	s_mov_b32 s0, exec_lo
	v_sub_nc_u64_e32 v[10:11], v[10:11], v[18:19]
	s_delay_alu instid0(VALU_DEP_3) | instskip(NEXT) | instid1(VALU_DEP_2)
	v_lshl_add_u64 v[8:9], v[8:9], 1, s[36:37]
	v_add_nc_u64_e32 v[10:11], v[0:1], v[10:11]
	s_delay_alu instid0(VALU_DEP_1) | instskip(NEXT) | instid1(VALU_DEP_1)
	v_mul_u64_e32 v[10:11], s[14:15], v[10:11]
	v_lshl_add_u64 v[8:9], v[10:11], 1, v[8:9]
	global_load_u16 v10, v[8:9], off
                                        ; implicit-def: $vgpr8_vgpr9
	s_wait_xcnt 0x0
	v_cmpx_ne_u64_e32 0, v[2:3]
	s_xor_b32 s73, exec_lo, s0
	s_cbranch_execz .LBB47_29
; %bb.28:                               ;   in Loop: Header=BB47_3 Depth=1
	s_ashr_i32 s74, s39, 31
	v_dual_mov_b32 v17, v16 :: v_dual_mov_b32 v19, v2
	s_mov_b32 s75, s74
	v_mov_b32_e32 v27, v2
	s_add_nc_u64 s[76:77], s[38:39], s[74:75]
	s_delay_alu instid0(VALU_DEP_2)
	v_add_nc_u64_e32 v[8:9], v[22:23], v[16:17]
	s_xor_b64 s[76:77], s[76:77], s[74:75]
	v_mov_b32_e32 v23, v2
	s_cvt_f32_u32 s0, s76
	s_cvt_f32_u32 s2, s77
	s_sub_nc_u64 s[82:83], 0, s[76:77]
	s_delay_alu instid0(VALU_DEP_2) | instskip(NEXT) | instid1(SALU_CYCLE_1)
	v_xor_b32_e32 v18, v8, v16
	s_fmamk_f32 s0, s2, 0x4f800000, s0
	v_xor_b32_e32 v22, v9, v16
	v_xor_b32_e32 v16, s74, v16
	s_delay_alu instid0(SALU_CYCLE_1) | instskip(NEXT) | instid1(TRANS32_DEP_1)
	v_s_rcp_f32 s0, s0
	s_mul_f32 s0, s0, 0x5f7ffffc
	s_delay_alu instid0(SALU_CYCLE_3) | instskip(NEXT) | instid1(SALU_CYCLE_3)
	s_mul_f32 s2, s0, 0x2f800000
	s_trunc_f32 s2, s2
	s_delay_alu instid0(SALU_CYCLE_3) | instskip(SKIP_1) | instid1(SALU_CYCLE_2)
	s_fmamk_f32 s0, s2, 0xcf800000, s0
	s_cvt_u32_f32 s81, s2
	s_cvt_u32_f32 s80, s0
	s_delay_alu instid0(SALU_CYCLE_3) | instskip(NEXT) | instid1(SALU_CYCLE_1)
	s_mul_u64 s[84:85], s[82:83], s[80:81]
	s_mul_hi_u32 s87, s80, s85
	s_mul_i32 s86, s80, s85
	s_mul_hi_u32 s2, s80, s84
	s_mul_i32 s75, s81, s84
	s_add_nc_u64 s[86:87], s[2:3], s[86:87]
	s_mul_hi_u32 s0, s81, s84
	s_mul_hi_u32 s79, s81, s85
	s_add_co_u32 s2, s86, s75
	s_add_co_ci_u32 s2, s87, s0
	s_mul_i32 s84, s81, s85
	s_add_co_ci_u32 s85, s79, 0
	s_delay_alu instid0(SALU_CYCLE_1) | instskip(NEXT) | instid1(SALU_CYCLE_1)
	s_add_nc_u64 s[84:85], s[2:3], s[84:85]
	s_add_co_u32 s80, s80, s84
	s_cselect_b32 s0, -1, 0
	s_delay_alu instid0(SALU_CYCLE_1) | instskip(SKIP_1) | instid1(SALU_CYCLE_1)
	s_cmp_lg_u32 s0, 0
	s_add_co_ci_u32 s81, s81, s85
	s_mul_u64 s[82:83], s[82:83], s[80:81]
	s_delay_alu instid0(SALU_CYCLE_1)
	s_mul_hi_u32 s85, s80, s83
	s_mul_i32 s84, s80, s83
	s_mul_hi_u32 s2, s80, s82
	s_mul_i32 s75, s81, s82
	s_add_nc_u64 s[84:85], s[2:3], s[84:85]
	s_mul_hi_u32 s0, s81, s82
	s_mul_hi_u32 s79, s81, s83
	s_add_co_u32 s2, s84, s75
	s_add_co_ci_u32 s2, s85, s0
	s_mul_i32 s82, s81, s83
	s_add_co_ci_u32 s83, s79, 0
	s_delay_alu instid0(SALU_CYCLE_1) | instskip(NEXT) | instid1(SALU_CYCLE_1)
	s_add_nc_u64 s[82:83], s[2:3], s[82:83]
	s_add_co_u32 s0, s80, s82
	s_cselect_b32 s2, -1, 0
	v_nop
	v_mul_hi_u32 v26, v18, s0
	s_cmp_lg_u32 s2, 0
	s_add_co_ci_u32 s2, s81, s83
	s_and_b64 s[80:81], s[0:1], s[68:69]
	v_mul_u64_e32 v[20:21], s[2:3], v[18:19]
	v_mul_u64_e32 v[8:9], s[80:81], v[22:23]
	;; [unrolled: 1-line block ×3, first 2 shown]
	s_delay_alu instid0(VALU_DEP_3) | instskip(NEXT) | instid1(VALU_DEP_1)
	v_add_nc_u64_e32 v[20:21], v[26:27], v[20:21]
	v_add_co_u32 v3, vcc_lo, v20, v8
	s_delay_alu instid0(VALU_DEP_2) | instskip(NEXT) | instid1(VALU_DEP_4)
	v_add_co_ci_u32_e32 v26, vcc_lo, v21, v9, vcc_lo
	v_add_co_ci_u32_e32 v25, vcc_lo, 0, v25, vcc_lo
	s_delay_alu instid0(VALU_DEP_1) | instskip(NEXT) | instid1(VALU_DEP_1)
	v_add_nc_u64_e32 v[8:9], v[26:27], v[24:25]
	v_mul_u64_e32 v[20:21], s[76:77], v[8:9]
	s_delay_alu instid0(VALU_DEP_1) | instskip(NEXT) | instid1(VALU_DEP_2)
	v_sub_nc_u32_e32 v3, v22, v21
	v_sub_co_u32 v7, vcc_lo, v18, v20
	s_delay_alu instid0(VALU_DEP_1) | instskip(NEXT) | instid1(VALU_DEP_3)
	v_sub_co_ci_u32_e64 v14, null, v22, v21, vcc_lo
	v_subrev_co_ci_u32_e64 v3, null, s77, v3, vcc_lo
	s_delay_alu instid0(VALU_DEP_3) | instskip(SKIP_1) | instid1(VALU_DEP_3)
	v_sub_co_u32 v11, s0, v7, s76
	v_add_nc_u64_e32 v[18:19], 2, v[8:9]
	v_subrev_co_ci_u32_e64 v3, null, 0, v3, s0
	s_delay_alu instid0(VALU_DEP_3) | instskip(SKIP_2) | instid1(VALU_DEP_4)
	v_cmp_le_u32_e32 vcc_lo, s76, v11
	v_add_nc_u64_e32 v[20:21], 1, v[8:9]
	v_cndmask_b32_e64 v11, 0, -1, vcc_lo
	v_cmp_le_u32_e32 vcc_lo, s77, v3
	v_cndmask_b32_e64 v17, 0, -1, vcc_lo
	v_cmp_le_u32_e32 vcc_lo, s76, v7
	;; [unrolled: 2-line block ×3, first 2 shown]
	v_cndmask_b32_e64 v22, 0, -1, vcc_lo
	v_cmp_eq_u32_e32 vcc_lo, s77, v3
	v_cndmask_b32_e32 v3, v17, v11, vcc_lo
	v_cmp_eq_u32_e32 vcc_lo, s77, v14
	s_delay_alu instid0(VALU_DEP_4) | instskip(NEXT) | instid1(VALU_DEP_3)
	v_dual_mov_b32 v17, v16 :: v_dual_cndmask_b32 v7, v22, v7, vcc_lo
	v_cmp_ne_u32_e32 vcc_lo, 0, v3
                                        ; implicit-def: $vgpr22_vgpr23
	s_delay_alu instid0(VALU_DEP_2) | instskip(SKIP_1) | instid1(VALU_DEP_1)
	v_cmp_ne_u32_e64 s0, 0, v7
	v_dual_cndmask_b32 v3, v21, v19, vcc_lo :: v_dual_cndmask_b32 v7, v20, v18, vcc_lo
	v_cndmask_b32_e64 v3, v9, v3, s0
	s_delay_alu instid0(VALU_DEP_1) | instskip(NEXT) | instid1(VALU_DEP_1)
	v_dual_cndmask_b32 v7, v8, v7, s0 :: v_dual_bitop2_b32 v9, v3, v16 bitop3:0x14
	v_xor_b32_e32 v8, v7, v16
                                        ; implicit-def: $vgpr7
	s_delay_alu instid0(VALU_DEP_1)
	v_sub_nc_u64_e32 v[8:9], v[8:9], v[16:17]
.LBB47_29:                              ;   in Loop: Header=BB47_3 Depth=1
	s_and_not1_saveexec_b32 s0, s73
	s_cbranch_execz .LBB47_31
; %bb.30:                               ;   in Loop: Header=BB47_3 Depth=1
	v_rcp_iflag_f32_e32 v3, v7
	s_sub_co_i32 s2, 0, s38
	v_nop
	s_delay_alu instid0(TRANS32_DEP_1) | instskip(NEXT) | instid1(VALU_DEP_1)
	v_mul_f32_e32 v3, 0x4f7ffffe, v3
	v_cvt_u32_f32_e32 v3, v3
	s_delay_alu instid0(VALU_DEP_1) | instskip(NEXT) | instid1(VALU_DEP_1)
	v_mul_lo_u32 v7, s2, v3
	v_mul_hi_u32 v7, v3, v7
	s_delay_alu instid0(VALU_DEP_1) | instskip(NEXT) | instid1(VALU_DEP_1)
	v_add_nc_u32_e32 v3, v3, v7
	v_mul_hi_u32 v3, v22, v3
	s_delay_alu instid0(VALU_DEP_1) | instskip(NEXT) | instid1(VALU_DEP_1)
	v_mul_lo_u32 v7, v3, s38
	v_sub_nc_u32_e32 v7, v22, v7
	s_delay_alu instid0(VALU_DEP_1) | instskip(SKIP_1) | instid1(VALU_DEP_2)
	v_subrev_nc_u32_e32 v9, s38, v7
	v_cmp_le_u32_e32 vcc_lo, s38, v7
	v_dual_cndmask_b32 v7, v7, v9 :: v_dual_add_nc_u32 v8, 1, v3
	s_delay_alu instid0(VALU_DEP_1) | instskip(NEXT) | instid1(VALU_DEP_2)
	v_dual_cndmask_b32 v3, v3, v8, vcc_lo :: v_dual_mov_b32 v9, v2
	v_cmp_le_u32_e32 vcc_lo, s38, v7
	s_delay_alu instid0(VALU_DEP_2) | instskip(NEXT) | instid1(VALU_DEP_1)
	v_add_nc_u32_e32 v8, 1, v3
	v_cndmask_b32_e32 v8, v3, v8, vcc_lo
.LBB47_31:                              ;   in Loop: Header=BB47_3 Depth=1
	s_or_b32 exec_lo, exec_lo, s0
	s_delay_alu instid0(VALU_DEP_1) | instskip(SKIP_3) | instid1(VALU_DEP_3)
	v_mul_u64_e32 v[16:17], s[38:39], v[8:9]
	v_mul_u64_e32 v[8:9], s[12:13], v[8:9]
	v_or_b32_e32 v3, s43, v1
	s_mov_b32 s0, exec_lo
	v_sub_nc_u64_e32 v[12:13], v[12:13], v[16:17]
	s_delay_alu instid0(VALU_DEP_3) | instskip(NEXT) | instid1(VALU_DEP_2)
	v_lshl_add_u64 v[8:9], v[8:9], 1, s[36:37]
	v_add_nc_u64_e32 v[12:13], v[0:1], v[12:13]
	s_delay_alu instid0(VALU_DEP_1) | instskip(NEXT) | instid1(VALU_DEP_1)
	v_mul_u64_e32 v[12:13], s[14:15], v[12:13]
	v_lshl_add_u64 v[8:9], v[12:13], 1, v[8:9]
	global_load_u16 v11, v[8:9], off
                                        ; implicit-def: $vgpr8_vgpr9
	s_wait_xcnt 0x0
	v_cmpx_ne_u64_e32 0, v[2:3]
	s_xor_b32 s73, exec_lo, s0
	s_cbranch_execz .LBB47_33
; %bb.32:                               ;   in Loop: Header=BB47_3 Depth=1
	s_ashr_i32 s74, s43, 31
	v_dual_mov_b32 v7, v6 :: v_dual_mov_b32 v13, v2
	s_mov_b32 s75, s74
	v_mov_b32_e32 v19, v2
	s_add_nc_u64 s[76:77], s[42:43], s[74:75]
	s_delay_alu instid0(VALU_DEP_2)
	v_add_nc_u64_e32 v[8:9], v[0:1], v[6:7]
	s_xor_b64 s[76:77], s[76:77], s[74:75]
	v_mov_b32_e32 v23, v2
	s_cvt_f32_u32 s0, s76
	s_cvt_f32_u32 s2, s77
	s_sub_nc_u64 s[82:83], 0, s[76:77]
	s_delay_alu instid0(VALU_DEP_2) | instskip(NEXT) | instid1(SALU_CYCLE_1)
	v_xor_b32_e32 v12, v8, v6
	s_fmamk_f32 s0, s2, 0x4f800000, s0
	v_xor_b32_e32 v18, v9, v6
	s_delay_alu instid0(SALU_CYCLE_2) | instskip(NEXT) | instid1(TRANS32_DEP_1)
	v_s_rcp_f32 s0, s0
	s_mul_f32 s0, s0, 0x5f7ffffc
	s_delay_alu instid0(SALU_CYCLE_3) | instskip(NEXT) | instid1(SALU_CYCLE_3)
	s_mul_f32 s2, s0, 0x2f800000
	s_trunc_f32 s2, s2
	s_delay_alu instid0(SALU_CYCLE_3) | instskip(SKIP_1) | instid1(SALU_CYCLE_2)
	s_fmamk_f32 s0, s2, 0xcf800000, s0
	s_cvt_u32_f32 s81, s2
	s_cvt_u32_f32 s80, s0
	s_delay_alu instid0(SALU_CYCLE_3) | instskip(NEXT) | instid1(SALU_CYCLE_1)
	s_mul_u64 s[84:85], s[82:83], s[80:81]
	s_mul_hi_u32 s87, s80, s85
	s_mul_i32 s86, s80, s85
	s_mul_hi_u32 s2, s80, s84
	s_mul_i32 s75, s81, s84
	s_add_nc_u64 s[86:87], s[2:3], s[86:87]
	s_mul_hi_u32 s0, s81, s84
	s_mul_hi_u32 s79, s81, s85
	s_add_co_u32 s2, s86, s75
	s_add_co_ci_u32 s2, s87, s0
	s_mul_i32 s84, s81, s85
	s_add_co_ci_u32 s85, s79, 0
	s_delay_alu instid0(SALU_CYCLE_1) | instskip(NEXT) | instid1(SALU_CYCLE_1)
	s_add_nc_u64 s[84:85], s[2:3], s[84:85]
	s_add_co_u32 s80, s80, s84
	s_cselect_b32 s0, -1, 0
	s_delay_alu instid0(SALU_CYCLE_1) | instskip(SKIP_1) | instid1(SALU_CYCLE_1)
	s_cmp_lg_u32 s0, 0
	s_add_co_ci_u32 s81, s81, s85
	s_mul_u64 s[82:83], s[82:83], s[80:81]
	s_delay_alu instid0(SALU_CYCLE_1)
	s_mul_hi_u32 s85, s80, s83
	s_mul_i32 s84, s80, s83
	s_mul_hi_u32 s2, s80, s82
	s_mul_i32 s75, s81, s82
	s_add_nc_u64 s[84:85], s[2:3], s[84:85]
	s_mul_hi_u32 s0, s81, s82
	s_mul_hi_u32 s79, s81, s83
	s_add_co_u32 s2, s84, s75
	s_add_co_ci_u32 s2, s85, s0
	s_mul_i32 s82, s81, s83
	s_add_co_ci_u32 s83, s79, 0
	s_delay_alu instid0(SALU_CYCLE_1) | instskip(NEXT) | instid1(SALU_CYCLE_1)
	s_add_nc_u64 s[82:83], s[2:3], s[82:83]
	s_add_co_u32 s0, s80, s82
	s_cselect_b32 s2, -1, 0
	v_nop
	v_mul_hi_u32 v22, v12, s0
	s_cmp_lg_u32 s2, 0
	s_add_co_ci_u32 s2, s81, s83
	s_and_b64 s[80:81], s[0:1], s[68:69]
	v_mul_u64_e32 v[16:17], s[2:3], v[12:13]
	v_mul_u64_e32 v[8:9], s[80:81], v[18:19]
	;; [unrolled: 1-line block ×3, first 2 shown]
	s_delay_alu instid0(VALU_DEP_3) | instskip(NEXT) | instid1(VALU_DEP_1)
	v_add_nc_u64_e32 v[16:17], v[22:23], v[16:17]
	v_add_co_u32 v3, vcc_lo, v16, v8
	s_delay_alu instid0(VALU_DEP_2) | instskip(NEXT) | instid1(VALU_DEP_4)
	v_add_co_ci_u32_e32 v22, vcc_lo, v17, v9, vcc_lo
	v_add_co_ci_u32_e32 v21, vcc_lo, 0, v21, vcc_lo
	s_delay_alu instid0(VALU_DEP_1) | instskip(NEXT) | instid1(VALU_DEP_1)
	v_add_nc_u64_e32 v[8:9], v[22:23], v[20:21]
	v_mul_u64_e32 v[16:17], s[76:77], v[8:9]
	s_delay_alu instid0(VALU_DEP_1) | instskip(NEXT) | instid1(VALU_DEP_2)
	v_sub_nc_u32_e32 v3, v18, v17
	v_sub_co_u32 v7, vcc_lo, v12, v16
	s_delay_alu instid0(VALU_DEP_1) | instskip(NEXT) | instid1(VALU_DEP_3)
	v_sub_co_ci_u32_e64 v14, null, v18, v17, vcc_lo
	v_subrev_co_ci_u32_e64 v3, null, s77, v3, vcc_lo
	s_delay_alu instid0(VALU_DEP_3) | instskip(SKIP_1) | instid1(VALU_DEP_3)
	v_sub_co_u32 v12, s0, v7, s76
	v_add_nc_u64_e32 v[16:17], 1, v[8:9]
	v_subrev_co_ci_u32_e64 v3, null, 0, v3, s0
	s_delay_alu instid0(VALU_DEP_3) | instskip(SKIP_1) | instid1(VALU_DEP_3)
	v_cmp_le_u32_e32 vcc_lo, s76, v12
	v_cndmask_b32_e64 v12, 0, -1, vcc_lo
	v_cmp_le_u32_e32 vcc_lo, s77, v3
	v_cndmask_b32_e64 v13, 0, -1, vcc_lo
	;; [unrolled: 2-line block ×4, first 2 shown]
	v_cmp_eq_u32_e32 vcc_lo, s77, v3
	v_cndmask_b32_e32 v3, v13, v12, vcc_lo
	v_cmp_eq_u32_e32 vcc_lo, s77, v14
	v_add_nc_u64_e32 v[12:13], 2, v[8:9]
	v_cndmask_b32_e32 v7, v18, v7, vcc_lo
	s_delay_alu instid0(VALU_DEP_4) | instskip(NEXT) | instid1(VALU_DEP_2)
	v_cmp_ne_u32_e32 vcc_lo, 0, v3
	v_cmp_ne_u32_e64 s0, 0, v7
	s_delay_alu instid0(VALU_DEP_4) | instskip(NEXT) | instid1(VALU_DEP_1)
	v_dual_cndmask_b32 v3, v17, v13, vcc_lo :: v_dual_cndmask_b32 v7, v16, v12, vcc_lo
	v_dual_cndmask_b32 v3, v9, v3, s0 :: v_dual_bitop2_b32 v12, s74, v6 bitop3:0x14
	s_delay_alu instid0(VALU_DEP_1) | instskip(NEXT) | instid1(VALU_DEP_2)
	v_mov_b32_e32 v13, v12
	v_dual_cndmask_b32 v7, v8, v7, s0 :: v_dual_bitop2_b32 v9, v3, v12 bitop3:0x14
	s_delay_alu instid0(VALU_DEP_1) | instskip(NEXT) | instid1(VALU_DEP_1)
	v_xor_b32_e32 v8, v7, v12
	v_sub_nc_u64_e32 v[8:9], v[8:9], v[12:13]
.LBB47_33:                              ;   in Loop: Header=BB47_3 Depth=1
	s_and_not1_saveexec_b32 s0, s73
	s_cbranch_execz .LBB47_35
; %bb.34:                               ;   in Loop: Header=BB47_3 Depth=1
	v_cvt_f32_u32_e32 v3, s42
	s_sub_co_i32 s2, 0, s42
	s_delay_alu instid0(VALU_DEP_1) | instskip(SKIP_1) | instid1(TRANS32_DEP_1)
	v_rcp_iflag_f32_e32 v3, v3
	v_nop
	v_mul_f32_e32 v3, 0x4f7ffffe, v3
	s_delay_alu instid0(VALU_DEP_1) | instskip(NEXT) | instid1(VALU_DEP_1)
	v_cvt_u32_f32_e32 v3, v3
	v_mul_lo_u32 v7, s2, v3
	s_delay_alu instid0(VALU_DEP_1) | instskip(NEXT) | instid1(VALU_DEP_1)
	v_mul_hi_u32 v7, v3, v7
	v_add_nc_u32_e32 v3, v3, v7
	s_delay_alu instid0(VALU_DEP_1) | instskip(NEXT) | instid1(VALU_DEP_1)
	v_mul_hi_u32 v3, v0, v3
	v_mul_lo_u32 v7, v3, s42
	s_delay_alu instid0(VALU_DEP_1) | instskip(NEXT) | instid1(VALU_DEP_1)
	v_sub_nc_u32_e32 v7, v0, v7
	v_subrev_nc_u32_e32 v9, s42, v7
	v_cmp_le_u32_e32 vcc_lo, s42, v7
	s_delay_alu instid0(VALU_DEP_2) | instskip(NEXT) | instid1(VALU_DEP_1)
	v_dual_cndmask_b32 v7, v7, v9 :: v_dual_add_nc_u32 v8, 1, v3
	v_dual_cndmask_b32 v3, v3, v8, vcc_lo :: v_dual_mov_b32 v9, v2
	s_delay_alu instid0(VALU_DEP_2) | instskip(NEXT) | instid1(VALU_DEP_2)
	v_cmp_le_u32_e32 vcc_lo, s42, v7
	v_add_nc_u32_e32 v8, 1, v3
	s_delay_alu instid0(VALU_DEP_1)
	v_cndmask_b32_e32 v8, v3, v8, vcc_lo
.LBB47_35:                              ;   in Loop: Header=BB47_3 Depth=1
	s_or_b32 exec_lo, exec_lo, s0
	s_delay_alu instid0(VALU_DEP_1) | instskip(SKIP_1) | instid1(VALU_DEP_1)
	v_mad_nc_u64_u32 v[12:13], s66, v8, v[0:1]
	s_mov_b32 s0, exec_lo
	v_mad_u32 v3, s67, v8, v13
	s_delay_alu instid0(VALU_DEP_1) | instskip(SKIP_2) | instid1(VALU_DEP_3)
	v_mad_u32 v13, s66, v9, v3
	v_mul_u64_e32 v[8:9], s[16:17], v[8:9]
	v_or_b32_e32 v3, s51, v1
	v_mul_u64_e32 v[12:13], s[18:19], v[12:13]
	s_delay_alu instid0(VALU_DEP_3) | instskip(NEXT) | instid1(VALU_DEP_1)
	v_lshl_add_u64 v[8:9], v[8:9], 1, s[40:41]
	v_lshl_add_u64 v[8:9], v[12:13], 1, v[8:9]
	global_load_u16 v14, v[8:9], off
                                        ; implicit-def: $vgpr8_vgpr9
	s_wait_xcnt 0x0
	v_cmpx_ne_u64_e32 0, v[2:3]
	s_xor_b32 s73, exec_lo, s0
	s_cbranch_execnz .LBB47_39
; %bb.36:                               ;   in Loop: Header=BB47_3 Depth=1
	s_and_not1_saveexec_b32 s0, s73
	s_cbranch_execnz .LBB47_40
.LBB47_37:                              ;   in Loop: Header=BB47_3 Depth=1
	s_or_b32 exec_lo, exec_lo, s0
	s_delay_alu instid0(SALU_CYCLE_1)
	s_and_not1_b32 vcc_lo, exec_lo, s1
	s_cbranch_vccnz .LBB47_41
.LBB47_38:                              ;   in Loop: Header=BB47_3 Depth=1
	v_sub_nc_u64_e32 v[6:7], 1, v[4:5]
	v_sub_nc_u64_e32 v[12:13], 2, v[4:5]
	v_mad_nc_u64_u32 v[16:17], s64, v4, v[0:1]
	s_delay_alu instid0(VALU_DEP_3) | instskip(NEXT) | instid1(VALU_DEP_3)
	v_mad_nc_u64_u32 v[18:19], s4, v6, v[0:1]
	v_mad_nc_u64_u32 v[20:21], s4, v12, v[0:1]
	s_delay_alu instid0(VALU_DEP_3) | instskip(NEXT) | instid1(VALU_DEP_3)
	v_mad_u32 v3, s65, v4, v17
	v_mad_u32 v6, s5, v6, v19
	s_delay_alu instid0(VALU_DEP_3) | instskip(NEXT) | instid1(VALU_DEP_3)
	v_mad_u32 v12, s5, v12, v21
	v_mad_u32 v17, s64, v5, v3
	;; [unrolled: 3-line block ×3, first 2 shown]
	s_delay_alu instid0(VALU_DEP_3) | instskip(SKIP_1) | instid1(VALU_DEP_4)
	v_mul_u64_e32 v[6:7], s[44:45], v[16:17]
	v_mul_u64_e32 v[12:13], s[48:49], v[16:17]
	;; [unrolled: 1-line block ×3, first 2 shown]
	s_delay_alu instid0(VALU_DEP_4)
	v_mul_u64_e32 v[22:23], s[44:45], v[20:21]
	v_mul_u64_e32 v[20:21], s[48:49], v[20:21]
	v_mul_u64_e32 v[18:19], s[48:49], v[18:19]
	v_lshl_add_u64 v[6:7], v[6:7], 1, s[34:35]
	v_lshl_add_u64 v[12:13], v[12:13], 1, s[46:47]
	global_load_u16 v3, v[6:7], off
	s_wait_xcnt 0x0
	v_lshl_add_u64 v[6:7], v[16:17], 1, s[34:35]
	v_lshl_add_u64 v[16:17], v[22:23], 1, s[34:35]
	v_lshl_add_u64 v[20:21], v[20:21], 1, s[46:47]
	v_lshl_add_u64 v[18:19], v[18:19], 1, s[46:47]
	global_load_u16 v12, v[12:13], off
	s_clause 0x1
	global_load_u16 v6, v[6:7], off
	global_load_u16 v7, v[16:17], off
	s_clause 0x1
	global_load_u16 v17, v[20:21], off
	global_load_u16 v18, v[18:19], off
	s_wait_loadcnt 0x4
	v_dual_lshlrev_b32 v16, 16, v3 :: v_dual_lshlrev_b32 v13, 16, v12
	s_wait_loadcnt 0x2
	v_dual_lshlrev_b32 v12, 16, v6 :: v_dual_lshlrev_b32 v6, 16, v7
	;; [unrolled: 2-line block ×3, first 2 shown]
	s_branch .LBB47_42
.LBB47_39:                              ;   in Loop: Header=BB47_3 Depth=1
	s_ashr_i32 s74, s51, 31
	v_dual_mov_b32 v7, v6 :: v_dual_mov_b32 v13, v2
	s_mov_b32 s75, s74
	v_mov_b32_e32 v19, v2
	s_add_nc_u64 s[76:77], s[50:51], s[74:75]
	s_delay_alu instid0(VALU_DEP_2)
	v_add_nc_u64_e32 v[8:9], v[0:1], v[6:7]
	s_xor_b64 s[76:77], s[76:77], s[74:75]
	v_mov_b32_e32 v23, v2
	s_cvt_f32_u32 s0, s76
	s_cvt_f32_u32 s2, s77
	s_sub_nc_u64 s[82:83], 0, s[76:77]
	s_delay_alu instid0(VALU_DEP_2) | instskip(NEXT) | instid1(SALU_CYCLE_1)
	v_xor_b32_e32 v12, v8, v6
	s_fmamk_f32 s0, s2, 0x4f800000, s0
	v_xor_b32_e32 v18, v9, v6
	v_xor_b32_e32 v6, s74, v6
	s_delay_alu instid0(SALU_CYCLE_1) | instskip(NEXT) | instid1(TRANS32_DEP_1)
	v_s_rcp_f32 s0, s0
	s_mul_f32 s0, s0, 0x5f7ffffc
	s_delay_alu instid0(SALU_CYCLE_3) | instskip(NEXT) | instid1(SALU_CYCLE_3)
	s_mul_f32 s2, s0, 0x2f800000
	s_trunc_f32 s2, s2
	s_delay_alu instid0(SALU_CYCLE_3) | instskip(SKIP_1) | instid1(SALU_CYCLE_2)
	s_fmamk_f32 s0, s2, 0xcf800000, s0
	s_cvt_u32_f32 s81, s2
	s_cvt_u32_f32 s80, s0
	s_delay_alu instid0(SALU_CYCLE_3) | instskip(NEXT) | instid1(SALU_CYCLE_1)
	s_mul_u64 s[84:85], s[82:83], s[80:81]
	s_mul_hi_u32 s87, s80, s85
	s_mul_i32 s86, s80, s85
	s_mul_hi_u32 s2, s80, s84
	s_mul_i32 s75, s81, s84
	s_add_nc_u64 s[86:87], s[2:3], s[86:87]
	s_mul_hi_u32 s0, s81, s84
	s_mul_hi_u32 s79, s81, s85
	s_add_co_u32 s2, s86, s75
	s_add_co_ci_u32 s2, s87, s0
	s_mul_i32 s84, s81, s85
	s_add_co_ci_u32 s85, s79, 0
	s_delay_alu instid0(SALU_CYCLE_1) | instskip(NEXT) | instid1(SALU_CYCLE_1)
	s_add_nc_u64 s[84:85], s[2:3], s[84:85]
	s_add_co_u32 s80, s80, s84
	s_cselect_b32 s0, -1, 0
	s_delay_alu instid0(SALU_CYCLE_1) | instskip(SKIP_1) | instid1(SALU_CYCLE_1)
	s_cmp_lg_u32 s0, 0
	s_add_co_ci_u32 s81, s81, s85
	s_mul_u64 s[82:83], s[82:83], s[80:81]
	s_delay_alu instid0(SALU_CYCLE_1)
	s_mul_hi_u32 s85, s80, s83
	s_mul_i32 s84, s80, s83
	s_mul_hi_u32 s2, s80, s82
	s_mul_i32 s75, s81, s82
	s_add_nc_u64 s[84:85], s[2:3], s[84:85]
	s_mul_hi_u32 s0, s81, s82
	s_mul_hi_u32 s79, s81, s83
	s_add_co_u32 s2, s84, s75
	s_add_co_ci_u32 s2, s85, s0
	s_mul_i32 s82, s81, s83
	s_add_co_ci_u32 s83, s79, 0
	s_delay_alu instid0(SALU_CYCLE_1) | instskip(NEXT) | instid1(SALU_CYCLE_1)
	s_add_nc_u64 s[82:83], s[2:3], s[82:83]
	s_add_co_u32 s0, s80, s82
	s_cselect_b32 s2, -1, 0
	v_nop
	v_mul_hi_u32 v22, v12, s0
	s_cmp_lg_u32 s2, 0
	s_add_co_ci_u32 s2, s81, s83
	s_and_b64 s[80:81], s[0:1], s[68:69]
	v_mul_u64_e32 v[16:17], s[2:3], v[12:13]
	v_mul_u64_e32 v[8:9], s[80:81], v[18:19]
	;; [unrolled: 1-line block ×3, first 2 shown]
	s_delay_alu instid0(VALU_DEP_3) | instskip(NEXT) | instid1(VALU_DEP_1)
	v_add_nc_u64_e32 v[16:17], v[22:23], v[16:17]
	v_add_co_u32 v3, vcc_lo, v16, v8
	s_delay_alu instid0(VALU_DEP_2) | instskip(NEXT) | instid1(VALU_DEP_4)
	v_add_co_ci_u32_e32 v22, vcc_lo, v17, v9, vcc_lo
	v_add_co_ci_u32_e32 v21, vcc_lo, 0, v21, vcc_lo
	s_delay_alu instid0(VALU_DEP_1) | instskip(NEXT) | instid1(VALU_DEP_1)
	v_add_nc_u64_e32 v[8:9], v[22:23], v[20:21]
	v_mul_u64_e32 v[16:17], s[76:77], v[8:9]
	s_delay_alu instid0(VALU_DEP_1) | instskip(NEXT) | instid1(VALU_DEP_2)
	v_sub_nc_u32_e32 v3, v18, v17
	v_sub_co_u32 v7, vcc_lo, v12, v16
	s_delay_alu instid0(VALU_DEP_1) | instskip(NEXT) | instid1(VALU_DEP_3)
	v_sub_co_ci_u32_e64 v18, null, v18, v17, vcc_lo
	v_subrev_co_ci_u32_e64 v3, null, s77, v3, vcc_lo
	s_delay_alu instid0(VALU_DEP_3) | instskip(SKIP_1) | instid1(VALU_DEP_3)
	v_sub_co_u32 v12, s0, v7, s76
	v_add_nc_u64_e32 v[16:17], 1, v[8:9]
	v_subrev_co_ci_u32_e64 v3, null, 0, v3, s0
	s_delay_alu instid0(VALU_DEP_3) | instskip(SKIP_1) | instid1(VALU_DEP_3)
	v_cmp_le_u32_e32 vcc_lo, s76, v12
	v_cndmask_b32_e64 v12, 0, -1, vcc_lo
	v_cmp_le_u32_e32 vcc_lo, s77, v3
	v_cndmask_b32_e64 v13, 0, -1, vcc_lo
	;; [unrolled: 2-line block ×4, first 2 shown]
	v_cmp_eq_u32_e32 vcc_lo, s77, v3
	v_cndmask_b32_e32 v3, v13, v12, vcc_lo
	v_cmp_eq_u32_e32 vcc_lo, s77, v18
	v_add_nc_u64_e32 v[12:13], 2, v[8:9]
	v_cndmask_b32_e32 v7, v19, v7, vcc_lo
	s_delay_alu instid0(VALU_DEP_4) | instskip(NEXT) | instid1(VALU_DEP_2)
	v_cmp_ne_u32_e32 vcc_lo, 0, v3
	v_cmp_ne_u32_e64 s0, 0, v7
	s_delay_alu instid0(VALU_DEP_4) | instskip(NEXT) | instid1(VALU_DEP_1)
	v_dual_cndmask_b32 v3, v17, v13, vcc_lo :: v_dual_cndmask_b32 v7, v16, v12, vcc_lo
	v_cndmask_b32_e64 v3, v9, v3, s0
	s_delay_alu instid0(VALU_DEP_2) | instskip(NEXT) | instid1(VALU_DEP_2)
	v_dual_cndmask_b32 v8, v8, v7, s0 :: v_dual_mov_b32 v7, v6
	v_xor_b32_e32 v9, v3, v6
	s_delay_alu instid0(VALU_DEP_2) | instskip(NEXT) | instid1(VALU_DEP_1)
	v_xor_b32_e32 v8, v8, v6
	v_sub_nc_u64_e32 v[8:9], v[8:9], v[6:7]
	s_and_not1_saveexec_b32 s0, s73
	s_cbranch_execz .LBB47_37
.LBB47_40:                              ;   in Loop: Header=BB47_3 Depth=1
	v_cvt_f32_u32_e32 v3, s50
	s_sub_co_i32 s2, 0, s50
	v_mov_b32_e32 v9, v2
	s_delay_alu instid0(VALU_DEP_2) | instskip(SKIP_1) | instid1(TRANS32_DEP_1)
	v_rcp_iflag_f32_e32 v3, v3
	v_nop
	v_mul_f32_e32 v3, 0x4f7ffffe, v3
	s_delay_alu instid0(VALU_DEP_1) | instskip(NEXT) | instid1(VALU_DEP_1)
	v_cvt_u32_f32_e32 v3, v3
	v_mul_lo_u32 v6, s2, v3
	s_delay_alu instid0(VALU_DEP_1) | instskip(NEXT) | instid1(VALU_DEP_1)
	v_mul_hi_u32 v6, v3, v6
	v_add_nc_u32_e32 v3, v3, v6
	s_delay_alu instid0(VALU_DEP_1) | instskip(NEXT) | instid1(VALU_DEP_1)
	v_mul_hi_u32 v3, v0, v3
	v_mul_lo_u32 v6, v3, s50
	s_delay_alu instid0(VALU_DEP_1) | instskip(NEXT) | instid1(VALU_DEP_1)
	v_dual_add_nc_u32 v7, 1, v3 :: v_dual_sub_nc_u32 v6, v0, v6
	v_subrev_nc_u32_e32 v8, s50, v6
	v_cmp_le_u32_e32 vcc_lo, s50, v6
	s_delay_alu instid0(VALU_DEP_2) | instskip(NEXT) | instid1(VALU_DEP_1)
	v_dual_cndmask_b32 v6, v6, v8 :: v_dual_cndmask_b32 v3, v3, v7
	v_cmp_le_u32_e32 vcc_lo, s50, v6
	s_delay_alu instid0(VALU_DEP_2) | instskip(NEXT) | instid1(VALU_DEP_1)
	v_add_nc_u32_e32 v7, 1, v3
	v_cndmask_b32_e32 v8, v3, v7, vcc_lo
	s_or_b32 exec_lo, exec_lo, s0
	s_delay_alu instid0(SALU_CYCLE_1)
	s_and_not1_b32 vcc_lo, exec_lo, s1
	s_cbranch_vccz .LBB47_38
.LBB47_41:                              ;   in Loop: Header=BB47_3 Depth=1
	v_dual_mov_b32 v7, 0 :: v_dual_mov_b32 v3, 0
	s_delay_alu instid0(VALU_DEP_1)
	v_dual_mov_b32 v13, 0 :: v_dual_mov_b32 v6, v7
	v_dual_mov_b32 v12, v7 :: v_dual_mov_b32 v16, v7
.LBB47_42:                              ;   in Loop: Header=BB47_3 Depth=1
	s_wait_loadcnt 0x3
	v_dual_lshlrev_b32 v17, 16, v29 :: v_dual_lshlrev_b32 v15, 16, v15
	s_delay_alu instid0(VALU_DEP_1) | instskip(NEXT) | instid1(VALU_DEP_1)
	v_add_f32_e32 v15, v15, v17
	v_add_f32_e32 v15, v15, v16
	s_delay_alu instid0(VALU_DEP_1) | instskip(NEXT) | instid1(VALU_DEP_1)
	v_add_f32_e32 v13, v13, v15
	v_mul_f32_e32 v15, 0xbfb8aa3b, v13
	s_delay_alu instid0(VALU_DEP_1) | instskip(SKIP_1) | instid1(VALU_DEP_1)
	v_fma_f32 v16, 0xbfb8aa3b, v13, -v15
	v_rndne_f32_e32 v17, v15
	v_sub_f32_e32 v15, v15, v17
	s_delay_alu instid0(VALU_DEP_3) | instskip(SKIP_1) | instid1(VALU_DEP_2)
	v_fmac_f32_e32 v16, 0xb2a5705f, v13
	v_cmp_nlt_f32_e32 vcc_lo, 0x42ce8ed0, v13
	v_add_f32_e32 v15, v15, v16
	v_cvt_i32_f32_e32 v16, v17
	s_delay_alu instid0(VALU_DEP_2) | instskip(SKIP_1) | instid1(TRANS32_DEP_1)
	v_exp_f32_e32 v15, v15
	v_nop
	v_ldexp_f32 v15, v15, v16
	s_delay_alu instid0(VALU_DEP_1) | instskip(SKIP_1) | instid1(VALU_DEP_2)
	v_cndmask_b32_e32 v15, 0, v15, vcc_lo
	v_cmp_ngt_f32_e32 vcc_lo, 0xc2b17218, v13
	v_cndmask_b32_e32 v13, 0x7f800000, v15, vcc_lo
	s_delay_alu instid0(VALU_DEP_1) | instskip(NEXT) | instid1(VALU_DEP_1)
	v_add_f32_e32 v13, 1.0, v13
	v_div_scale_f32 v15, null, v13, v13, 1.0
	s_wait_xcnt 0x0
	v_div_scale_f32 v18, vcc_lo, 1.0, v13, 1.0
	s_delay_alu instid0(VALU_DEP_2) | instskip(SKIP_1) | instid1(TRANS32_DEP_1)
	v_rcp_f32_e32 v16, v15
	v_nop
	v_fma_f32 v17, -v15, v16, 1.0
	s_delay_alu instid0(VALU_DEP_1) | instskip(NEXT) | instid1(VALU_DEP_1)
	v_fmac_f32_e32 v16, v17, v16
	v_mul_f32_e32 v17, v18, v16
	s_delay_alu instid0(VALU_DEP_1) | instskip(SKIP_1) | instid1(VALU_DEP_1)
	v_fma_f32 v19, -v15, v17, v18
	s_wait_loadcnt 0x1
	v_dual_fmac_f32 v17, v19, v16 :: v_dual_lshlrev_b32 v19, 16, v11
	s_delay_alu instid0(VALU_DEP_1) | instskip(NEXT) | instid1(VALU_DEP_1)
	v_dual_fma_f32 v15, -v15, v17, v18 :: v_dual_lshlrev_b32 v18, 16, v31
	v_div_fmas_f32 v11, v15, v16, v17
	s_delay_alu instid0(VALU_DEP_2) | instskip(NEXT) | instid1(VALU_DEP_2)
	v_pk_add_f32 v[6:7], v[6:7], v[18:19]
	v_div_fixup_f32 v17, v11, v13, 1.0
                                        ; implicit-def: $vgpr13
	s_delay_alu instid0(VALU_DEP_1) | instskip(NEXT) | instid1(VALU_DEP_1)
	v_fma_f32 v6, v7, v17, v6
	v_cmp_ngt_f32_e64 s0, 0x3f200000, |v6|
	s_and_saveexec_b32 s2, s0
	s_delay_alu instid0(SALU_CYCLE_1)
	s_xor_b32 s0, exec_lo, s2
	s_cbranch_execz .LBB47_44
; %bb.43:                               ;   in Loop: Header=BB47_3 Depth=1
	v_add_f32_e64 v11, |v6|, |v6|
	s_delay_alu instid0(VALU_DEP_1) | instskip(SKIP_1) | instid1(VALU_DEP_2)
	v_mul_f32_e32 v13, 0x3fb8aa3b, v11
	v_cmp_ngt_f32_e32 vcc_lo, 0xc2ce8ed0, v11
	v_rndne_f32_e32 v15, v13
	v_fma_f32 v16, 0x3fb8aa3b, v11, -v13
	s_delay_alu instid0(VALU_DEP_2) | instskip(NEXT) | instid1(VALU_DEP_2)
	v_sub_f32_e32 v13, v13, v15
	v_fmac_f32_e32 v16, 0x32a5705f, v11
	v_cvt_i32_f32_e32 v15, v15
	s_delay_alu instid0(VALU_DEP_2) | instskip(NEXT) | instid1(VALU_DEP_1)
	v_add_f32_e32 v13, v13, v16
	v_exp_f32_e32 v13, v13
	v_nop
	s_delay_alu instid0(TRANS32_DEP_1) | instskip(NEXT) | instid1(VALU_DEP_1)
	v_ldexp_f32 v13, v13, v15
	v_cndmask_b32_e32 v13, 0, v13, vcc_lo
	v_cmp_nlt_f32_e32 vcc_lo, 0x42b17218, v11
	s_delay_alu instid0(VALU_DEP_2) | instskip(NEXT) | instid1(VALU_DEP_1)
	v_cndmask_b32_e32 v11, 0x7f800000, v13, vcc_lo
	v_add_f32_e32 v11, 1.0, v11
	s_delay_alu instid0(VALU_DEP_1) | instskip(SKIP_1) | instid1(TRANS32_DEP_1)
	v_rcp_f32_e32 v11, v11
	v_nop
	v_fma_f32 v13, v11, -2.0, 1.0
.LBB47_44:                              ;   in Loop: Header=BB47_3 Depth=1
	s_and_not1_saveexec_b32 s0, s0
	s_cbranch_execz .LBB47_46
; %bb.45:                               ;   in Loop: Header=BB47_3 Depth=1
	v_mul_f32_e32 v11, v6, v6
	s_delay_alu instid0(VALU_DEP_1) | instskip(NEXT) | instid1(VALU_DEP_1)
	v_fmaak_f32 v13, s33, v11, 0x3ca908c9
	v_fmaak_f32 v13, v11, v13, 0xbd5c1c4e
	s_delay_alu instid0(VALU_DEP_1) | instskip(NEXT) | instid1(VALU_DEP_1)
	v_fmaak_f32 v13, v11, v13, 0x3e088382
	v_fmaak_f32 v13, v11, v13, 0xbeaaaa99
	s_delay_alu instid0(VALU_DEP_1) | instskip(NEXT) | instid1(VALU_DEP_1)
	v_mul_f32_e64 v13, |v6|, v13
	v_fma_f32 v13, v11, v13, |v6|
.LBB47_46:                              ;   in Loop: Header=BB47_3 Depth=1
	s_or_b32 exec_lo, exec_lo, s0
	v_lshlrev_b32_e32 v11, 16, v30
	v_lshlrev_b32_e32 v10, 16, v10
	v_mad_nc_u64_u32 v[18:19], s70, v8, v[0:1]
	s_delay_alu instid0(VALU_DEP_2) | instskip(NEXT) | instid1(VALU_DEP_1)
	v_add_f32_e32 v10, v11, v10
	v_add_f32_e32 v10, v10, v12
	s_delay_alu instid0(VALU_DEP_3) | instskip(NEXT) | instid1(VALU_DEP_2)
	v_mad_u32 v19, s71, v8, v19
	v_add_f32_e32 v3, v3, v10
	s_delay_alu instid0(VALU_DEP_1) | instskip(NEXT) | instid1(VALU_DEP_3)
	v_mul_f32_e32 v10, 0xbfb8aa3b, v3
	v_mad_u32 v19, s70, v9, v19
	s_delay_alu instid0(VALU_DEP_2) | instskip(SKIP_1) | instid1(VALU_DEP_1)
	v_fma_f32 v11, 0xbfb8aa3b, v3, -v10
	v_rndne_f32_e32 v12, v10
	v_dual_sub_f32 v10, v10, v12 :: v_dual_fmac_f32 v11, 0xb2a5705f, v3
	v_cmp_nlt_f32_e32 vcc_lo, 0x42ce8ed0, v3
	v_mul_u64_e32 v[18:19], s[22:23], v[18:19]
	s_delay_alu instid0(VALU_DEP_3) | instskip(SKIP_1) | instid1(VALU_DEP_2)
	v_add_f32_e32 v10, v10, v11
	v_cvt_i32_f32_e32 v11, v12
	v_exp_f32_e32 v10, v10
	v_nop
	s_delay_alu instid0(TRANS32_DEP_1) | instskip(NEXT) | instid1(VALU_DEP_1)
	v_ldexp_f32 v10, v10, v11
	v_cndmask_b32_e32 v10, 0, v10, vcc_lo
	v_cmp_ngt_f32_e32 vcc_lo, 0xc2b17218, v3
	s_delay_alu instid0(VALU_DEP_2) | instskip(NEXT) | instid1(VALU_DEP_1)
	v_cndmask_b32_e32 v3, 0x7f800000, v10, vcc_lo
	v_add_f32_e32 v3, 1.0, v3
	s_delay_alu instid0(VALU_DEP_1) | instskip(SKIP_1) | instid1(VALU_DEP_2)
	v_div_scale_f32 v12, null, v3, v3, 1.0
	v_div_scale_f32 v15, vcc_lo, 1.0, v3, 1.0
	v_rcp_f32_e32 v16, v12
	v_nop
	s_delay_alu instid0(TRANS32_DEP_1) | instskip(NEXT) | instid1(VALU_DEP_1)
	v_fma_f32 v10, -v12, v16, 1.0
	v_fmac_f32_e32 v16, v10, v16
	v_mul_u64_e32 v[10:11], s[62:63], v[4:5]
	s_delay_alu instid0(VALU_DEP_2) | instskip(NEXT) | instid1(VALU_DEP_1)
	v_mul_f32_e32 v22, v15, v16
	v_fma_f32 v20, -v12, v22, v15
	s_delay_alu instid0(VALU_DEP_1) | instskip(SKIP_1) | instid1(VALU_DEP_2)
	v_fmac_f32_e32 v22, v20, v16
	v_mul_u64_e32 v[20:21], s[20:21], v[8:9]
	v_fma_f32 v8, -v12, v22, v15
	v_bfi_b32 v15, 0x7fffffff, v13, v6
	s_delay_alu instid0(VALU_DEP_2) | instskip(NEXT) | instid1(VALU_DEP_1)
	v_div_fmas_f32 v6, v8, v16, v22
	v_div_fixup_f32 v16, v6, v3, 1.0
	s_wait_loadcnt 0x0
	v_lshlrev_b32_e32 v8, 16, v14
	s_delay_alu instid0(VALU_DEP_1) | instskip(SKIP_1) | instid1(VALU_DEP_2)
	v_sub_f32_e32 v3, v8, v15
	v_add_nc_u64_e32 v[8:9], v[0:1], v[10:11]
	v_fma_f32 v6, v16, v3, v15
	s_delay_alu instid0(VALU_DEP_1) | instskip(SKIP_2) | instid1(VALU_DEP_3)
	v_bfe_u32 v3, v6, 16, 1
	v_cmp_o_f32_e64 s0, v6, v6
	v_lshl_add_u64 v[12:13], v[20:21], 1, s[52:53]
	v_add3_u32 v22, v6, v3, 0x7fff
	v_or_b32_e32 v3, s57, v9
	s_delay_alu instid0(VALU_DEP_3) | instskip(NEXT) | instid1(VALU_DEP_3)
	v_lshl_add_u64 v[12:13], v[18:19], 1, v[12:13]
	v_lshrrev_b32_e32 v20, 16, v22
	s_delay_alu instid0(VALU_DEP_3) | instskip(NEXT) | instid1(VALU_DEP_2)
	v_cmp_ne_u64_e32 vcc_lo, 0, v[2:3]
	v_cndmask_b32_e64 v3, 0x7fc0, v20, s0
	global_store_b16 v[12:13], v3, off
                                        ; implicit-def: $vgpr12_vgpr13
	s_wait_xcnt 0x0
	s_and_saveexec_b32 s0, vcc_lo
	s_delay_alu instid0(SALU_CYCLE_1)
	s_xor_b32 s73, exec_lo, s0
	s_cbranch_execz .LBB47_48
; %bb.47:                               ;   in Loop: Header=BB47_3 Depth=1
	s_ashr_i32 s74, s57, 31
	v_dual_mov_b32 v19, v2 :: v_dual_ashrrev_i32 v12, 31, v9
	s_mov_b32 s75, s74
	v_mov_b32_e32 v23, v2
	s_add_nc_u64 s[76:77], s[56:57], s[74:75]
	s_delay_alu instid0(VALU_DEP_2)
	v_mov_b32_e32 v13, v12
	s_xor_b64 s[76:77], s[76:77], s[74:75]
	v_mov_b32_e32 v27, v2
	s_cvt_f32_u32 s0, s76
	s_cvt_f32_u32 s2, s77
	s_sub_nc_u64 s[82:83], 0, s[76:77]
	v_add_nc_u64_e32 v[8:9], v[8:9], v[12:13]
	s_delay_alu instid0(SALU_CYCLE_1) | instskip(NEXT) | instid1(SALU_CYCLE_3)
	s_fmamk_f32 s0, s2, 0x4f800000, s0
	v_s_rcp_f32 s0, s0
	s_delay_alu instid0(VALU_DEP_1) | instskip(NEXT) | instid1(VALU_DEP_2)
	v_xor_b32_e32 v18, v8, v12
	v_xor_b32_e32 v22, v9, v12
	s_delay_alu instid0(TRANS32_DEP_1) | instskip(NEXT) | instid1(SALU_CYCLE_3)
	s_mul_f32 s0, s0, 0x5f7ffffc
	s_mul_f32 s2, s0, 0x2f800000
	s_delay_alu instid0(SALU_CYCLE_3) | instskip(NEXT) | instid1(SALU_CYCLE_3)
	s_trunc_f32 s2, s2
	s_fmamk_f32 s0, s2, 0xcf800000, s0
	s_cvt_u32_f32 s81, s2
	s_delay_alu instid0(SALU_CYCLE_2) | instskip(NEXT) | instid1(SALU_CYCLE_3)
	s_cvt_u32_f32 s80, s0
	s_mul_u64 s[84:85], s[82:83], s[80:81]
	s_delay_alu instid0(SALU_CYCLE_1)
	s_mul_hi_u32 s87, s80, s85
	s_mul_i32 s86, s80, s85
	s_mul_hi_u32 s2, s80, s84
	s_mul_i32 s75, s81, s84
	s_add_nc_u64 s[86:87], s[2:3], s[86:87]
	s_mul_hi_u32 s0, s81, s84
	s_mul_hi_u32 s79, s81, s85
	s_add_co_u32 s2, s86, s75
	s_add_co_ci_u32 s2, s87, s0
	s_mul_i32 s84, s81, s85
	s_add_co_ci_u32 s85, s79, 0
	s_delay_alu instid0(SALU_CYCLE_1) | instskip(NEXT) | instid1(SALU_CYCLE_1)
	s_add_nc_u64 s[84:85], s[2:3], s[84:85]
	s_add_co_u32 s80, s80, s84
	s_cselect_b32 s0, -1, 0
	s_delay_alu instid0(SALU_CYCLE_1) | instskip(SKIP_1) | instid1(SALU_CYCLE_1)
	s_cmp_lg_u32 s0, 0
	s_add_co_ci_u32 s81, s81, s85
	s_mul_u64 s[82:83], s[82:83], s[80:81]
	s_delay_alu instid0(SALU_CYCLE_1)
	s_mul_hi_u32 s85, s80, s83
	s_mul_i32 s84, s80, s83
	s_mul_hi_u32 s2, s80, s82
	s_mul_i32 s75, s81, s82
	s_add_nc_u64 s[84:85], s[2:3], s[84:85]
	s_mul_hi_u32 s0, s81, s82
	s_mul_hi_u32 s79, s81, s83
	s_add_co_u32 s2, s84, s75
	s_add_co_ci_u32 s2, s85, s0
	s_mul_i32 s82, s81, s83
	s_add_co_ci_u32 s83, s79, 0
	s_delay_alu instid0(SALU_CYCLE_1) | instskip(NEXT) | instid1(SALU_CYCLE_1)
	s_add_nc_u64 s[82:83], s[2:3], s[82:83]
	s_add_co_u32 s0, s80, s82
	s_cselect_b32 s2, -1, 0
	v_mul_hi_u32 v26, v18, s0
	s_cmp_lg_u32 s2, 0
	s_add_co_ci_u32 s2, s81, s83
	s_and_b64 s[80:81], s[0:1], s[68:69]
	v_mul_u64_e32 v[20:21], s[2:3], v[18:19]
	v_mul_u64_e32 v[8:9], s[80:81], v[22:23]
	;; [unrolled: 1-line block ×3, first 2 shown]
	s_delay_alu instid0(VALU_DEP_3) | instskip(NEXT) | instid1(VALU_DEP_1)
	v_add_nc_u64_e32 v[20:21], v[26:27], v[20:21]
	v_add_co_u32 v3, vcc_lo, v20, v8
	s_delay_alu instid0(VALU_DEP_2) | instskip(NEXT) | instid1(VALU_DEP_4)
	v_add_co_ci_u32_e32 v26, vcc_lo, v21, v9, vcc_lo
	v_add_co_ci_u32_e32 v25, vcc_lo, 0, v25, vcc_lo
	s_delay_alu instid0(VALU_DEP_1) | instskip(NEXT) | instid1(VALU_DEP_1)
	v_add_nc_u64_e32 v[8:9], v[26:27], v[24:25]
	v_mul_u64_e32 v[20:21], s[76:77], v[8:9]
	s_delay_alu instid0(VALU_DEP_1) | instskip(NEXT) | instid1(VALU_DEP_2)
	v_sub_nc_u32_e32 v3, v22, v21
	v_sub_co_u32 v6, vcc_lo, v18, v20
	s_delay_alu instid0(VALU_DEP_1) | instskip(NEXT) | instid1(VALU_DEP_3)
	v_sub_co_ci_u32_e64 v22, null, v22, v21, vcc_lo
	v_subrev_co_ci_u32_e64 v3, null, s77, v3, vcc_lo
	s_delay_alu instid0(VALU_DEP_3) | instskip(SKIP_1) | instid1(VALU_DEP_3)
	v_sub_co_u32 v13, s0, v6, s76
	v_add_nc_u64_e32 v[20:21], 1, v[8:9]
	v_subrev_co_ci_u32_e64 v3, null, 0, v3, s0
	s_delay_alu instid0(VALU_DEP_3) | instskip(SKIP_1) | instid1(VALU_DEP_3)
	v_cmp_le_u32_e32 vcc_lo, s76, v13
	v_cndmask_b32_e64 v13, 0, -1, vcc_lo
	v_cmp_le_u32_e32 vcc_lo, s77, v3
	v_cndmask_b32_e64 v18, 0, -1, vcc_lo
	;; [unrolled: 2-line block ×4, first 2 shown]
	v_cmp_eq_u32_e32 vcc_lo, s77, v3
	v_cndmask_b32_e32 v3, v18, v13, vcc_lo
	v_cmp_eq_u32_e32 vcc_lo, s77, v22
	v_add_nc_u64_e32 v[18:19], 2, v[8:9]
	v_cndmask_b32_e32 v6, v23, v6, vcc_lo
	s_delay_alu instid0(VALU_DEP_4) | instskip(NEXT) | instid1(VALU_DEP_2)
	v_cmp_ne_u32_e32 vcc_lo, 0, v3
	v_cmp_ne_u32_e64 s0, 0, v6
	s_delay_alu instid0(VALU_DEP_4) | instskip(NEXT) | instid1(VALU_DEP_1)
	v_dual_cndmask_b32 v3, v21, v19 :: v_dual_cndmask_b32 v6, v20, v18
	v_dual_cndmask_b32 v3, v9, v3, s0 :: v_dual_bitop2_b32 v12, s74, v12 bitop3:0x14
	s_delay_alu instid0(VALU_DEP_1) | instskip(NEXT) | instid1(VALU_DEP_1)
	v_dual_cndmask_b32 v6, v8, v6, s0 :: v_dual_bitop2_b32 v9, v3, v12 bitop3:0x14
	v_dual_mov_b32 v13, v12 :: v_dual_bitop2_b32 v8, v6, v12 bitop3:0x14
	s_delay_alu instid0(VALU_DEP_1)
	v_sub_nc_u64_e32 v[12:13], v[8:9], v[12:13]
                                        ; implicit-def: $vgpr8_vgpr9
.LBB47_48:                              ;   in Loop: Header=BB47_3 Depth=1
	s_or_saveexec_b32 s0, s73
	v_cvt_f32_u32_e32 v6, s56
	s_xor_b32 exec_lo, exec_lo, s0
	s_cbranch_execz .LBB47_50
; %bb.49:                               ;   in Loop: Header=BB47_3 Depth=1
	s_delay_alu instid0(VALU_DEP_1) | instskip(SKIP_2) | instid1(TRANS32_DEP_1)
	v_rcp_iflag_f32_e32 v3, v6
	s_sub_co_i32 s2, 0, s56
	v_mov_b32_e32 v13, v2
	v_mul_f32_e32 v3, 0x4f7ffffe, v3
	s_delay_alu instid0(VALU_DEP_1) | instskip(NEXT) | instid1(VALU_DEP_1)
	v_cvt_u32_f32_e32 v3, v3
	v_mul_lo_u32 v9, s2, v3
	s_delay_alu instid0(VALU_DEP_1) | instskip(NEXT) | instid1(VALU_DEP_1)
	v_mul_hi_u32 v9, v3, v9
	v_add_nc_u32_e32 v3, v3, v9
	s_delay_alu instid0(VALU_DEP_1) | instskip(NEXT) | instid1(VALU_DEP_1)
	v_mul_hi_u32 v3, v8, v3
	v_mul_lo_u32 v9, v3, s56
	s_delay_alu instid0(VALU_DEP_1) | instskip(NEXT) | instid1(VALU_DEP_1)
	v_dual_sub_nc_u32 v8, v8, v9 :: v_dual_add_nc_u32 v9, 1, v3
	v_subrev_nc_u32_e32 v12, s56, v8
	v_cmp_le_u32_e32 vcc_lo, s56, v8
	s_delay_alu instid0(VALU_DEP_2) | instskip(NEXT) | instid1(VALU_DEP_1)
	v_dual_cndmask_b32 v8, v8, v12 :: v_dual_cndmask_b32 v3, v3, v9
	v_cmp_le_u32_e32 vcc_lo, s56, v8
	s_delay_alu instid0(VALU_DEP_2) | instskip(NEXT) | instid1(VALU_DEP_1)
	v_add_nc_u32_e32 v9, 1, v3
	v_cndmask_b32_e32 v12, v3, v9, vcc_lo
.LBB47_50:                              ;   in Loop: Header=BB47_3 Depth=1
	s_or_b32 exec_lo, exec_lo, s0
	s_delay_alu instid0(VALU_DEP_1)
	v_mul_u64_e32 v[18:19], s[56:57], v[12:13]
	v_lshlrev_b64_e32 v[8:9], 2, v[4:5]
	v_mul_u64_e32 v[12:13], s[24:25], v[12:13]
	v_alignbit_b32 v4, v5, v4, 30
	v_cmp_o_f32_e32 vcc_lo, v17, v17
	s_mov_b32 s0, exec_lo
	v_sub_nc_u64_e32 v[18:19], v[10:11], v[18:19]
	v_mad_nc_u64_u32 v[10:11], s4, v8, s[4:5]
	v_lshl_add_u64 v[12:13], v[12:13], 1, s[54:55]
	s_delay_alu instid0(VALU_DEP_3) | instskip(NEXT) | instid1(VALU_DEP_3)
	v_add_nc_u64_e32 v[18:19], v[0:1], v[18:19]
	v_mad_u32 v3, s5, v8, v11
	s_delay_alu instid0(VALU_DEP_2) | instskip(NEXT) | instid1(VALU_DEP_2)
	v_mul_u64_e32 v[18:19], s[26:27], v[18:19]
	v_mad_u32 v11, s4, v4, v3
	v_bfe_u32 v3, v17, 16, 1
	s_delay_alu instid0(VALU_DEP_1) | instskip(NEXT) | instid1(VALU_DEP_3)
	v_add3_u32 v3, v17, v3, 0x7fff
	v_add_nc_u64_e32 v[4:5], v[0:1], v[10:11]
	s_delay_alu instid0(VALU_DEP_1) | instskip(NEXT) | instid1(VALU_DEP_1)
	v_dual_lshrrev_b32 v20, 16, v3 :: v_dual_bitop2_b32 v3, s57, v5 bitop3:0x54
	v_cndmask_b32_e32 v17, 0x7fc0, v20, vcc_lo
	v_lshl_add_u64 v[12:13], v[18:19], 1, v[12:13]
	global_store_b16 v[12:13], v17, off
                                        ; implicit-def: $vgpr12_vgpr13
	s_wait_xcnt 0x0
	v_cmpx_ne_u64_e32 0, v[2:3]
	s_xor_b32 s73, exec_lo, s0
	s_cbranch_execz .LBB47_52
; %bb.51:                               ;   in Loop: Header=BB47_3 Depth=1
	s_ashr_i32 s74, s57, 31
	v_dual_mov_b32 v19, v2 :: v_dual_ashrrev_i32 v12, 31, v5
	s_mov_b32 s75, s74
	v_mov_b32_e32 v23, v2
	s_add_nc_u64 s[76:77], s[56:57], s[74:75]
	s_delay_alu instid0(VALU_DEP_2)
	v_mov_b32_e32 v13, v12
	s_xor_b64 s[76:77], s[76:77], s[74:75]
	v_mov_b32_e32 v27, v2
	s_cvt_f32_u32 s0, s76
	s_cvt_f32_u32 s2, s77
	s_sub_nc_u64 s[82:83], 0, s[76:77]
	v_add_nc_u64_e32 v[4:5], v[4:5], v[12:13]
	s_delay_alu instid0(SALU_CYCLE_1) | instskip(NEXT) | instid1(SALU_CYCLE_3)
	s_fmamk_f32 s0, s2, 0x4f800000, s0
	v_s_rcp_f32 s0, s0
	s_delay_alu instid0(VALU_DEP_1) | instskip(NEXT) | instid1(VALU_DEP_2)
	v_xor_b32_e32 v18, v4, v12
	v_xor_b32_e32 v22, v5, v12
	s_delay_alu instid0(TRANS32_DEP_1) | instskip(NEXT) | instid1(SALU_CYCLE_3)
	s_mul_f32 s0, s0, 0x5f7ffffc
	s_mul_f32 s2, s0, 0x2f800000
	s_delay_alu instid0(SALU_CYCLE_3) | instskip(NEXT) | instid1(SALU_CYCLE_3)
	s_trunc_f32 s2, s2
	s_fmamk_f32 s0, s2, 0xcf800000, s0
	s_cvt_u32_f32 s81, s2
	s_delay_alu instid0(SALU_CYCLE_2) | instskip(NEXT) | instid1(SALU_CYCLE_3)
	s_cvt_u32_f32 s80, s0
	s_mul_u64 s[84:85], s[82:83], s[80:81]
	s_delay_alu instid0(SALU_CYCLE_1)
	s_mul_hi_u32 s87, s80, s85
	s_mul_i32 s86, s80, s85
	s_mul_hi_u32 s2, s80, s84
	s_mul_i32 s75, s81, s84
	s_add_nc_u64 s[86:87], s[2:3], s[86:87]
	s_mul_hi_u32 s0, s81, s84
	s_mul_hi_u32 s79, s81, s85
	s_add_co_u32 s2, s86, s75
	s_add_co_ci_u32 s2, s87, s0
	s_mul_i32 s84, s81, s85
	s_add_co_ci_u32 s85, s79, 0
	s_delay_alu instid0(SALU_CYCLE_1) | instskip(NEXT) | instid1(SALU_CYCLE_1)
	s_add_nc_u64 s[84:85], s[2:3], s[84:85]
	s_add_co_u32 s80, s80, s84
	s_cselect_b32 s0, -1, 0
	s_delay_alu instid0(SALU_CYCLE_1) | instskip(SKIP_1) | instid1(SALU_CYCLE_1)
	s_cmp_lg_u32 s0, 0
	s_add_co_ci_u32 s81, s81, s85
	s_mul_u64 s[82:83], s[82:83], s[80:81]
	s_delay_alu instid0(SALU_CYCLE_1)
	s_mul_hi_u32 s85, s80, s83
	s_mul_i32 s84, s80, s83
	s_mul_hi_u32 s2, s80, s82
	s_mul_i32 s75, s81, s82
	s_add_nc_u64 s[84:85], s[2:3], s[84:85]
	s_mul_hi_u32 s0, s81, s82
	s_mul_hi_u32 s79, s81, s83
	s_add_co_u32 s2, s84, s75
	s_add_co_ci_u32 s2, s85, s0
	s_mul_i32 s82, s81, s83
	s_add_co_ci_u32 s83, s79, 0
	s_delay_alu instid0(SALU_CYCLE_1) | instskip(NEXT) | instid1(SALU_CYCLE_1)
	s_add_nc_u64 s[82:83], s[2:3], s[82:83]
	s_add_co_u32 s0, s80, s82
	s_cselect_b32 s2, -1, 0
	v_mul_hi_u32 v26, v18, s0
	s_cmp_lg_u32 s2, 0
	s_add_co_ci_u32 s2, s81, s83
	s_and_b64 s[80:81], s[0:1], s[68:69]
	v_mul_u64_e32 v[20:21], s[2:3], v[18:19]
	v_mul_u64_e32 v[4:5], s[80:81], v[22:23]
	;; [unrolled: 1-line block ×3, first 2 shown]
	s_delay_alu instid0(VALU_DEP_3) | instskip(NEXT) | instid1(VALU_DEP_1)
	v_add_nc_u64_e32 v[20:21], v[26:27], v[20:21]
	v_add_co_u32 v3, vcc_lo, v20, v4
	s_delay_alu instid0(VALU_DEP_2) | instskip(NEXT) | instid1(VALU_DEP_4)
	v_add_co_ci_u32_e32 v26, vcc_lo, v21, v5, vcc_lo
	v_add_co_ci_u32_e32 v25, vcc_lo, 0, v25, vcc_lo
	s_delay_alu instid0(VALU_DEP_1) | instskip(NEXT) | instid1(VALU_DEP_1)
	v_add_nc_u64_e32 v[4:5], v[26:27], v[24:25]
	v_mul_u64_e32 v[20:21], s[76:77], v[4:5]
	s_delay_alu instid0(VALU_DEP_1) | instskip(NEXT) | instid1(VALU_DEP_2)
	v_sub_nc_u32_e32 v3, v22, v21
	v_sub_co_u32 v13, vcc_lo, v18, v20
	s_delay_alu instid0(VALU_DEP_1) | instskip(NEXT) | instid1(VALU_DEP_3)
	v_sub_co_ci_u32_e64 v22, null, v22, v21, vcc_lo
	v_subrev_co_ci_u32_e64 v3, null, s77, v3, vcc_lo
	s_delay_alu instid0(VALU_DEP_3) | instskip(SKIP_1) | instid1(VALU_DEP_3)
	v_sub_co_u32 v17, s0, v13, s76
	v_add_nc_u64_e32 v[20:21], 1, v[4:5]
	v_subrev_co_ci_u32_e64 v3, null, 0, v3, s0
	s_delay_alu instid0(VALU_DEP_3) | instskip(SKIP_1) | instid1(VALU_DEP_3)
	v_cmp_le_u32_e32 vcc_lo, s76, v17
	v_cndmask_b32_e64 v17, 0, -1, vcc_lo
	v_cmp_le_u32_e32 vcc_lo, s77, v3
	v_cndmask_b32_e64 v18, 0, -1, vcc_lo
	;; [unrolled: 2-line block ×4, first 2 shown]
	v_cmp_eq_u32_e32 vcc_lo, s77, v3
	v_cndmask_b32_e32 v3, v18, v17, vcc_lo
	v_cmp_eq_u32_e32 vcc_lo, s77, v22
	v_add_nc_u64_e32 v[18:19], 2, v[4:5]
	v_cndmask_b32_e32 v13, v23, v13, vcc_lo
	s_delay_alu instid0(VALU_DEP_4) | instskip(NEXT) | instid1(VALU_DEP_3)
	v_cmp_ne_u32_e32 vcc_lo, 0, v3
	v_cndmask_b32_e32 v3, v21, v19, vcc_lo
	s_delay_alu instid0(VALU_DEP_3) | instskip(SKIP_1) | instid1(VALU_DEP_1)
	v_cmp_ne_u32_e64 s0, 0, v13
	v_dual_cndmask_b32 v13, v20, v18, vcc_lo :: v_dual_bitop2_b32 v12, s74, v12 bitop3:0x14
	v_dual_cndmask_b32 v3, v5, v3, s0 :: v_dual_cndmask_b32 v4, v4, v13, s0
	s_delay_alu instid0(VALU_DEP_1) | instskip(NEXT) | instid1(VALU_DEP_2)
	v_dual_mov_b32 v13, v12 :: v_dual_bitop2_b32 v5, v3, v12 bitop3:0x14
	v_xor_b32_e32 v4, v4, v12
	s_delay_alu instid0(VALU_DEP_1)
	v_sub_nc_u64_e32 v[12:13], v[4:5], v[12:13]
                                        ; implicit-def: $vgpr4_vgpr5
.LBB47_52:                              ;   in Loop: Header=BB47_3 Depth=1
	s_and_not1_saveexec_b32 s0, s73
	s_cbranch_execz .LBB47_54
; %bb.53:                               ;   in Loop: Header=BB47_3 Depth=1
	v_rcp_iflag_f32_e32 v3, v6
	s_sub_co_i32 s2, 0, s56
	v_mov_b32_e32 v13, v2
	s_delay_alu instid0(TRANS32_DEP_1) | instskip(NEXT) | instid1(VALU_DEP_1)
	v_mul_f32_e32 v3, 0x4f7ffffe, v3
	v_cvt_u32_f32_e32 v3, v3
	s_delay_alu instid0(VALU_DEP_1) | instskip(NEXT) | instid1(VALU_DEP_1)
	v_mul_lo_u32 v5, s2, v3
	v_mul_hi_u32 v5, v3, v5
	s_delay_alu instid0(VALU_DEP_1) | instskip(NEXT) | instid1(VALU_DEP_1)
	v_add_nc_u32_e32 v3, v3, v5
	v_mul_hi_u32 v3, v4, v3
	s_delay_alu instid0(VALU_DEP_1) | instskip(NEXT) | instid1(VALU_DEP_1)
	v_mul_lo_u32 v5, v3, s56
	v_dual_sub_nc_u32 v4, v4, v5 :: v_dual_add_nc_u32 v5, 1, v3
	s_delay_alu instid0(VALU_DEP_1) | instskip(SKIP_1) | instid1(VALU_DEP_2)
	v_subrev_nc_u32_e32 v12, s56, v4
	v_cmp_le_u32_e32 vcc_lo, s56, v4
	v_dual_cndmask_b32 v4, v4, v12 :: v_dual_cndmask_b32 v3, v3, v5
	s_delay_alu instid0(VALU_DEP_1) | instskip(NEXT) | instid1(VALU_DEP_2)
	v_cmp_le_u32_e32 vcc_lo, s56, v4
	v_add_nc_u32_e32 v5, 1, v3
	s_delay_alu instid0(VALU_DEP_1)
	v_cndmask_b32_e32 v12, v3, v5, vcc_lo
.LBB47_54:                              ;   in Loop: Header=BB47_3 Depth=1
	s_or_b32 exec_lo, exec_lo, s0
	s_delay_alu instid0(VALU_DEP_1)
	v_mul_u64_e32 v[4:5], s[56:57], v[12:13]
	v_add_nc_u64_e32 v[18:19], 2, v[8:9]
	v_mul_u64_e32 v[12:13], s[24:25], v[12:13]
	v_bfe_u32 v3, v16, 16, 1
	v_cmp_o_f32_e32 vcc_lo, v16, v16
	s_mov_b32 s0, exec_lo
	s_delay_alu instid0(VALU_DEP_2) | instskip(NEXT) | instid1(VALU_DEP_1)
	v_add3_u32 v3, v16, v3, 0x7fff
	v_lshrrev_b32_e32 v17, 16, v3
	s_delay_alu instid0(VALU_DEP_1) | instskip(SKIP_3) | instid1(VALU_DEP_3)
	v_cndmask_b32_e32 v16, 0x7fc0, v17, vcc_lo
	v_sub_nc_u64_e32 v[10:11], v[10:11], v[4:5]
	v_mul_u64_e32 v[4:5], s[4:5], v[18:19]
	v_lshl_add_u64 v[12:13], v[12:13], 1, s[54:55]
	v_add_nc_u64_e32 v[10:11], v[0:1], v[10:11]
	s_delay_alu instid0(VALU_DEP_1) | instskip(NEXT) | instid1(VALU_DEP_4)
	v_mul_u64_e32 v[18:19], s[26:27], v[10:11]
	v_add_nc_u64_e32 v[10:11], v[0:1], v[4:5]
	s_delay_alu instid0(VALU_DEP_1) | instskip(NEXT) | instid1(VALU_DEP_3)
	v_or_b32_e32 v3, s57, v11
	v_lshl_add_u64 v[12:13], v[18:19], 1, v[12:13]
	global_store_b16 v[12:13], v16, off
                                        ; implicit-def: $vgpr12_vgpr13
	s_wait_xcnt 0x0
	v_cmpx_ne_u64_e32 0, v[2:3]
	s_xor_b32 s73, exec_lo, s0
	s_cbranch_execz .LBB47_56
; %bb.55:                               ;   in Loop: Header=BB47_3 Depth=1
	s_ashr_i32 s74, s57, 31
	v_dual_mov_b32 v17, v2 :: v_dual_ashrrev_i32 v12, 31, v11
	s_mov_b32 s75, s74
	s_delay_alu instid0(SALU_CYCLE_1) | instskip(NEXT) | instid1(VALU_DEP_1)
	s_add_nc_u64 s[76:77], s[56:57], s[74:75]
	v_mov_b32_e32 v13, v12
	s_xor_b64 s[76:77], s[76:77], s[74:75]
	s_delay_alu instid0(SALU_CYCLE_1)
	s_cvt_f32_u32 s0, s76
	s_cvt_f32_u32 s2, s77
	s_sub_nc_u64 s[82:83], 0, s[76:77]
	v_add_nc_u64_e32 v[10:11], v[10:11], v[12:13]
	v_mov_b32_e32 v21, v2
	s_fmamk_f32 s0, s2, 0x4f800000, s0
	s_delay_alu instid0(SALU_CYCLE_3) | instskip(NEXT) | instid1(VALU_DEP_2)
	v_s_rcp_f32 s0, s0
	v_xor_b32_e32 v16, v10, v12
	s_delay_alu instid0(VALU_DEP_3) | instskip(SKIP_1) | instid1(TRANS32_DEP_1)
	v_dual_mov_b32 v25, v2 :: v_dual_bitop2_b32 v20, v11, v12 bitop3:0x14
	v_xor_b32_e32 v12, s74, v12
	s_mul_f32 s0, s0, 0x5f7ffffc
	s_delay_alu instid0(SALU_CYCLE_3) | instskip(NEXT) | instid1(SALU_CYCLE_3)
	s_mul_f32 s2, s0, 0x2f800000
	s_trunc_f32 s2, s2
	s_delay_alu instid0(SALU_CYCLE_3) | instskip(SKIP_1) | instid1(SALU_CYCLE_2)
	s_fmamk_f32 s0, s2, 0xcf800000, s0
	s_cvt_u32_f32 s81, s2
	s_cvt_u32_f32 s80, s0
	s_delay_alu instid0(SALU_CYCLE_3) | instskip(NEXT) | instid1(SALU_CYCLE_1)
	s_mul_u64 s[84:85], s[82:83], s[80:81]
	s_mul_hi_u32 s87, s80, s85
	s_mul_i32 s86, s80, s85
	s_mul_hi_u32 s2, s80, s84
	s_mul_i32 s75, s81, s84
	s_add_nc_u64 s[86:87], s[2:3], s[86:87]
	s_mul_hi_u32 s0, s81, s84
	s_mul_hi_u32 s79, s81, s85
	s_add_co_u32 s2, s86, s75
	s_add_co_ci_u32 s2, s87, s0
	s_mul_i32 s84, s81, s85
	s_add_co_ci_u32 s85, s79, 0
	s_delay_alu instid0(SALU_CYCLE_1) | instskip(NEXT) | instid1(SALU_CYCLE_1)
	s_add_nc_u64 s[84:85], s[2:3], s[84:85]
	s_add_co_u32 s80, s80, s84
	s_cselect_b32 s0, -1, 0
	s_delay_alu instid0(SALU_CYCLE_1) | instskip(SKIP_1) | instid1(SALU_CYCLE_1)
	s_cmp_lg_u32 s0, 0
	s_add_co_ci_u32 s81, s81, s85
	s_mul_u64 s[82:83], s[82:83], s[80:81]
	s_delay_alu instid0(SALU_CYCLE_1)
	s_mul_hi_u32 s85, s80, s83
	s_mul_i32 s84, s80, s83
	s_mul_hi_u32 s2, s80, s82
	s_mul_i32 s75, s81, s82
	s_add_nc_u64 s[84:85], s[2:3], s[84:85]
	s_mul_hi_u32 s0, s81, s82
	s_mul_hi_u32 s79, s81, s83
	s_add_co_u32 s2, s84, s75
	s_add_co_ci_u32 s2, s85, s0
	s_mul_i32 s82, s81, s83
	s_add_co_ci_u32 s83, s79, 0
	s_delay_alu instid0(SALU_CYCLE_1) | instskip(NEXT) | instid1(SALU_CYCLE_1)
	s_add_nc_u64 s[82:83], s[2:3], s[82:83]
	s_add_co_u32 s0, s80, s82
	s_cselect_b32 s2, -1, 0
	v_mul_hi_u32 v24, v16, s0
	s_cmp_lg_u32 s2, 0
	s_add_co_ci_u32 s2, s81, s83
	s_and_b64 s[80:81], s[0:1], s[68:69]
	v_mul_u64_e32 v[18:19], s[2:3], v[16:17]
	v_mul_u64_e32 v[10:11], s[80:81], v[20:21]
	;; [unrolled: 1-line block ×3, first 2 shown]
	s_delay_alu instid0(VALU_DEP_3) | instskip(NEXT) | instid1(VALU_DEP_1)
	v_add_nc_u64_e32 v[18:19], v[24:25], v[18:19]
	v_add_co_u32 v3, vcc_lo, v18, v10
	s_delay_alu instid0(VALU_DEP_2) | instskip(NEXT) | instid1(VALU_DEP_4)
	v_add_co_ci_u32_e32 v24, vcc_lo, v19, v11, vcc_lo
	v_add_co_ci_u32_e32 v23, vcc_lo, 0, v23, vcc_lo
	s_delay_alu instid0(VALU_DEP_1) | instskip(NEXT) | instid1(VALU_DEP_1)
	v_add_nc_u64_e32 v[10:11], v[24:25], v[22:23]
	v_mul_u64_e32 v[18:19], s[76:77], v[10:11]
	s_delay_alu instid0(VALU_DEP_1) | instskip(NEXT) | instid1(VALU_DEP_2)
	v_sub_nc_u32_e32 v3, v20, v19
	v_sub_co_u32 v13, vcc_lo, v16, v18
	s_delay_alu instid0(VALU_DEP_1) | instskip(NEXT) | instid1(VALU_DEP_3)
	v_sub_co_ci_u32_e64 v20, null, v20, v19, vcc_lo
	v_subrev_co_ci_u32_e64 v3, null, s77, v3, vcc_lo
	s_delay_alu instid0(VALU_DEP_3) | instskip(SKIP_1) | instid1(VALU_DEP_3)
	v_sub_co_u32 v16, s0, v13, s76
	v_add_nc_u64_e32 v[18:19], 1, v[10:11]
	v_subrev_co_ci_u32_e64 v3, null, 0, v3, s0
	s_delay_alu instid0(VALU_DEP_3) | instskip(SKIP_1) | instid1(VALU_DEP_3)
	v_cmp_le_u32_e32 vcc_lo, s76, v16
	v_cndmask_b32_e64 v16, 0, -1, vcc_lo
	v_cmp_le_u32_e32 vcc_lo, s77, v3
	v_cndmask_b32_e64 v17, 0, -1, vcc_lo
	;; [unrolled: 2-line block ×4, first 2 shown]
	v_cmp_eq_u32_e32 vcc_lo, s77, v3
	v_cndmask_b32_e32 v3, v17, v16, vcc_lo
	v_cmp_eq_u32_e32 vcc_lo, s77, v20
	v_add_nc_u64_e32 v[16:17], 2, v[10:11]
	v_cndmask_b32_e32 v13, v21, v13, vcc_lo
	s_delay_alu instid0(VALU_DEP_4) | instskip(NEXT) | instid1(VALU_DEP_2)
	v_cmp_ne_u32_e32 vcc_lo, 0, v3
	v_cmp_ne_u32_e64 s0, 0, v13
	s_delay_alu instid0(VALU_DEP_4) | instskip(NEXT) | instid1(VALU_DEP_1)
	v_dual_cndmask_b32 v3, v19, v17, vcc_lo :: v_dual_cndmask_b32 v13, v18, v16, vcc_lo
	v_dual_cndmask_b32 v10, v10, v13, s0 :: v_dual_mov_b32 v13, v12
	s_delay_alu instid0(VALU_DEP_1) | instskip(NEXT) | instid1(VALU_DEP_1)
	v_dual_cndmask_b32 v3, v11, v3, s0 :: v_dual_bitop2_b32 v10, v10, v12 bitop3:0x14
	v_xor_b32_e32 v11, v3, v12
	s_delay_alu instid0(VALU_DEP_1)
	v_sub_nc_u64_e32 v[12:13], v[10:11], v[12:13]
                                        ; implicit-def: $vgpr10_vgpr11
.LBB47_56:                              ;   in Loop: Header=BB47_3 Depth=1
	s_and_not1_saveexec_b32 s0, s73
	s_cbranch_execz .LBB47_58
; %bb.57:                               ;   in Loop: Header=BB47_3 Depth=1
	v_rcp_iflag_f32_e32 v3, v6
	s_sub_co_i32 s2, 0, s56
	v_mov_b32_e32 v13, v2
	s_delay_alu instid0(TRANS32_DEP_1) | instskip(NEXT) | instid1(VALU_DEP_1)
	v_mul_f32_e32 v3, 0x4f7ffffe, v3
	v_cvt_u32_f32_e32 v3, v3
	s_delay_alu instid0(VALU_DEP_1) | instskip(NEXT) | instid1(VALU_DEP_1)
	v_mul_lo_u32 v11, s2, v3
	v_mul_hi_u32 v11, v3, v11
	s_delay_alu instid0(VALU_DEP_1) | instskip(NEXT) | instid1(VALU_DEP_1)
	v_add_nc_u32_e32 v3, v3, v11
	v_mul_hi_u32 v3, v10, v3
	s_delay_alu instid0(VALU_DEP_1) | instskip(NEXT) | instid1(VALU_DEP_1)
	v_mul_lo_u32 v11, v3, s56
	v_sub_nc_u32_e32 v10, v10, v11
	v_add_nc_u32_e32 v11, 1, v3
	s_delay_alu instid0(VALU_DEP_2) | instskip(SKIP_1) | instid1(VALU_DEP_2)
	v_subrev_nc_u32_e32 v12, s56, v10
	v_cmp_le_u32_e32 vcc_lo, s56, v10
	v_dual_cndmask_b32 v10, v10, v12 :: v_dual_cndmask_b32 v3, v3, v11
	s_delay_alu instid0(VALU_DEP_1) | instskip(NEXT) | instid1(VALU_DEP_2)
	v_cmp_le_u32_e32 vcc_lo, s56, v10
	v_add_nc_u32_e32 v11, 1, v3
	s_delay_alu instid0(VALU_DEP_1)
	v_cndmask_b32_e32 v12, v3, v11, vcc_lo
.LBB47_58:                              ;   in Loop: Header=BB47_3 Depth=1
	s_or_b32 exec_lo, exec_lo, s0
	s_delay_alu instid0(VALU_DEP_1)
	v_mul_u64_e32 v[10:11], s[56:57], v[12:13]
	v_add_nc_u64_e32 v[16:17], 3, v[8:9]
	v_mul_u64_e32 v[12:13], s[24:25], v[12:13]
	v_bfe_u32 v3, v15, 16, 1
	v_cmp_o_f32_e32 vcc_lo, v15, v15
	s_mov_b32 s0, exec_lo
	s_delay_alu instid0(VALU_DEP_2) | instskip(NEXT) | instid1(VALU_DEP_1)
	v_add3_u32 v3, v15, v3, 0x7fff
	v_lshrrev_b32_e32 v18, 16, v3
	s_delay_alu instid0(VALU_DEP_1) | instskip(SKIP_3) | instid1(VALU_DEP_3)
	v_cndmask_b32_e32 v15, 0x7fc0, v18, vcc_lo
	v_sub_nc_u64_e32 v[10:11], v[4:5], v[10:11]
	v_mul_u64_e32 v[4:5], s[4:5], v[16:17]
	v_lshl_add_u64 v[12:13], v[12:13], 1, s[54:55]
	v_add_nc_u64_e32 v[10:11], v[0:1], v[10:11]
	s_delay_alu instid0(VALU_DEP_1) | instskip(NEXT) | instid1(VALU_DEP_4)
	v_mul_u64_e32 v[16:17], s[26:27], v[10:11]
	v_add_nc_u64_e32 v[10:11], v[0:1], v[4:5]
	s_delay_alu instid0(VALU_DEP_1) | instskip(NEXT) | instid1(VALU_DEP_3)
	v_or_b32_e32 v3, s57, v11
	v_lshl_add_u64 v[12:13], v[16:17], 1, v[12:13]
	global_store_b16 v[12:13], v15, off
                                        ; implicit-def: $vgpr12_vgpr13
	s_wait_xcnt 0x0
	v_cmpx_ne_u64_e32 0, v[2:3]
	s_xor_b32 s73, exec_lo, s0
	s_cbranch_execz .LBB47_60
; %bb.59:                               ;   in Loop: Header=BB47_3 Depth=1
	s_ashr_i32 s74, s57, 31
	v_dual_mov_b32 v17, v2 :: v_dual_ashrrev_i32 v12, 31, v11
	s_mov_b32 s75, s74
	s_delay_alu instid0(SALU_CYCLE_1) | instskip(NEXT) | instid1(VALU_DEP_1)
	s_add_nc_u64 s[76:77], s[56:57], s[74:75]
	v_mov_b32_e32 v13, v12
	s_xor_b64 s[76:77], s[76:77], s[74:75]
	s_delay_alu instid0(SALU_CYCLE_1)
	s_cvt_f32_u32 s0, s76
	s_cvt_f32_u32 s2, s77
	s_sub_nc_u64 s[82:83], 0, s[76:77]
	v_add_nc_u64_e32 v[10:11], v[10:11], v[12:13]
	v_mov_b32_e32 v21, v2
	s_fmamk_f32 s0, s2, 0x4f800000, s0
	s_delay_alu instid0(SALU_CYCLE_3) | instskip(NEXT) | instid1(VALU_DEP_2)
	v_s_rcp_f32 s0, s0
	v_xor_b32_e32 v16, v10, v12
	s_delay_alu instid0(VALU_DEP_3) | instskip(NEXT) | instid1(TRANS32_DEP_1)
	v_dual_mov_b32 v25, v2 :: v_dual_bitop2_b32 v20, v11, v12 bitop3:0x14
	s_mul_f32 s0, s0, 0x5f7ffffc
	s_delay_alu instid0(SALU_CYCLE_3) | instskip(NEXT) | instid1(SALU_CYCLE_3)
	s_mul_f32 s2, s0, 0x2f800000
	s_trunc_f32 s2, s2
	s_delay_alu instid0(SALU_CYCLE_3) | instskip(SKIP_1) | instid1(SALU_CYCLE_2)
	s_fmamk_f32 s0, s2, 0xcf800000, s0
	s_cvt_u32_f32 s81, s2
	s_cvt_u32_f32 s80, s0
	s_delay_alu instid0(SALU_CYCLE_3) | instskip(NEXT) | instid1(SALU_CYCLE_1)
	s_mul_u64 s[84:85], s[82:83], s[80:81]
	s_mul_hi_u32 s87, s80, s85
	s_mul_i32 s86, s80, s85
	s_mul_hi_u32 s2, s80, s84
	s_mul_i32 s75, s81, s84
	s_add_nc_u64 s[86:87], s[2:3], s[86:87]
	s_mul_hi_u32 s0, s81, s84
	s_mul_hi_u32 s79, s81, s85
	s_add_co_u32 s2, s86, s75
	s_add_co_ci_u32 s2, s87, s0
	s_mul_i32 s84, s81, s85
	s_add_co_ci_u32 s85, s79, 0
	s_delay_alu instid0(SALU_CYCLE_1) | instskip(NEXT) | instid1(SALU_CYCLE_1)
	s_add_nc_u64 s[84:85], s[2:3], s[84:85]
	s_add_co_u32 s80, s80, s84
	s_cselect_b32 s0, -1, 0
	s_delay_alu instid0(SALU_CYCLE_1) | instskip(SKIP_1) | instid1(SALU_CYCLE_1)
	s_cmp_lg_u32 s0, 0
	s_add_co_ci_u32 s81, s81, s85
	s_mul_u64 s[82:83], s[82:83], s[80:81]
	s_delay_alu instid0(SALU_CYCLE_1)
	s_mul_hi_u32 s85, s80, s83
	s_mul_i32 s84, s80, s83
	s_mul_hi_u32 s2, s80, s82
	s_mul_i32 s75, s81, s82
	s_add_nc_u64 s[84:85], s[2:3], s[84:85]
	s_mul_hi_u32 s0, s81, s82
	s_mul_hi_u32 s79, s81, s83
	s_add_co_u32 s2, s84, s75
	s_add_co_ci_u32 s2, s85, s0
	s_mul_i32 s82, s81, s83
	s_add_co_ci_u32 s83, s79, 0
	s_delay_alu instid0(SALU_CYCLE_1) | instskip(NEXT) | instid1(SALU_CYCLE_1)
	s_add_nc_u64 s[82:83], s[2:3], s[82:83]
	s_add_co_u32 s0, s80, s82
	s_cselect_b32 s2, -1, 0
	v_mul_hi_u32 v24, v16, s0
	s_cmp_lg_u32 s2, 0
	s_add_co_ci_u32 s2, s81, s83
	s_and_b64 s[80:81], s[0:1], s[68:69]
	v_mul_u64_e32 v[18:19], s[2:3], v[16:17]
	v_mul_u64_e32 v[10:11], s[80:81], v[20:21]
	;; [unrolled: 1-line block ×3, first 2 shown]
	s_delay_alu instid0(VALU_DEP_3) | instskip(NEXT) | instid1(VALU_DEP_1)
	v_add_nc_u64_e32 v[18:19], v[24:25], v[18:19]
	v_add_co_u32 v3, vcc_lo, v18, v10
	s_delay_alu instid0(VALU_DEP_2) | instskip(NEXT) | instid1(VALU_DEP_4)
	v_add_co_ci_u32_e32 v24, vcc_lo, v19, v11, vcc_lo
	v_add_co_ci_u32_e32 v23, vcc_lo, 0, v23, vcc_lo
	s_delay_alu instid0(VALU_DEP_1) | instskip(NEXT) | instid1(VALU_DEP_1)
	v_add_nc_u64_e32 v[10:11], v[24:25], v[22:23]
	v_mul_u64_e32 v[18:19], s[76:77], v[10:11]
	s_delay_alu instid0(VALU_DEP_1) | instskip(NEXT) | instid1(VALU_DEP_2)
	v_sub_nc_u32_e32 v3, v20, v19
	v_sub_co_u32 v13, vcc_lo, v16, v18
	s_delay_alu instid0(VALU_DEP_1) | instskip(NEXT) | instid1(VALU_DEP_3)
	v_sub_co_ci_u32_e64 v20, null, v20, v19, vcc_lo
	v_subrev_co_ci_u32_e64 v3, null, s77, v3, vcc_lo
	s_delay_alu instid0(VALU_DEP_3) | instskip(SKIP_1) | instid1(VALU_DEP_3)
	v_sub_co_u32 v15, s0, v13, s76
	v_add_nc_u64_e32 v[18:19], 1, v[10:11]
	v_subrev_co_ci_u32_e64 v3, null, 0, v3, s0
	s_delay_alu instid0(VALU_DEP_3) | instskip(SKIP_1) | instid1(VALU_DEP_3)
	v_cmp_le_u32_e32 vcc_lo, s76, v15
	v_cndmask_b32_e64 v15, 0, -1, vcc_lo
	v_cmp_le_u32_e32 vcc_lo, s77, v3
	v_cndmask_b32_e64 v16, 0, -1, vcc_lo
	;; [unrolled: 2-line block ×4, first 2 shown]
	v_cmp_eq_u32_e32 vcc_lo, s77, v3
	v_cndmask_b32_e32 v3, v16, v15, vcc_lo
	v_cmp_eq_u32_e32 vcc_lo, s77, v20
	v_add_nc_u64_e32 v[16:17], 2, v[10:11]
	v_cndmask_b32_e32 v13, v21, v13, vcc_lo
	s_delay_alu instid0(VALU_DEP_4) | instskip(NEXT) | instid1(VALU_DEP_2)
	v_cmp_ne_u32_e32 vcc_lo, 0, v3
	v_cmp_ne_u32_e64 s0, 0, v13
	s_delay_alu instid0(VALU_DEP_4) | instskip(NEXT) | instid1(VALU_DEP_1)
	v_dual_cndmask_b32 v3, v19, v17, vcc_lo :: v_dual_cndmask_b32 v13, v18, v16, vcc_lo
	v_dual_cndmask_b32 v3, v11, v3, s0 :: v_dual_bitop2_b32 v12, s74, v12 bitop3:0x14
	s_delay_alu instid0(VALU_DEP_1) | instskip(NEXT) | instid1(VALU_DEP_2)
	v_dual_cndmask_b32 v10, v10, v13, s0 :: v_dual_mov_b32 v13, v12
	v_xor_b32_e32 v11, v3, v12
	s_delay_alu instid0(VALU_DEP_2) | instskip(NEXT) | instid1(VALU_DEP_1)
	v_xor_b32_e32 v10, v10, v12
	v_sub_nc_u64_e32 v[12:13], v[10:11], v[12:13]
                                        ; implicit-def: $vgpr10_vgpr11
.LBB47_60:                              ;   in Loop: Header=BB47_3 Depth=1
	s_and_not1_saveexec_b32 s0, s73
	s_cbranch_execz .LBB47_62
; %bb.61:                               ;   in Loop: Header=BB47_3 Depth=1
	v_rcp_iflag_f32_e32 v3, v6
	s_sub_co_i32 s2, 0, s56
	v_mov_b32_e32 v13, v2
	s_delay_alu instid0(TRANS32_DEP_1) | instskip(NEXT) | instid1(VALU_DEP_1)
	v_mul_f32_e32 v3, 0x4f7ffffe, v3
	v_cvt_u32_f32_e32 v3, v3
	s_delay_alu instid0(VALU_DEP_1) | instskip(NEXT) | instid1(VALU_DEP_1)
	v_mul_lo_u32 v11, s2, v3
	v_mul_hi_u32 v11, v3, v11
	s_delay_alu instid0(VALU_DEP_1) | instskip(NEXT) | instid1(VALU_DEP_1)
	v_add_nc_u32_e32 v3, v3, v11
	v_mul_hi_u32 v3, v10, v3
	s_delay_alu instid0(VALU_DEP_1) | instskip(NEXT) | instid1(VALU_DEP_1)
	v_mul_lo_u32 v11, v3, s56
	v_sub_nc_u32_e32 v10, v10, v11
	v_add_nc_u32_e32 v11, 1, v3
	s_delay_alu instid0(VALU_DEP_2) | instskip(SKIP_1) | instid1(VALU_DEP_2)
	v_subrev_nc_u32_e32 v12, s56, v10
	v_cmp_le_u32_e32 vcc_lo, s56, v10
	v_dual_cndmask_b32 v10, v10, v12 :: v_dual_cndmask_b32 v3, v3, v11
	s_delay_alu instid0(VALU_DEP_1) | instskip(NEXT) | instid1(VALU_DEP_2)
	v_cmp_le_u32_e32 vcc_lo, s56, v10
	v_add_nc_u32_e32 v11, 1, v3
	s_delay_alu instid0(VALU_DEP_1)
	v_cndmask_b32_e32 v12, v3, v11, vcc_lo
.LBB47_62:                              ;   in Loop: Header=BB47_3 Depth=1
	s_or_b32 exec_lo, exec_lo, s0
	s_delay_alu instid0(VALU_DEP_1) | instskip(SKIP_2) | instid1(VALU_DEP_2)
	v_mul_u64_e32 v[10:11], s[56:57], v[12:13]
	v_add_nc_u64_e32 v[8:9], 4, v[8:9]
	s_mov_b32 s0, exec_lo
	v_sub_nc_u64_e32 v[10:11], v[4:5], v[10:11]
	s_delay_alu instid0(VALU_DEP_2) | instskip(NEXT) | instid1(VALU_DEP_2)
	v_mul_u64_e32 v[4:5], s[4:5], v[8:9]
	v_add_nc_u64_e32 v[8:9], v[0:1], v[10:11]
	v_mul_u64_e32 v[10:11], s[24:25], v[12:13]
	s_delay_alu instid0(VALU_DEP_2) | instskip(NEXT) | instid1(VALU_DEP_4)
	v_mul_u64_e32 v[12:13], s[26:27], v[8:9]
	v_add_nc_u64_e32 v[8:9], v[0:1], v[4:5]
	s_delay_alu instid0(VALU_DEP_3) | instskip(NEXT) | instid1(VALU_DEP_2)
	v_lshl_add_u64 v[10:11], v[10:11], 1, s[54:55]
	v_or_b32_e32 v3, s57, v9
	s_delay_alu instid0(VALU_DEP_2)
	v_lshl_add_u64 v[10:11], v[12:13], 1, v[10:11]
	global_store_b16 v[10:11], v14, off
                                        ; implicit-def: $vgpr10_vgpr11
	s_wait_xcnt 0x0
	v_cmpx_ne_u64_e32 0, v[2:3]
	s_xor_b32 s73, exec_lo, s0
	s_cbranch_execz .LBB47_64
; %bb.63:                               ;   in Loop: Header=BB47_3 Depth=1
	s_ashr_i32 s74, s57, 31
	v_dual_mov_b32 v13, v2 :: v_dual_ashrrev_i32 v10, 31, v9
	s_mov_b32 s75, s74
	s_delay_alu instid0(SALU_CYCLE_1) | instskip(NEXT) | instid1(VALU_DEP_1)
	s_add_nc_u64 s[76:77], s[56:57], s[74:75]
	v_mov_b32_e32 v11, v10
	s_xor_b64 s[76:77], s[76:77], s[74:75]
	s_delay_alu instid0(SALU_CYCLE_1)
	s_cvt_f32_u32 s0, s76
	s_cvt_f32_u32 s2, s77
	s_sub_nc_u64 s[82:83], 0, s[76:77]
	v_add_nc_u64_e32 v[8:9], v[8:9], v[10:11]
	v_mov_b32_e32 v17, v2
	s_fmamk_f32 s0, s2, 0x4f800000, s0
	s_delay_alu instid0(SALU_CYCLE_3) | instskip(NEXT) | instid1(VALU_DEP_2)
	v_s_rcp_f32 s0, s0
	v_xor_b32_e32 v12, v8, v10
	s_delay_alu instid0(VALU_DEP_3) | instskip(NEXT) | instid1(TRANS32_DEP_1)
	v_dual_mov_b32 v21, v2 :: v_dual_bitop2_b32 v16, v9, v10 bitop3:0x14
	s_mul_f32 s0, s0, 0x5f7ffffc
	s_delay_alu instid0(SALU_CYCLE_3) | instskip(NEXT) | instid1(SALU_CYCLE_3)
	s_mul_f32 s2, s0, 0x2f800000
	s_trunc_f32 s2, s2
	s_delay_alu instid0(SALU_CYCLE_3) | instskip(SKIP_1) | instid1(SALU_CYCLE_2)
	s_fmamk_f32 s0, s2, 0xcf800000, s0
	s_cvt_u32_f32 s81, s2
	s_cvt_u32_f32 s80, s0
	s_delay_alu instid0(SALU_CYCLE_3) | instskip(NEXT) | instid1(SALU_CYCLE_1)
	s_mul_u64 s[84:85], s[82:83], s[80:81]
	s_mul_hi_u32 s87, s80, s85
	s_mul_i32 s86, s80, s85
	s_mul_hi_u32 s2, s80, s84
	s_mul_i32 s75, s81, s84
	s_add_nc_u64 s[86:87], s[2:3], s[86:87]
	s_mul_hi_u32 s0, s81, s84
	s_mul_hi_u32 s79, s81, s85
	s_add_co_u32 s2, s86, s75
	s_add_co_ci_u32 s2, s87, s0
	s_mul_i32 s84, s81, s85
	s_add_co_ci_u32 s85, s79, 0
	s_delay_alu instid0(SALU_CYCLE_1) | instskip(NEXT) | instid1(SALU_CYCLE_1)
	s_add_nc_u64 s[84:85], s[2:3], s[84:85]
	s_add_co_u32 s80, s80, s84
	s_cselect_b32 s0, -1, 0
	s_delay_alu instid0(SALU_CYCLE_1) | instskip(SKIP_1) | instid1(SALU_CYCLE_1)
	s_cmp_lg_u32 s0, 0
	s_add_co_ci_u32 s81, s81, s85
	s_mul_u64 s[82:83], s[82:83], s[80:81]
	s_delay_alu instid0(SALU_CYCLE_1)
	s_mul_hi_u32 s85, s80, s83
	s_mul_i32 s84, s80, s83
	s_mul_hi_u32 s2, s80, s82
	s_mul_i32 s75, s81, s82
	s_add_nc_u64 s[84:85], s[2:3], s[84:85]
	s_mul_hi_u32 s0, s81, s82
	s_mul_hi_u32 s79, s81, s83
	s_add_co_u32 s2, s84, s75
	s_add_co_ci_u32 s2, s85, s0
	s_mul_i32 s82, s81, s83
	s_add_co_ci_u32 s83, s79, 0
	s_delay_alu instid0(SALU_CYCLE_1) | instskip(NEXT) | instid1(SALU_CYCLE_1)
	s_add_nc_u64 s[82:83], s[2:3], s[82:83]
	s_add_co_u32 s0, s80, s82
	s_cselect_b32 s2, -1, 0
	v_mul_hi_u32 v20, v12, s0
	s_cmp_lg_u32 s2, 0
	s_add_co_ci_u32 s2, s81, s83
	s_and_b64 s[80:81], s[0:1], s[68:69]
	v_mul_u64_e32 v[14:15], s[2:3], v[12:13]
	v_mul_u64_e32 v[8:9], s[80:81], v[16:17]
	;; [unrolled: 1-line block ×3, first 2 shown]
	s_delay_alu instid0(VALU_DEP_3) | instskip(NEXT) | instid1(VALU_DEP_1)
	v_add_nc_u64_e32 v[14:15], v[20:21], v[14:15]
	v_add_co_u32 v3, vcc_lo, v14, v8
	s_delay_alu instid0(VALU_DEP_2) | instskip(NEXT) | instid1(VALU_DEP_4)
	v_add_co_ci_u32_e32 v20, vcc_lo, v15, v9, vcc_lo
	v_add_co_ci_u32_e32 v19, vcc_lo, 0, v19, vcc_lo
	s_delay_alu instid0(VALU_DEP_1) | instskip(NEXT) | instid1(VALU_DEP_1)
	v_add_nc_u64_e32 v[8:9], v[20:21], v[18:19]
	v_mul_u64_e32 v[14:15], s[76:77], v[8:9]
	s_delay_alu instid0(VALU_DEP_1) | instskip(NEXT) | instid1(VALU_DEP_2)
	v_sub_nc_u32_e32 v3, v16, v15
	v_sub_co_u32 v6, vcc_lo, v12, v14
	s_delay_alu instid0(VALU_DEP_1) | instskip(NEXT) | instid1(VALU_DEP_3)
	v_sub_co_ci_u32_e64 v16, null, v16, v15, vcc_lo
	v_subrev_co_ci_u32_e64 v3, null, s77, v3, vcc_lo
	s_delay_alu instid0(VALU_DEP_3) | instskip(SKIP_1) | instid1(VALU_DEP_3)
	v_sub_co_u32 v11, s0, v6, s76
	v_add_nc_u64_e32 v[14:15], 1, v[8:9]
	v_subrev_co_ci_u32_e64 v3, null, 0, v3, s0
	s_delay_alu instid0(VALU_DEP_3) | instskip(SKIP_1) | instid1(VALU_DEP_3)
	v_cmp_le_u32_e32 vcc_lo, s76, v11
	v_cndmask_b32_e64 v11, 0, -1, vcc_lo
	v_cmp_le_u32_e32 vcc_lo, s77, v3
	v_cndmask_b32_e64 v12, 0, -1, vcc_lo
	;; [unrolled: 2-line block ×4, first 2 shown]
	v_cmp_eq_u32_e32 vcc_lo, s77, v3
	v_cndmask_b32_e32 v3, v12, v11, vcc_lo
	v_cmp_eq_u32_e32 vcc_lo, s77, v16
	v_add_nc_u64_e32 v[12:13], 2, v[8:9]
	v_cndmask_b32_e32 v6, v17, v6, vcc_lo
	s_delay_alu instid0(VALU_DEP_4) | instskip(NEXT) | instid1(VALU_DEP_2)
	v_cmp_ne_u32_e32 vcc_lo, 0, v3
	v_cmp_ne_u32_e64 s0, 0, v6
	s_delay_alu instid0(VALU_DEP_4) | instskip(NEXT) | instid1(VALU_DEP_1)
	v_dual_cndmask_b32 v3, v15, v13 :: v_dual_cndmask_b32 v6, v14, v12
	v_dual_cndmask_b32 v3, v9, v3, s0 :: v_dual_bitop2_b32 v10, s74, v10 bitop3:0x14
	s_delay_alu instid0(VALU_DEP_1) | instskip(NEXT) | instid1(VALU_DEP_2)
	v_dual_cndmask_b32 v6, v8, v6, s0 :: v_dual_mov_b32 v11, v10
	v_xor_b32_e32 v9, v3, v10
	s_delay_alu instid0(VALU_DEP_2) | instskip(NEXT) | instid1(VALU_DEP_1)
	v_xor_b32_e32 v8, v6, v10
                                        ; implicit-def: $vgpr6
	v_sub_nc_u64_e32 v[10:11], v[8:9], v[10:11]
                                        ; implicit-def: $vgpr8_vgpr9
.LBB47_64:                              ;   in Loop: Header=BB47_3 Depth=1
	s_and_not1_saveexec_b32 s0, s73
	s_cbranch_execz .LBB47_2
; %bb.65:                               ;   in Loop: Header=BB47_3 Depth=1
	v_rcp_iflag_f32_e32 v3, v6
	s_sub_co_i32 s2, 0, s56
	v_mov_b32_e32 v11, v2
	s_delay_alu instid0(TRANS32_DEP_1) | instskip(NEXT) | instid1(VALU_DEP_1)
	v_mul_f32_e32 v3, 0x4f7ffffe, v3
	v_cvt_u32_f32_e32 v3, v3
	s_delay_alu instid0(VALU_DEP_1) | instskip(NEXT) | instid1(VALU_DEP_1)
	v_mul_lo_u32 v6, s2, v3
	v_mul_hi_u32 v6, v3, v6
	s_delay_alu instid0(VALU_DEP_1) | instskip(NEXT) | instid1(VALU_DEP_1)
	v_add_nc_u32_e32 v3, v3, v6
	v_mul_hi_u32 v3, v8, v3
	s_delay_alu instid0(VALU_DEP_1) | instskip(NEXT) | instid1(VALU_DEP_1)
	v_mul_lo_u32 v6, v3, s56
	v_dual_sub_nc_u32 v6, v8, v6 :: v_dual_add_nc_u32 v8, 1, v3
	s_delay_alu instid0(VALU_DEP_1) | instskip(SKIP_1) | instid1(VALU_DEP_2)
	v_subrev_nc_u32_e32 v9, s56, v6
	v_cmp_le_u32_e32 vcc_lo, s56, v6
	v_dual_cndmask_b32 v6, v6, v9 :: v_dual_cndmask_b32 v3, v3, v8
	s_delay_alu instid0(VALU_DEP_1) | instskip(NEXT) | instid1(VALU_DEP_2)
	v_cmp_le_u32_e32 vcc_lo, s56, v6
	v_add_nc_u32_e32 v8, 1, v3
	s_delay_alu instid0(VALU_DEP_1)
	v_cndmask_b32_e32 v10, v3, v8, vcc_lo
	s_branch .LBB47_2
.LBB47_66:
	s_endpgm
	.section	.rodata,"a",@progbits
	.p2align	6, 0x0
	.amdhsa_kernel _ZN2at6native12_GLOBAL__N_16kernel16gru_cell_forwardIN3c108BFloat16EflLi2EEEvNS_4cuda6detail10TensorInfoIT_T1_EESB_SB_SB_SB_SB_SB_SA_SA_
		.amdhsa_group_segment_fixed_size 0
		.amdhsa_private_segment_fixed_size 0
		.amdhsa_kernarg_size 3184
		.amdhsa_user_sgpr_count 2
		.amdhsa_user_sgpr_dispatch_ptr 0
		.amdhsa_user_sgpr_queue_ptr 0
		.amdhsa_user_sgpr_kernarg_segment_ptr 1
		.amdhsa_user_sgpr_dispatch_id 0
		.amdhsa_user_sgpr_kernarg_preload_length 0
		.amdhsa_user_sgpr_kernarg_preload_offset 0
		.amdhsa_user_sgpr_private_segment_size 0
		.amdhsa_wavefront_size32 1
		.amdhsa_uses_dynamic_stack 0
		.amdhsa_enable_private_segment 0
		.amdhsa_system_sgpr_workgroup_id_x 1
		.amdhsa_system_sgpr_workgroup_id_y 0
		.amdhsa_system_sgpr_workgroup_id_z 0
		.amdhsa_system_sgpr_workgroup_info 0
		.amdhsa_system_vgpr_workitem_id 0
		.amdhsa_next_free_vgpr 42
		.amdhsa_next_free_sgpr 88
		.amdhsa_named_barrier_count 0
		.amdhsa_reserve_vcc 1
		.amdhsa_float_round_mode_32 0
		.amdhsa_float_round_mode_16_64 0
		.amdhsa_float_denorm_mode_32 3
		.amdhsa_float_denorm_mode_16_64 3
		.amdhsa_fp16_overflow 0
		.amdhsa_memory_ordered 1
		.amdhsa_forward_progress 1
		.amdhsa_inst_pref_size 103
		.amdhsa_round_robin_scheduling 0
		.amdhsa_exception_fp_ieee_invalid_op 0
		.amdhsa_exception_fp_denorm_src 0
		.amdhsa_exception_fp_ieee_div_zero 0
		.amdhsa_exception_fp_ieee_overflow 0
		.amdhsa_exception_fp_ieee_underflow 0
		.amdhsa_exception_fp_ieee_inexact 0
		.amdhsa_exception_int_div_zero 0
	.end_amdhsa_kernel
	.section	.text._ZN2at6native12_GLOBAL__N_16kernel16gru_cell_forwardIN3c108BFloat16EflLi2EEEvNS_4cuda6detail10TensorInfoIT_T1_EESB_SB_SB_SB_SB_SB_SA_SA_,"axG",@progbits,_ZN2at6native12_GLOBAL__N_16kernel16gru_cell_forwardIN3c108BFloat16EflLi2EEEvNS_4cuda6detail10TensorInfoIT_T1_EESB_SB_SB_SB_SB_SB_SA_SA_,comdat
.Lfunc_end47:
	.size	_ZN2at6native12_GLOBAL__N_16kernel16gru_cell_forwardIN3c108BFloat16EflLi2EEEvNS_4cuda6detail10TensorInfoIT_T1_EESB_SB_SB_SB_SB_SB_SA_SA_, .Lfunc_end47-_ZN2at6native12_GLOBAL__N_16kernel16gru_cell_forwardIN3c108BFloat16EflLi2EEEvNS_4cuda6detail10TensorInfoIT_T1_EESB_SB_SB_SB_SB_SB_SA_SA_
                                        ; -- End function
	.set _ZN2at6native12_GLOBAL__N_16kernel16gru_cell_forwardIN3c108BFloat16EflLi2EEEvNS_4cuda6detail10TensorInfoIT_T1_EESB_SB_SB_SB_SB_SB_SA_SA_.num_vgpr, 42
	.set _ZN2at6native12_GLOBAL__N_16kernel16gru_cell_forwardIN3c108BFloat16EflLi2EEEvNS_4cuda6detail10TensorInfoIT_T1_EESB_SB_SB_SB_SB_SB_SA_SA_.num_agpr, 0
	.set _ZN2at6native12_GLOBAL__N_16kernel16gru_cell_forwardIN3c108BFloat16EflLi2EEEvNS_4cuda6detail10TensorInfoIT_T1_EESB_SB_SB_SB_SB_SB_SA_SA_.numbered_sgpr, 88
	.set _ZN2at6native12_GLOBAL__N_16kernel16gru_cell_forwardIN3c108BFloat16EflLi2EEEvNS_4cuda6detail10TensorInfoIT_T1_EESB_SB_SB_SB_SB_SB_SA_SA_.num_named_barrier, 0
	.set _ZN2at6native12_GLOBAL__N_16kernel16gru_cell_forwardIN3c108BFloat16EflLi2EEEvNS_4cuda6detail10TensorInfoIT_T1_EESB_SB_SB_SB_SB_SB_SA_SA_.private_seg_size, 0
	.set _ZN2at6native12_GLOBAL__N_16kernel16gru_cell_forwardIN3c108BFloat16EflLi2EEEvNS_4cuda6detail10TensorInfoIT_T1_EESB_SB_SB_SB_SB_SB_SA_SA_.uses_vcc, 1
	.set _ZN2at6native12_GLOBAL__N_16kernel16gru_cell_forwardIN3c108BFloat16EflLi2EEEvNS_4cuda6detail10TensorInfoIT_T1_EESB_SB_SB_SB_SB_SB_SA_SA_.uses_flat_scratch, 0
	.set _ZN2at6native12_GLOBAL__N_16kernel16gru_cell_forwardIN3c108BFloat16EflLi2EEEvNS_4cuda6detail10TensorInfoIT_T1_EESB_SB_SB_SB_SB_SB_SA_SA_.has_dyn_sized_stack, 0
	.set _ZN2at6native12_GLOBAL__N_16kernel16gru_cell_forwardIN3c108BFloat16EflLi2EEEvNS_4cuda6detail10TensorInfoIT_T1_EESB_SB_SB_SB_SB_SB_SA_SA_.has_recursion, 0
	.set _ZN2at6native12_GLOBAL__N_16kernel16gru_cell_forwardIN3c108BFloat16EflLi2EEEvNS_4cuda6detail10TensorInfoIT_T1_EESB_SB_SB_SB_SB_SB_SA_SA_.has_indirect_call, 0
	.section	.AMDGPU.csdata,"",@progbits
; Kernel info:
; codeLenInByte = 13068
; TotalNumSgprs: 90
; NumVgprs: 42
; ScratchSize: 0
; MemoryBound: 0
; FloatMode: 240
; IeeeMode: 1
; LDSByteSize: 0 bytes/workgroup (compile time only)
; SGPRBlocks: 0
; VGPRBlocks: 2
; NumSGPRsForWavesPerEU: 90
; NumVGPRsForWavesPerEU: 42
; NamedBarCnt: 0
; Occupancy: 16
; WaveLimiterHint : 1
; COMPUTE_PGM_RSRC2:SCRATCH_EN: 0
; COMPUTE_PGM_RSRC2:USER_SGPR: 2
; COMPUTE_PGM_RSRC2:TRAP_HANDLER: 0
; COMPUTE_PGM_RSRC2:TGID_X_EN: 1
; COMPUTE_PGM_RSRC2:TGID_Y_EN: 0
; COMPUTE_PGM_RSRC2:TGID_Z_EN: 0
; COMPUTE_PGM_RSRC2:TIDIG_COMP_CNT: 0
	.section	.text._ZN2at6native12_GLOBAL__N_16kernel17gru_cell_backwardIddiLi1EEEvNS_4cuda6detail10TensorInfoIT_T1_EES9_S9_S9_S9_S8_S8_,"axG",@progbits,_ZN2at6native12_GLOBAL__N_16kernel17gru_cell_backwardIddiLi1EEEvNS_4cuda6detail10TensorInfoIT_T1_EES9_S9_S9_S9_S8_S8_,comdat
	.globl	_ZN2at6native12_GLOBAL__N_16kernel17gru_cell_backwardIddiLi1EEEvNS_4cuda6detail10TensorInfoIT_T1_EES9_S9_S9_S9_S8_S8_ ; -- Begin function _ZN2at6native12_GLOBAL__N_16kernel17gru_cell_backwardIddiLi1EEEvNS_4cuda6detail10TensorInfoIT_T1_EES9_S9_S9_S9_S8_S8_
	.p2align	8
	.type	_ZN2at6native12_GLOBAL__N_16kernel17gru_cell_backwardIddiLi1EEEvNS_4cuda6detail10TensorInfoIT_T1_EES9_S9_S9_S9_S8_S8_,@function
_ZN2at6native12_GLOBAL__N_16kernel17gru_cell_backwardIddiLi1EEEvNS_4cuda6detail10TensorInfoIT_T1_EES9_S9_S9_S9_S8_S8_: ; @_ZN2at6native12_GLOBAL__N_16kernel17gru_cell_backwardIddiLi1EEEvNS_4cuda6detail10TensorInfoIT_T1_EES9_S9_S9_S9_S8_S8_
; %bb.0:
	s_clause 0x1
	s_load_b32 s4, s[0:1], 0x44c
	s_load_b64 s[2:3], s[0:1], 0x438
	s_bfe_u32 s5, ttmp6, 0x4000c
	s_and_b32 s6, ttmp6, 15
	s_add_co_i32 s5, s5, 1
	s_getreg_b32 s7, hwreg(HW_REG_IB_STS2, 6, 4)
	s_mul_i32 s5, ttmp9, s5
	s_delay_alu instid0(SALU_CYCLE_1)
	s_add_co_i32 s6, s6, s5
	s_wait_kmcnt 0x0
	s_and_b32 s4, s4, 0xffff
	s_cmp_eq_u32 s7, 0
	s_cselect_b32 s5, ttmp9, s6
	s_mov_b32 s6, exec_lo
	v_mad_u32 v2, s5, s4, v0
	s_mov_b32 s5, 0
	s_delay_alu instid0(VALU_DEP_1)
	v_cmpx_gt_i32_e64 s3, v2
	s_cbranch_execz .LBB48_3
; %bb.1:
	s_abs_i32 s16, s2
	s_clause 0x1
	s_load_b32 s22, s[0:1], 0x21c
	s_load_b32 s23, s[0:1], 0x2f4
	s_cvt_f32_u32 s12, s16
	s_add_nc_u64 s[10:11], s[0:1], 0x440
	s_clause 0x1
	s_load_b64 s[6:7], s[0:1], 0x1b0
	s_load_b64 s[8:9], s[0:1], 0x288
	s_load_b32 s21, s[10:11], 0x0
	s_sub_co_i32 s25, 0, s16
	v_rcp_iflag_f32_e32 v0, s12
	s_wait_xcnt 0x0
	s_clause 0x5
	s_load_b64 s[10:11], s[0:1], 0x0
	s_load_b32 s17, s[0:1], 0x6c
	s_load_b64 s[12:13], s[0:1], 0xd8
	s_load_b32 s18, s[0:1], 0x144
	;; [unrolled: 2-line block ×3, first 2 shown]
	v_mov_b32_e32 v1, 0
	s_wait_xcnt 0x0
	s_ashr_i32 s0, s2, 31
	s_lshl_b32 s1, s2, 2
	v_readfirstlane_b32 s20, v0
	s_mul_f32 s24, s20, 0x4f7ffffe
	s_lshl_b32 s20, s2, 1
	s_wait_kmcnt 0x0
	v_mul_lo_u32 v3, v2, s22
	v_mul_lo_u32 v4, v2, s23
	s_cvt_u32_f32 s24, s24
	s_mul_i32 s21, s21, s4
	s_delay_alu instid0(SALU_CYCLE_1) | instskip(NEXT) | instid1(SALU_CYCLE_1)
	s_mul_i32 s22, s21, s22
	s_mul_i32 s25, s25, s24
	;; [unrolled: 1-line block ×3, first 2 shown]
	s_mul_hi_u32 s4, s24, s25
	s_delay_alu instid0(SALU_CYCLE_1)
	s_add_co_i32 s4, s24, s4
	s_mov_b32 s24, s5
.LBB48_2:                               ; =>This Inner Loop Header: Depth=1
	v_dual_sub_nc_u32 v0, 0, v2 :: v_dual_ashrrev_i32 v5, 31, v2
	s_delay_alu instid0(VALU_DEP_1) | instskip(NEXT) | instid1(VALU_DEP_2)
	v_xor_b32_e32 v5, s0, v5
	v_max_i32_e32 v0, v2, v0
	s_delay_alu instid0(VALU_DEP_1) | instskip(NEXT) | instid1(VALU_DEP_1)
	v_mul_u64_e32 v[6:7], s[4:5], v[0:1]
	v_mul_lo_u32 v8, v7, s16
	s_delay_alu instid0(VALU_DEP_4) | instskip(NEXT) | instid1(VALU_DEP_2)
	v_dual_add_nc_u32 v9, 1, v7 :: v_dual_lshlrev_b32 v6, 2, v5
	v_sub_nc_u32_e32 v0, v0, v8
	s_delay_alu instid0(VALU_DEP_1) | instskip(NEXT) | instid1(VALU_DEP_3)
	v_cmp_le_u32_e32 vcc_lo, s16, v0
	v_cndmask_b32_e32 v7, v7, v9, vcc_lo
	v_subrev_nc_u32_e32 v8, s16, v0
	s_delay_alu instid0(VALU_DEP_1) | instskip(NEXT) | instid1(VALU_DEP_1)
	v_dual_cndmask_b32 v0, v0, v8, vcc_lo :: v_dual_add_nc_u32 v8, 1, v7
	v_cmp_le_u32_e32 vcc_lo, s16, v0
	s_delay_alu instid0(VALU_DEP_2) | instskip(NEXT) | instid1(VALU_DEP_1)
	v_cndmask_b32_e32 v0, v7, v8, vcc_lo
	v_xor_b32_e32 v0, v0, v5
	s_delay_alu instid0(VALU_DEP_1) | instskip(NEXT) | instid1(VALU_DEP_1)
	v_dual_lshlrev_b32 v7, 2, v0 :: v_dual_sub_nc_u32 v24, v0, v5
	v_dual_lshlrev_b32 v5, 1, v5 :: v_dual_sub_nc_u32 v16, v7, v6
	s_delay_alu instid0(VALU_DEP_2) | instskip(NEXT) | instid1(VALU_DEP_2)
	v_mad_u32 v6, s1, v24, v2
	v_or_b32_e32 v7, 1, v16
	s_delay_alu instid0(VALU_DEP_1) | instskip(NEXT) | instid1(VALU_DEP_3)
	v_mad_u32 v7, s2, v7, v2
	v_mul_lo_u32 v10, v6, s19
	s_delay_alu instid0(VALU_DEP_2)
	v_mul_lo_u32 v11, v7, s19
	s_clause 0x1
	global_load_b64 v[6:7], v10, s[14:15] scale_offset
	global_load_b64 v[8:9], v11, s[14:15] scale_offset
	s_wait_xcnt 0x1
	v_or_b32_e32 v10, 2, v16
	s_delay_alu instid0(VALU_DEP_1) | instskip(NEXT) | instid1(VALU_DEP_1)
	v_mad_u32 v10, s2, v10, v2
	v_mul_lo_u32 v12, v10, s19
	global_load_b64 v[10:11], v3, s[6:7] scale_offset
	v_dual_add_nc_u32 v16, 4, v16 :: v_dual_bitop2_b32 v14, 3, v16 bitop3:0x54
	s_wait_xcnt 0x0
	v_dual_add_nc_u32 v3, s22, v3 :: v_dual_lshlrev_b32 v0, 1, v0
	s_delay_alu instid0(VALU_DEP_2) | instskip(NEXT) | instid1(VALU_DEP_3)
	v_mad_u32 v14, s2, v14, v2
	v_mad_u32 v16, s2, v16, v2
	global_load_b64 v[12:13], v12, s[14:15] scale_offset
	v_mul_lo_u32 v14, v14, s19
	v_mul_lo_u32 v16, v16, s19
	s_clause 0x1
	global_load_b64 v[14:15], v14, s[14:15] scale_offset
	global_load_b64 v[16:17], v16, s[14:15] scale_offset
	s_wait_loadcnt 0x4
	v_add_f64_e64 v[18:19], -v[8:9], 1.0
	s_wait_loadcnt 0x2
	v_fma_f64 v[20:21], -v[12:13], v[12:13], 1.0
	s_delay_alu instid0(VALU_DEP_2) | instskip(SKIP_4) | instid1(VALU_DEP_2)
	v_mul_f64_e32 v[22:23], v[18:19], v[10:11]
	s_wait_loadcnt 0x1
	s_wait_xcnt 0x2
	v_add_f64_e64 v[12:13], v[14:15], -v[12:13]
	s_wait_xcnt 0x1
	v_mul_f64_e32 v[14:15], v[20:21], v[22:23]
	v_add_f64_e64 v[20:21], -v[6:7], 1.0
	s_delay_alu instid0(VALU_DEP_3)
	v_mul_f64_e32 v[12:13], v[12:13], v[10:11]
	v_mul_f64_e32 v[10:11], v[8:9], v[10:11]
	v_sub_nc_u32_e32 v0, v0, v5
	v_mad_u32 v5, s20, v24, v2
	s_wait_loadcnt 0x0
	s_wait_xcnt 0x0
	v_mul_f64_e32 v[16:17], v[16:17], v[14:15]
	v_mul_f64_e32 v[12:13], v[18:19], v[12:13]
	s_delay_alu instid0(VALU_DEP_2) | instskip(NEXT) | instid1(VALU_DEP_2)
	v_mul_f64_e32 v[16:17], v[20:21], v[16:17]
	v_mul_f64_e32 v[8:9], v[8:9], v[12:13]
	v_dual_mul_f64 v[12:13], v[6:7], v[14:15] :: v_dual_bitop2_b32 v18, 1, v0 bitop3:0x54
	v_add_nc_u32_e32 v0, 2, v0
	s_delay_alu instid0(VALU_DEP_1) | instskip(SKIP_1) | instid1(VALU_DEP_4)
	v_mad_u32 v0, s2, v0, v2
	v_mul_f64_e32 v[6:7], v[6:7], v[16:17]
	v_mad_u32 v16, s2, v18, v2
	v_mul_lo_u32 v17, v5, s17
	s_delay_alu instid0(VALU_DEP_4) | instskip(SKIP_3) | instid1(VALU_DEP_2)
	v_mul_lo_u32 v19, v0, s17
	v_mul_lo_u32 v5, v5, s18
	v_add_nc_u32_e32 v2, s21, v2
	v_mul_lo_u32 v0, v0, s18
	v_cmp_le_i32_e32 vcc_lo, s3, v2
	v_mul_lo_u32 v18, v16, s17
	v_mul_lo_u32 v16, v16, s18
	s_clause 0x2
	global_store_b64 v17, v[6:7], s[10:11] scale_offset
	global_store_b64 v18, v[8:9], s[10:11] scale_offset
	;; [unrolled: 1-line block ×3, first 2 shown]
	s_clause 0x2
	global_store_b64 v5, v[6:7], s[12:13] scale_offset
	global_store_b64 v16, v[8:9], s[12:13] scale_offset
	;; [unrolled: 1-line block ×4, first 2 shown]
	s_wait_xcnt 0x0
	v_add_nc_u32_e32 v4, s23, v4
	s_or_b32 s24, vcc_lo, s24
	s_delay_alu instid0(SALU_CYCLE_1)
	s_and_not1_b32 exec_lo, exec_lo, s24
	s_cbranch_execnz .LBB48_2
.LBB48_3:
	s_endpgm
	.section	.rodata,"a",@progbits
	.p2align	6, 0x0
	.amdhsa_kernel _ZN2at6native12_GLOBAL__N_16kernel17gru_cell_backwardIddiLi1EEEvNS_4cuda6detail10TensorInfoIT_T1_EES9_S9_S9_S9_S8_S8_
		.amdhsa_group_segment_fixed_size 0
		.amdhsa_private_segment_fixed_size 0
		.amdhsa_kernarg_size 1344
		.amdhsa_user_sgpr_count 2
		.amdhsa_user_sgpr_dispatch_ptr 0
		.amdhsa_user_sgpr_queue_ptr 0
		.amdhsa_user_sgpr_kernarg_segment_ptr 1
		.amdhsa_user_sgpr_dispatch_id 0
		.amdhsa_user_sgpr_kernarg_preload_length 0
		.amdhsa_user_sgpr_kernarg_preload_offset 0
		.amdhsa_user_sgpr_private_segment_size 0
		.amdhsa_wavefront_size32 1
		.amdhsa_uses_dynamic_stack 0
		.amdhsa_enable_private_segment 0
		.amdhsa_system_sgpr_workgroup_id_x 1
		.amdhsa_system_sgpr_workgroup_id_y 0
		.amdhsa_system_sgpr_workgroup_id_z 0
		.amdhsa_system_sgpr_workgroup_info 0
		.amdhsa_system_vgpr_workitem_id 0
		.amdhsa_next_free_vgpr 25
		.amdhsa_next_free_sgpr 26
		.amdhsa_named_barrier_count 0
		.amdhsa_reserve_vcc 1
		.amdhsa_float_round_mode_32 0
		.amdhsa_float_round_mode_16_64 0
		.amdhsa_float_denorm_mode_32 3
		.amdhsa_float_denorm_mode_16_64 3
		.amdhsa_fp16_overflow 0
		.amdhsa_memory_ordered 1
		.amdhsa_forward_progress 1
		.amdhsa_inst_pref_size 8
		.amdhsa_round_robin_scheduling 0
		.amdhsa_exception_fp_ieee_invalid_op 0
		.amdhsa_exception_fp_denorm_src 0
		.amdhsa_exception_fp_ieee_div_zero 0
		.amdhsa_exception_fp_ieee_overflow 0
		.amdhsa_exception_fp_ieee_underflow 0
		.amdhsa_exception_fp_ieee_inexact 0
		.amdhsa_exception_int_div_zero 0
	.end_amdhsa_kernel
	.section	.text._ZN2at6native12_GLOBAL__N_16kernel17gru_cell_backwardIddiLi1EEEvNS_4cuda6detail10TensorInfoIT_T1_EES9_S9_S9_S9_S8_S8_,"axG",@progbits,_ZN2at6native12_GLOBAL__N_16kernel17gru_cell_backwardIddiLi1EEEvNS_4cuda6detail10TensorInfoIT_T1_EES9_S9_S9_S9_S8_S8_,comdat
.Lfunc_end48:
	.size	_ZN2at6native12_GLOBAL__N_16kernel17gru_cell_backwardIddiLi1EEEvNS_4cuda6detail10TensorInfoIT_T1_EES9_S9_S9_S9_S8_S8_, .Lfunc_end48-_ZN2at6native12_GLOBAL__N_16kernel17gru_cell_backwardIddiLi1EEEvNS_4cuda6detail10TensorInfoIT_T1_EES9_S9_S9_S9_S8_S8_
                                        ; -- End function
	.set _ZN2at6native12_GLOBAL__N_16kernel17gru_cell_backwardIddiLi1EEEvNS_4cuda6detail10TensorInfoIT_T1_EES9_S9_S9_S9_S8_S8_.num_vgpr, 25
	.set _ZN2at6native12_GLOBAL__N_16kernel17gru_cell_backwardIddiLi1EEEvNS_4cuda6detail10TensorInfoIT_T1_EES9_S9_S9_S9_S8_S8_.num_agpr, 0
	.set _ZN2at6native12_GLOBAL__N_16kernel17gru_cell_backwardIddiLi1EEEvNS_4cuda6detail10TensorInfoIT_T1_EES9_S9_S9_S9_S8_S8_.numbered_sgpr, 26
	.set _ZN2at6native12_GLOBAL__N_16kernel17gru_cell_backwardIddiLi1EEEvNS_4cuda6detail10TensorInfoIT_T1_EES9_S9_S9_S9_S8_S8_.num_named_barrier, 0
	.set _ZN2at6native12_GLOBAL__N_16kernel17gru_cell_backwardIddiLi1EEEvNS_4cuda6detail10TensorInfoIT_T1_EES9_S9_S9_S9_S8_S8_.private_seg_size, 0
	.set _ZN2at6native12_GLOBAL__N_16kernel17gru_cell_backwardIddiLi1EEEvNS_4cuda6detail10TensorInfoIT_T1_EES9_S9_S9_S9_S8_S8_.uses_vcc, 1
	.set _ZN2at6native12_GLOBAL__N_16kernel17gru_cell_backwardIddiLi1EEEvNS_4cuda6detail10TensorInfoIT_T1_EES9_S9_S9_S9_S8_S8_.uses_flat_scratch, 0
	.set _ZN2at6native12_GLOBAL__N_16kernel17gru_cell_backwardIddiLi1EEEvNS_4cuda6detail10TensorInfoIT_T1_EES9_S9_S9_S9_S8_S8_.has_dyn_sized_stack, 0
	.set _ZN2at6native12_GLOBAL__N_16kernel17gru_cell_backwardIddiLi1EEEvNS_4cuda6detail10TensorInfoIT_T1_EES9_S9_S9_S9_S8_S8_.has_recursion, 0
	.set _ZN2at6native12_GLOBAL__N_16kernel17gru_cell_backwardIddiLi1EEEvNS_4cuda6detail10TensorInfoIT_T1_EES9_S9_S9_S9_S8_S8_.has_indirect_call, 0
	.section	.AMDGPU.csdata,"",@progbits
; Kernel info:
; codeLenInByte = 1016
; TotalNumSgprs: 28
; NumVgprs: 25
; ScratchSize: 0
; MemoryBound: 0
; FloatMode: 240
; IeeeMode: 1
; LDSByteSize: 0 bytes/workgroup (compile time only)
; SGPRBlocks: 0
; VGPRBlocks: 1
; NumSGPRsForWavesPerEU: 28
; NumVGPRsForWavesPerEU: 25
; NamedBarCnt: 0
; Occupancy: 16
; WaveLimiterHint : 1
; COMPUTE_PGM_RSRC2:SCRATCH_EN: 0
; COMPUTE_PGM_RSRC2:USER_SGPR: 2
; COMPUTE_PGM_RSRC2:TRAP_HANDLER: 0
; COMPUTE_PGM_RSRC2:TGID_X_EN: 1
; COMPUTE_PGM_RSRC2:TGID_Y_EN: 0
; COMPUTE_PGM_RSRC2:TGID_Z_EN: 0
; COMPUTE_PGM_RSRC2:TIDIG_COMP_CNT: 0
	.section	.text._ZN2at6native12_GLOBAL__N_16kernel17gru_cell_backwardIddiLi2EEEvNS_4cuda6detail10TensorInfoIT_T1_EES9_S9_S9_S9_S8_S8_,"axG",@progbits,_ZN2at6native12_GLOBAL__N_16kernel17gru_cell_backwardIddiLi2EEEvNS_4cuda6detail10TensorInfoIT_T1_EES9_S9_S9_S9_S8_S8_,comdat
	.globl	_ZN2at6native12_GLOBAL__N_16kernel17gru_cell_backwardIddiLi2EEEvNS_4cuda6detail10TensorInfoIT_T1_EES9_S9_S9_S9_S8_S8_ ; -- Begin function _ZN2at6native12_GLOBAL__N_16kernel17gru_cell_backwardIddiLi2EEEvNS_4cuda6detail10TensorInfoIT_T1_EES9_S9_S9_S9_S8_S8_
	.p2align	8
	.type	_ZN2at6native12_GLOBAL__N_16kernel17gru_cell_backwardIddiLi2EEEvNS_4cuda6detail10TensorInfoIT_T1_EES9_S9_S9_S9_S8_S8_,@function
_ZN2at6native12_GLOBAL__N_16kernel17gru_cell_backwardIddiLi2EEEvNS_4cuda6detail10TensorInfoIT_T1_EES9_S9_S9_S9_S8_S8_: ; @_ZN2at6native12_GLOBAL__N_16kernel17gru_cell_backwardIddiLi2EEEvNS_4cuda6detail10TensorInfoIT_T1_EES9_S9_S9_S9_S8_S8_
; %bb.0:
	s_clause 0x1
	s_load_b32 s2, s[0:1], 0x44c
	s_load_b64 s[4:5], s[0:1], 0x438
	s_bfe_u32 s3, ttmp6, 0x4000c
	s_and_b32 s6, ttmp6, 15
	s_add_co_i32 s3, s3, 1
	s_getreg_b32 s7, hwreg(HW_REG_IB_STS2, 6, 4)
	s_mul_i32 s3, ttmp9, s3
	s_delay_alu instid0(SALU_CYCLE_1)
	s_add_co_i32 s6, s6, s3
	s_wait_kmcnt 0x0
	s_and_b32 s2, s2, 0xffff
	s_cmp_eq_u32 s7, 0
	s_mov_b32 s7, 0
	s_cselect_b32 s3, ttmp9, s6
	s_delay_alu instid0(SALU_CYCLE_1) | instskip(SKIP_1) | instid1(VALU_DEP_1)
	v_mad_u32 v10, s3, s2, v0
	s_mov_b32 s3, exec_lo
	v_cmpx_gt_i32_e64 s5, v10
	s_cbranch_execz .LBB49_3
; %bb.1:
	s_clause 0x4
	s_load_b32 s3, s[0:1], 0x36c
	s_load_b32 s40, s[0:1], 0xe4
	s_load_b64 s[8:9], s[0:1], 0x144
	s_load_b64 s[10:11], s[0:1], 0x1b0
	s_load_b32 s56, s[0:1], 0x1bc
	s_abs_i32 s33, s4
	s_add_nc_u64 s[18:19], s[0:1], 0x440
	s_cvt_f32_u32 s6, s33
	s_clause 0x3
	s_load_b64 s[12:13], s[0:1], 0x0
	s_load_b32 s41, s[0:1], 0xc
	s_load_b64 s[14:15], s[0:1], 0x6c
	s_load_b64 s[16:17], s[0:1], 0xd8
	s_load_b32 s48, s[18:19], 0x0
	s_wait_xcnt 0x0
	s_clause 0x5
	s_load_b64 s[18:19], s[0:1], 0x21c
	s_load_b64 s[20:21], s[0:1], 0x288
	s_load_b32 s57, s[0:1], 0x294
	s_load_b64 s[22:23], s[0:1], 0x2f4
	s_load_b64 s[24:25], s[0:1], 0x360
	;; [unrolled: 1-line block ×3, first 2 shown]
	s_ashr_i32 s43, s4, 31
	v_rcp_iflag_f32_e32 v0, s6
	s_sub_co_i32 s6, 0, s33
	s_mov_b32 s29, s7
	s_mov_b32 s35, s7
	;; [unrolled: 1-line block ×3, first 2 shown]
	s_lshl_b32 s54, s4, 2
	s_lshl_b32 s55, s4, 1
	s_wait_xcnt 0x0
	v_nop
	v_readfirstlane_b32 s0, v0
	s_mov_b32 s58, s7
	s_wait_kmcnt 0x0
	s_abs_i32 s47, s40
	s_ashr_i32 s52, s40, 31
	s_abs_i32 s42, s3
	s_abs_i32 s45, s56
	s_cvt_f32_u32 s1, s42
	s_mul_f32 s0, s0, 0x4f7ffffe
	s_abs_i32 s46, s41
	s_mul_i32 s48, s48, s2
	v_rcp_iflag_f32_e32 v0, s1
	s_cvt_f32_u32 s1, s45
	s_cvt_u32_f32 s0, s0
	s_cvt_f32_u32 s2, s46
	s_abs_i32 s50, s57
	s_sub_co_i32 s31, 0, s46
	s_mul_i32 s6, s6, s0
	v_nop
	v_readfirstlane_b32 s28, v0
	v_rcp_iflag_f32_e32 v0, s1
	v_rcp_iflag_f32_e32 v1, s2
	s_mul_hi_u32 s2, s0, s6
	s_sub_co_i32 s37, 0, s50
	s_mul_f32 s1, s28, 0x4f7ffffe
	s_sub_co_i32 s28, 0, s42
	s_add_co_i32 s6, s0, s2
	v_readfirstlane_b32 s30, v0
	s_cvt_u32_f32 s1, s1
	v_readfirstlane_b32 s0, v1
	s_ashr_i32 s44, s3, 31
	s_ashr_i32 s49, s56, 31
	s_mul_i32 s28, s28, s1
	s_mul_f32 s30, s30, 0x4f7ffffe
	s_mul_hi_u32 s2, s1, s28
	s_mul_f32 s0, s0, 0x4f7ffffe
	s_add_co_i32 s28, s1, s2
	s_cvt_f32_u32 s1, s47
	s_cvt_u32_f32 s2, s30
	s_sub_co_i32 s30, 0, s45
	s_cvt_u32_f32 s0, s0
	v_rcp_iflag_f32_e32 v0, s1
	s_cvt_f32_u32 s1, s50
	s_mul_i32 s30, s30, s2
	s_ashr_i32 s51, s41, 31
	s_mul_hi_u32 s30, s2, s30
	v_rcp_iflag_f32_e32 v1, s1
	s_add_co_i32 s30, s2, s30
	v_nop
	v_readfirstlane_b32 s1, v0
	s_mul_i32 s2, s31, s0
	s_mov_b32 s31, s7
	s_mul_hi_u32 s2, s0, s2
	s_ashr_i32 s53, s57, 31
	v_readfirstlane_b32 s36, v1
	s_mul_f32 s1, s1, 0x4f7ffffe
	s_add_co_i32 s34, s0, s2
	s_sub_co_i32 s2, 0, s47
	v_mov_b32_e32 v1, 0
	s_cvt_u32_f32 s0, s1
	s_mul_f32 s1, s36, 0x4f7ffffe
	s_sub_co_i32 s56, 0, s56
	s_sub_co_i32 s57, 0, s57
	s_mul_i32 s2, s2, s0
	s_cvt_u32_f32 s1, s1
	s_mul_hi_u32 s2, s0, s2
	s_delay_alu instid0(SALU_CYCLE_1) | instskip(NEXT) | instid1(SALU_CYCLE_1)
	s_add_co_i32 s36, s0, s2
	s_mul_i32 s0, s37, s1
	s_mov_b32 s37, s7
	s_mul_hi_u32 s0, s1, s0
	s_delay_alu instid0(SALU_CYCLE_1)
	s_add_co_i32 s38, s1, s0
.LBB49_2:                               ; =>This Inner Loop Header: Depth=1
	v_dual_ashrrev_i32 v11, 31, v10 :: v_dual_sub_nc_u32 v0, 0, v10
	v_dual_mov_b32 v15, v1 :: v_dual_mov_b32 v5, v1
	v_dual_mov_b32 v7, v1 :: v_dual_mov_b32 v9, v1
	s_delay_alu instid0(VALU_DEP_3) | instskip(NEXT) | instid1(VALU_DEP_1)
	v_dual_mov_b32 v13, v1 :: v_dual_max_i32 v0, v10, v0
	v_mul_u64_e32 v[2:3], s[6:7], v[0:1]
	v_mul_u64_e32 v[16:17], s[30:31], v[0:1]
	v_xor_b32_e32 v26, s43, v11
	s_delay_alu instid0(VALU_DEP_3) | instskip(NEXT) | instid1(VALU_DEP_3)
	v_mul_lo_u32 v6, v3, s33
	v_mul_lo_u32 v8, v17, s45
	v_dual_add_nc_u32 v12, 1, v3 :: v_dual_add_nc_u32 v14, 1, v17
	s_delay_alu instid0(VALU_DEP_4) | instskip(NEXT) | instid1(VALU_DEP_4)
	v_dual_lshlrev_b32 v2, 2, v26 :: v_dual_bitop2_b32 v4, s49, v11 bitop3:0x14
	v_dual_sub_nc_u32 v6, v0, v6 :: v_dual_bitop2_b32 v11, s53, v11 bitop3:0x14
	s_delay_alu instid0(VALU_DEP_4) | instskip(NEXT) | instid1(VALU_DEP_2)
	v_sub_nc_u32_e32 v8, v0, v8
	v_cmp_le_u32_e32 vcc_lo, s33, v6
	s_delay_alu instid0(VALU_DEP_2) | instskip(SKIP_1) | instid1(VALU_DEP_2)
	v_cmp_le_u32_e64 s0, s45, v8
	v_subrev_nc_u32_e32 v16, s33, v6
	v_dual_cndmask_b32 v14, v17, v14, s0 :: v_dual_cndmask_b32 v3, v3, v12, vcc_lo
	v_subrev_nc_u32_e32 v12, s45, v8
	s_delay_alu instid0(VALU_DEP_1) | instskip(NEXT) | instid1(VALU_DEP_3)
	v_cndmask_b32_e64 v8, v8, v12, s0
	v_dual_cndmask_b32 v6, v6, v16, vcc_lo :: v_dual_add_nc_u32 v16, 1, v3
	s_delay_alu instid0(VALU_DEP_1) | instskip(NEXT) | instid1(VALU_DEP_2)
	v_cmp_le_u32_e32 vcc_lo, s33, v6
	v_dual_cndmask_b32 v3, v3, v16 :: v_dual_add_nc_u32 v12, 1, v14
	s_delay_alu instid0(VALU_DEP_4) | instskip(NEXT) | instid1(VALU_DEP_2)
	v_cmp_le_u32_e32 vcc_lo, s45, v8
	v_dual_cndmask_b32 v6, v14, v12, vcc_lo :: v_dual_bitop2_b32 v27, v3, v26 bitop3:0x14
	s_delay_alu instid0(VALU_DEP_1) | instskip(SKIP_1) | instid1(VALU_DEP_2)
	v_dual_sub_nc_u32 v28, v27, v26 :: v_dual_bitop2_b32 v3, v6, v4 bitop3:0x14
	v_lshlrev_b32_e32 v6, 2, v27
	v_mul_lo_u32 v29, s54, v28
	s_delay_alu instid0(VALU_DEP_2) | instskip(NEXT) | instid1(VALU_DEP_1)
	v_dual_sub_nc_u32 v3, v3, v4 :: v_dual_sub_nc_u32 v2, v6, v2
	v_mad_u32 v4, s56, v3, v10
	s_delay_alu instid0(VALU_DEP_2) | instskip(SKIP_2) | instid1(VALU_DEP_3)
	v_or_b32_e32 v6, 1, v2
	v_or_b32_e32 v8, 2, v2
	v_dual_add_nc_u32 v2, 4, v2 :: v_dual_bitop2_b32 v12, 3, v2 bitop3:0x54
	v_mul_lo_u32 v30, s4, v6
	s_delay_alu instid0(VALU_DEP_2) | instskip(NEXT) | instid1(VALU_DEP_3)
	v_mul_lo_u32 v32, s4, v12
	v_mul_lo_u32 v33, s4, v2
	v_add_nc_u32_e32 v2, v10, v29
	v_mul_lo_u32 v4, v4, s19
	v_mul_lo_u32 v40, s55, v28
	s_delay_alu instid0(VALU_DEP_3) | instskip(SKIP_2) | instid1(VALU_DEP_3)
	v_ashrrev_i32_e32 v2, 31, v2
	v_mul_lo_u32 v31, s4, v8
	v_dual_add_nc_u32 v8, v10, v30 :: v_dual_add_nc_u32 v14, v10, v32
	v_xor_b32_e32 v34, s44, v2
	v_add3_u32 v6, v2, v29, v10
	v_add_nc_u32_e32 v16, v10, v33
	v_mad_u32 v3, v3, s18, v4
	s_delay_alu instid0(VALU_DEP_3) | instskip(SKIP_1) | instid1(VALU_DEP_1)
	v_dual_ashrrev_i32 v6, 31, v8 :: v_dual_bitop2_b32 v4, v6, v2 bitop3:0x14
	v_add_nc_u32_e32 v12, v10, v31
	v_dual_ashrrev_i32 v8, 31, v12 :: v_dual_ashrrev_i32 v12, 31, v14
	v_ashrrev_i32_e32 v14, 31, v16
	s_delay_alu instid0(VALU_DEP_4)
	v_mul_u64_e32 v[16:17], s[28:29], v[4:5]
	v_xor_b32_e32 v5, s44, v6
	v_add3_u32 v16, v6, v30, v10
	v_add3_u32 v19, v12, v32, v10
	;; [unrolled: 1-line block ×3, first 2 shown]
	v_xor_b32_e32 v36, s44, v12
	v_xor_b32_e32 v37, s44, v14
	v_add3_u32 v18, v8, v31, v10
	v_xor_b32_e32 v12, v19, v12
	v_xor_b32_e32 v14, v20, v14
	;; [unrolled: 1-line block ×3, first 2 shown]
	global_load_b64 v[2:3], v3, s[10:11] scale_offset
	v_mul_u64_e32 v[22:23], s[28:29], v[12:13]
	v_mul_u64_e32 v[24:25], s[28:29], v[14:15]
	v_xor_b32_e32 v6, v16, v6
	s_delay_alu instid0(VALU_DEP_3) | instskip(NEXT) | instid1(VALU_DEP_2)
	v_dual_add_nc_u32 v22, 1, v23 :: v_dual_bitop2_b32 v8, v18, v8 bitop3:0x14
	v_mul_u64_e32 v[18:19], s[28:29], v[6:7]
	s_delay_alu instid0(VALU_DEP_4) | instskip(NEXT) | instid1(VALU_DEP_3)
	v_add_nc_u32_e32 v38, 1, v25
	v_mul_u64_e32 v[20:21], s[28:29], v[8:9]
	v_mul_lo_u32 v7, v17, s42
	v_add_nc_u32_e32 v9, 1, v17
	v_mul_lo_u32 v20, v23, s42
	v_mul_lo_u32 v24, v25, s42
	s_delay_alu instid0(VALU_DEP_4) | instskip(NEXT) | instid1(VALU_DEP_1)
	v_sub_nc_u32_e32 v4, v4, v7
	v_subrev_nc_u32_e32 v7, s42, v4
	v_cmp_le_u32_e32 vcc_lo, s42, v4
	s_delay_alu instid0(VALU_DEP_2) | instskip(NEXT) | instid1(VALU_DEP_1)
	v_dual_cndmask_b32 v9, v17, v9 :: v_dual_cndmask_b32 v4, v4, v7
	v_add_nc_u32_e32 v7, 1, v9
	s_delay_alu instid0(VALU_DEP_2)
	v_cmp_le_u32_e32 vcc_lo, s42, v4
	v_mul_lo_u32 v13, v19, s42
	v_add_nc_u32_e32 v15, 1, v19
	v_mul_lo_u32 v16, v21, s42
	v_dual_add_nc_u32 v18, 1, v21 :: v_dual_sub_nc_u32 v12, v12, v20
	v_cndmask_b32_e32 v4, v9, v7, vcc_lo
	s_delay_alu instid0(VALU_DEP_2) | instskip(SKIP_2) | instid1(VALU_DEP_2)
	v_cmp_le_u32_e64 s1, s42, v12
	v_subrev_nc_u32_e32 v17, s42, v12
	v_dual_sub_nc_u32 v6, v6, v13 :: v_dual_sub_nc_u32 v8, v8, v16
	v_cndmask_b32_e64 v12, v12, v17, s1
	s_delay_alu instid0(VALU_DEP_2)
	v_cmp_le_u32_e32 vcc_lo, s42, v6
	v_sub_nc_u32_e32 v13, v14, v24
	v_subrev_nc_u32_e32 v9, s42, v6
	v_cmp_le_u32_e64 s0, s42, v8
	v_cndmask_b32_e32 v7, v19, v15, vcc_lo
	v_subrev_nc_u32_e32 v15, s42, v8
	v_cmp_le_u32_e64 s2, s42, v13
	s_delay_alu instid0(VALU_DEP_4) | instskip(NEXT) | instid1(VALU_DEP_4)
	v_dual_cndmask_b32 v14, v21, v18, s0 :: v_dual_cndmask_b32 v6, v6, v9, vcc_lo
	v_dual_cndmask_b32 v16, v23, v22, s1 :: v_dual_add_nc_u32 v9, 1, v7
	s_delay_alu instid0(VALU_DEP_3) | instskip(NEXT) | instid1(VALU_DEP_2)
	v_dual_cndmask_b32 v18, v25, v38, s2 :: v_dual_cndmask_b32 v8, v8, v15, s0
	v_dual_add_nc_u32 v17, 1, v16 :: v_dual_bitop2_b32 v4, v4, v34 bitop3:0x14
	s_delay_alu instid0(VALU_DEP_4) | instskip(SKIP_2) | instid1(VALU_DEP_4)
	v_cmp_le_u32_e32 vcc_lo, s42, v6
	v_add_nc_u32_e32 v15, 1, v14
	v_subrev_nc_u32_e32 v19, s42, v13
	v_sub_nc_u32_e32 v4, v4, v34
	v_mul_u64_e32 v[22:23], s[38:39], v[0:1]
	v_cndmask_b32_e32 v6, v7, v9, vcc_lo
	v_cmp_le_u32_e32 vcc_lo, s42, v8
	v_dual_cndmask_b32 v13, v13, v19, s2 :: v_dual_add_nc_u32 v19, 1, v18
	v_mul_lo_u32 v9, v4, s3
	v_dual_mov_b32 v21, v1 :: v_dual_cndmask_b32 v7, v14, v15, vcc_lo
	v_cmp_le_u32_e32 vcc_lo, s42, v12
	s_delay_alu instid0(VALU_DEP_2) | instskip(SKIP_3) | instid1(VALU_DEP_4)
	v_dual_cndmask_b32 v8, v16, v17, vcc_lo :: v_dual_bitop2_b32 v7, v7, v35 bitop3:0x14
	v_xor_b32_e32 v6, v6, v5
	v_sub_nc_u32_e32 v9, v29, v9
	v_cmp_le_u32_e32 vcc_lo, s42, v13
	v_dual_sub_nc_u32 v12, v7, v35 :: v_dual_bitop2_b32 v8, v8, v36 bitop3:0x14
	s_delay_alu instid0(VALU_DEP_4) | instskip(NEXT) | instid1(VALU_DEP_2)
	v_dual_sub_nc_u32 v5, v6, v5 :: v_dual_mov_b32 v17, v1
	v_sub_nc_u32_e32 v8, v8, v36
	s_delay_alu instid0(VALU_DEP_3) | instskip(NEXT) | instid1(VALU_DEP_3)
	v_mul_lo_u32 v7, v12, s3
	v_mul_lo_u32 v6, v5, s3
	s_delay_alu instid0(VALU_DEP_2) | instskip(NEXT) | instid1(VALU_DEP_1)
	v_dual_add_nc_u32 v9, v10, v9 :: v_dual_sub_nc_u32 v13, v31, v7
	v_mul_lo_u32 v9, v9, s27
	s_delay_alu instid0(VALU_DEP_3) | instskip(NEXT) | instid1(VALU_DEP_1)
	v_sub_nc_u32_e32 v6, v30, v6
	v_add_nc_u32_e32 v6, v10, v6
	s_delay_alu instid0(VALU_DEP_3) | instskip(SKIP_1) | instid1(VALU_DEP_3)
	v_mad_u32 v4, v4, s26, v9
	v_add_nc_u32_e32 v9, v10, v13
	v_mul_lo_u32 v6, v6, s27
	v_mul_lo_u32 v13, v8, s3
	s_delay_alu instid0(VALU_DEP_3) | instskip(NEXT) | instid1(VALU_DEP_3)
	v_mul_lo_u32 v9, v9, s27
	v_mad_u32 v6, v5, s26, v6
	s_clause 0x1
	global_load_b64 v[4:5], v4, s[24:25] scale_offset
	global_load_b64 v[6:7], v6, s[24:25] scale_offset
	v_mad_u32 v9, v12, s26, v9
	v_dual_cndmask_b32 v12, v18, v19 :: v_dual_sub_nc_u32 v15, v32, v13
	v_mul_lo_u32 v18, v23, s50
	v_dual_mov_b32 v19, v1 :: v_dual_add_nc_u32 v20, 1, v23
	s_delay_alu instid0(VALU_DEP_3) | instskip(SKIP_4) | instid1(VALU_DEP_2)
	v_xor_b32_e32 v14, v12, v37
	global_load_b64 v[12:13], v9, s[24:25] scale_offset
	s_wait_xcnt 0x0
	v_add_nc_u32_e32 v9, v10, v15
	v_dual_sub_nc_u32 v16, v14, v37 :: v_dual_sub_nc_u32 v0, v0, v18
	v_mul_lo_u32 v9, v9, s27
	s_delay_alu instid0(VALU_DEP_2) | instskip(NEXT) | instid1(VALU_DEP_3)
	v_mul_lo_u32 v14, v16, s3
	v_subrev_nc_u32_e32 v18, s50, v0
	v_cmp_le_u32_e32 vcc_lo, s50, v0
	s_delay_alu instid0(VALU_DEP_2) | instskip(SKIP_2) | instid1(VALU_DEP_3)
	v_dual_cndmask_b32 v20, v23, v20, vcc_lo :: v_dual_cndmask_b32 v0, v0, v18, vcc_lo
	v_mad_u32 v8, v8, s26, v9
	v_sub_nc_u32_e32 v9, v33, v14
	v_cmp_le_u32_e32 vcc_lo, s50, v0
	global_load_b64 v[14:15], v8, s[24:25] scale_offset
	s_wait_xcnt 0x0
	v_add_nc_u32_e32 v8, v10, v9
	s_delay_alu instid0(VALU_DEP_1) | instskip(NEXT) | instid1(VALU_DEP_1)
	v_mul_lo_u32 v8, v8, s27
	v_mad_u32 v8, v16, s26, v8
	v_dual_lshlrev_b32 v16, 1, v26 :: v_dual_add_nc_u32 v18, 1, v20
	s_delay_alu instid0(VALU_DEP_1) | instskip(SKIP_2) | instid1(VALU_DEP_1)
	v_dual_cndmask_b32 v0, v20, v18, vcc_lo :: v_dual_lshlrev_b32 v18, 1, v27
	global_load_b64 v[8:9], v8, s[24:25] scale_offset
	v_xor_b32_e32 v0, v0, v11
	v_dual_sub_nc_u32 v0, v0, v11 :: v_dual_sub_nc_u32 v11, v18, v16
	s_delay_alu instid0(VALU_DEP_1) | instskip(NEXT) | instid1(VALU_DEP_2)
	v_mad_u32 v16, s57, v0, v10
	v_dual_add_nc_u32 v11, 2, v11 :: v_dual_bitop2_b32 v18, 1, v11 bitop3:0x54
	s_delay_alu instid0(VALU_DEP_1) | instskip(NEXT) | instid1(VALU_DEP_2)
	v_mul_lo_u32 v41, s4, v18
	v_mul_lo_u32 v11, s4, v11
	v_add_nc_u32_e32 v18, v10, v40
	v_mul_lo_u32 v42, v16, s23
	s_delay_alu instid0(VALU_DEP_2) | instskip(NEXT) | instid1(VALU_DEP_4)
	v_dual_add_nc_u32 v20, v10, v41 :: v_dual_ashrrev_i32 v16, 31, v18
	v_add_nc_u32_e32 v22, v10, v11
	s_delay_alu instid0(VALU_DEP_3) | instskip(NEXT) | instid1(VALU_DEP_3)
	v_mad_u32 v0, v0, s22, v42
	v_add3_u32 v18, v16, v40, v10
	v_xor_b32_e32 v43, s51, v16
	v_xor_b32_e32 v44, s52, v16
	s_delay_alu instid0(VALU_DEP_3) | instskip(SKIP_1) | instid1(VALU_DEP_2)
	v_xor_b32_e32 v16, v18, v16
	v_dual_ashrrev_i32 v18, 31, v20 :: v_dual_ashrrev_i32 v20, 31, v22
	v_mul_u64_e32 v[22:23], s[34:35], v[16:17]
	v_mul_u64_e32 v[24:25], s[36:37], v[16:17]
	s_delay_alu instid0(VALU_DEP_3)
	v_add3_u32 v27, v20, v11, v10
	v_xor_b32_e32 v45, s51, v20
	v_add3_u32 v26, v18, v41, v10
	v_xor_b32_e32 v22, s51, v18
	v_mul_lo_u32 v17, v23, s46
	s_wait_loadcnt 0x3
	v_add_f64_e64 v[28:29], -v[6:7], 1.0
	v_xor_b32_e32 v46, s52, v20
	v_xor_b32_e32 v20, v27, v20
	s_delay_alu instid0(VALU_DEP_1) | instskip(SKIP_4) | instid1(VALU_DEP_2)
	v_mul_u64_e32 v[30:31], s[34:35], v[20:21]
	v_xor_b32_e32 v24, s52, v18
	v_xor_b32_e32 v18, v26, v18
	s_wait_loadcnt 0x2
	v_fma_f64 v[36:37], -v[12:13], v[12:13], 1.0
	v_mul_u64_e32 v[32:33], s[36:37], v[18:19]
	v_mul_f64_e32 v[38:39], v[28:29], v[2:3]
	s_delay_alu instid0(VALU_DEP_2)
	v_dual_add_nc_u32 v47, 1, v31 :: v_dual_add_nc_u32 v49, 1, v33
	v_mul_u64_e32 v[26:27], s[34:35], v[18:19]
	v_add_nc_u32_e32 v26, 1, v25
	v_sub_nc_u32_e32 v17, v16, v17
	v_mul_u64_e32 v[34:35], s[36:37], v[20:21]
	v_mul_lo_u32 v21, v25, s47
	v_add_nc_u32_e32 v19, 1, v23
	v_mul_lo_u32 v48, v33, s47
	v_cmp_le_u32_e32 vcc_lo, s46, v17
	v_mul_lo_u32 v34, v31, s46
	v_sub_nc_u32_e32 v16, v16, v21
	s_delay_alu instid0(VALU_DEP_2)
	v_sub_nc_u32_e32 v34, v20, v34
	v_mul_lo_u32 v30, v27, s46
	v_add_nc_u32_e32 v32, 1, v27
	v_add_nc_u32_e32 v50, 1, v35
	v_cmp_le_u32_e64 s0, s47, v16
	v_cndmask_b32_e32 v19, v23, v19, vcc_lo
	v_subrev_nc_u32_e32 v23, s46, v17
	v_mul_lo_u32 v21, v35, s47
	s_delay_alu instid0(VALU_DEP_4) | instskip(SKIP_1) | instid1(VALU_DEP_4)
	v_cndmask_b32_e64 v25, v25, v26, s0
	v_subrev_nc_u32_e32 v26, s47, v16
	v_dual_cndmask_b32 v17, v17, v23 :: v_dual_sub_nc_u32 v30, v18, v30
	v_dual_add_nc_u32 v23, 1, v19 :: v_dual_sub_nc_u32 v18, v18, v48
	s_delay_alu instid0(VALU_DEP_3) | instskip(NEXT) | instid1(VALU_DEP_3)
	v_dual_cndmask_b32 v16, v16, v26, s0 :: v_dual_add_nc_u32 v26, 1, v25
	v_cmp_le_u32_e32 vcc_lo, s46, v17
	v_sub_nc_u32_e32 v20, v20, v21
	v_subrev_nc_u32_e32 v21, s46, v30
	s_delay_alu instid0(VALU_DEP_4)
	v_cmp_le_u32_e64 s1, s47, v16
	s_wait_loadcnt 0x1
	v_add_f64_e64 v[12:13], v[14:15], -v[12:13]
	v_cmp_le_u32_e64 s0, s46, v34
	v_cmp_le_u32_e64 s2, s47, v20
	v_cndmask_b32_e64 v16, v25, v26, s1
	v_cmp_le_u32_e64 s1, s47, v18
	v_cndmask_b32_e32 v17, v19, v23, vcc_lo
	v_cmp_le_u32_e32 vcc_lo, s46, v30
	v_mul_f64_e32 v[14:15], v[36:37], v[38:39]
	s_delay_alu instid0(VALU_DEP_4)
	v_dual_cndmask_b32 v23, v31, v47, s0 :: v_dual_cndmask_b32 v25, v33, v49, s1
	v_subrev_nc_u32_e32 v26, s47, v18
	v_cndmask_b32_e32 v19, v27, v32, vcc_lo
	v_subrev_nc_u32_e32 v27, s46, v34
	v_dual_cndmask_b32 v21, v30, v21, vcc_lo :: v_dual_cndmask_b32 v31, v35, v50, s2
	v_xor_b32_e32 v33, v17, v43
	s_delay_alu instid0(VALU_DEP_4) | instskip(NEXT) | instid1(VALU_DEP_4)
	v_dual_add_nc_u32 v30, 1, v19 :: v_dual_bitop2_b32 v35, v16, v44 bitop3:0x14
	v_cndmask_b32_e64 v27, v34, v27, s0
	s_delay_alu instid0(VALU_DEP_4)
	v_cmp_le_u32_e32 vcc_lo, s46, v21
	v_subrev_nc_u32_e32 v32, s47, v20
	v_dual_add_nc_u32 v34, 1, v23 :: v_dual_cndmask_b32 v18, v18, v26, s1
	v_dual_add_nc_u32 v26, 1, v25 :: v_dual_sub_nc_u32 v33, v33, v43
	v_cndmask_b32_e32 v19, v19, v30, vcc_lo
	v_cmp_le_u32_e32 vcc_lo, s46, v27
	v_dual_cndmask_b32 v20, v20, v32, s2 :: v_dual_add_nc_u32 v32, 1, v31
	v_add_f64_e64 v[16:17], -v[4:5], 1.0
	v_cndmask_b32_e32 v21, v23, v34, vcc_lo
	v_cmp_le_u32_e32 vcc_lo, s47, v18
	v_dual_mul_f64 v[12:13], v[12:13], v[2:3] :: v_dual_sub_nc_u32 v23, v35, v44
	v_mul_f64_e32 v[2:3], v[6:7], v[2:3]
	v_cndmask_b32_e32 v18, v25, v26, vcc_lo
	v_cmp_le_u32_e32 vcc_lo, s47, v20
	s_wait_loadcnt 0x0
	s_wait_xcnt 0x0
	v_mul_f64_e32 v[8:9], v[8:9], v[14:15]
	v_mul_lo_u32 v25, v33, s41
	v_mul_lo_u32 v26, v23, s40
	s_delay_alu instid0(VALU_DEP_2) | instskip(SKIP_3) | instid1(VALU_DEP_4)
	v_dual_cndmask_b32 v20, v31, v32 :: v_dual_sub_nc_u32 v25, v40, v25
	v_xor_b32_e32 v18, v18, v24
	v_xor_b32_e32 v21, v21, v45
	;; [unrolled: 1-line block ×3, first 2 shown]
	v_dual_add_nc_u32 v25, v10, v25 :: v_dual_bitop2_b32 v20, v20, v46 bitop3:0x14
	s_delay_alu instid0(VALU_DEP_3) | instskip(NEXT) | instid1(VALU_DEP_3)
	v_dual_sub_nc_u32 v18, v18, v24 :: v_dual_sub_nc_u32 v21, v21, v45
	v_sub_nc_u32_e32 v19, v19, v22
	s_delay_alu instid0(VALU_DEP_3) | instskip(NEXT) | instid1(VALU_DEP_3)
	v_mul_lo_u32 v25, v25, s15
	v_mul_lo_u32 v22, v18, s40
	v_mul_f64_e32 v[8:9], v[16:17], v[8:9]
	s_delay_alu instid0(VALU_DEP_4) | instskip(SKIP_4) | instid1(VALU_DEP_3)
	v_mul_lo_u32 v17, v19, s41
	v_sub_nc_u32_e32 v26, v40, v26
	v_sub_nc_u32_e32 v16, v20, v46
	v_mul_lo_u32 v20, v21, s41
	v_sub_nc_u32_e32 v22, v41, v22
	v_mul_lo_u32 v24, v16, s40
	v_sub_nc_u32_e32 v17, v41, v17
	v_dual_mul_f64 v[12:13], v[28:29], v[12:13] :: v_dual_add_nc_u32 v26, v10, v26
	s_delay_alu instid0(VALU_DEP_2) | instskip(NEXT) | instid1(VALU_DEP_4)
	v_dual_sub_nc_u32 v20, v11, v20 :: v_dual_add_nc_u32 v17, v10, v17
	v_sub_nc_u32_e32 v11, v11, v24
	s_delay_alu instid0(VALU_DEP_3) | instskip(NEXT) | instid1(VALU_DEP_3)
	v_mul_lo_u32 v26, v26, s9
	v_mul_lo_u32 v17, v17, s15
	s_delay_alu instid0(VALU_DEP_3) | instskip(NEXT) | instid1(VALU_DEP_1)
	v_add_nc_u32_e32 v11, v10, v11
	v_mul_lo_u32 v11, v11, s9
	s_delay_alu instid0(VALU_DEP_3) | instskip(NEXT) | instid1(VALU_DEP_2)
	v_mad_u32 v17, v19, s14, v17
	v_mad_u32 v11, v16, s8, v11
	v_mul_f64_e32 v[6:7], v[6:7], v[12:13]
	v_mul_f64_e32 v[12:13], v[4:5], v[14:15]
	v_dual_mul_f64 v[4:5], v[4:5], v[8:9] :: v_dual_add_nc_u32 v9, v10, v22
	v_dual_add_nc_u32 v8, v10, v20 :: v_dual_add_nc_u32 v10, s48, v10
	v_mad_u32 v20, v33, s14, v25
	v_mad_u32 v22, v23, s8, v26
	s_delay_alu instid0(VALU_DEP_4) | instskip(NEXT) | instid1(VALU_DEP_4)
	v_mul_lo_u32 v9, v9, s9
	v_mul_lo_u32 v8, v8, s15
	v_cmp_le_i32_e32 vcc_lo, s5, v10
	s_or_b32 s58, vcc_lo, s58
	s_delay_alu instid0(VALU_DEP_3) | instskip(NEXT) | instid1(VALU_DEP_3)
	v_mad_u32 v9, v18, s8, v9
	v_mad_u32 v8, v21, s14, v8
	s_clause 0x2
	global_store_b64 v20, v[4:5], s[12:13] scale_offset
	global_store_b64 v17, v[6:7], s[12:13] scale_offset
	;; [unrolled: 1-line block ×3, first 2 shown]
	s_clause 0x2
	global_store_b64 v22, v[4:5], s[16:17] scale_offset
	global_store_b64 v9, v[6:7], s[16:17] scale_offset
	;; [unrolled: 1-line block ×4, first 2 shown]
	s_wait_xcnt 0x0
	s_and_not1_b32 exec_lo, exec_lo, s58
	s_cbranch_execnz .LBB49_2
.LBB49_3:
	s_endpgm
	.section	.rodata,"a",@progbits
	.p2align	6, 0x0
	.amdhsa_kernel _ZN2at6native12_GLOBAL__N_16kernel17gru_cell_backwardIddiLi2EEEvNS_4cuda6detail10TensorInfoIT_T1_EES9_S9_S9_S9_S8_S8_
		.amdhsa_group_segment_fixed_size 0
		.amdhsa_private_segment_fixed_size 0
		.amdhsa_kernarg_size 1344
		.amdhsa_user_sgpr_count 2
		.amdhsa_user_sgpr_dispatch_ptr 0
		.amdhsa_user_sgpr_queue_ptr 0
		.amdhsa_user_sgpr_kernarg_segment_ptr 1
		.amdhsa_user_sgpr_dispatch_id 0
		.amdhsa_user_sgpr_kernarg_preload_length 0
		.amdhsa_user_sgpr_kernarg_preload_offset 0
		.amdhsa_user_sgpr_private_segment_size 0
		.amdhsa_wavefront_size32 1
		.amdhsa_uses_dynamic_stack 0
		.amdhsa_enable_private_segment 0
		.amdhsa_system_sgpr_workgroup_id_x 1
		.amdhsa_system_sgpr_workgroup_id_y 0
		.amdhsa_system_sgpr_workgroup_id_z 0
		.amdhsa_system_sgpr_workgroup_info 0
		.amdhsa_system_vgpr_workitem_id 0
		.amdhsa_next_free_vgpr 51
		.amdhsa_next_free_sgpr 59
		.amdhsa_named_barrier_count 0
		.amdhsa_reserve_vcc 1
		.amdhsa_float_round_mode_32 0
		.amdhsa_float_round_mode_16_64 0
		.amdhsa_float_denorm_mode_32 3
		.amdhsa_float_denorm_mode_16_64 3
		.amdhsa_fp16_overflow 0
		.amdhsa_memory_ordered 1
		.amdhsa_forward_progress 1
		.amdhsa_inst_pref_size 24
		.amdhsa_round_robin_scheduling 0
		.amdhsa_exception_fp_ieee_invalid_op 0
		.amdhsa_exception_fp_denorm_src 0
		.amdhsa_exception_fp_ieee_div_zero 0
		.amdhsa_exception_fp_ieee_overflow 0
		.amdhsa_exception_fp_ieee_underflow 0
		.amdhsa_exception_fp_ieee_inexact 0
		.amdhsa_exception_int_div_zero 0
	.end_amdhsa_kernel
	.section	.text._ZN2at6native12_GLOBAL__N_16kernel17gru_cell_backwardIddiLi2EEEvNS_4cuda6detail10TensorInfoIT_T1_EES9_S9_S9_S9_S8_S8_,"axG",@progbits,_ZN2at6native12_GLOBAL__N_16kernel17gru_cell_backwardIddiLi2EEEvNS_4cuda6detail10TensorInfoIT_T1_EES9_S9_S9_S9_S8_S8_,comdat
.Lfunc_end49:
	.size	_ZN2at6native12_GLOBAL__N_16kernel17gru_cell_backwardIddiLi2EEEvNS_4cuda6detail10TensorInfoIT_T1_EES9_S9_S9_S9_S8_S8_, .Lfunc_end49-_ZN2at6native12_GLOBAL__N_16kernel17gru_cell_backwardIddiLi2EEEvNS_4cuda6detail10TensorInfoIT_T1_EES9_S9_S9_S9_S8_S8_
                                        ; -- End function
	.set _ZN2at6native12_GLOBAL__N_16kernel17gru_cell_backwardIddiLi2EEEvNS_4cuda6detail10TensorInfoIT_T1_EES9_S9_S9_S9_S8_S8_.num_vgpr, 51
	.set _ZN2at6native12_GLOBAL__N_16kernel17gru_cell_backwardIddiLi2EEEvNS_4cuda6detail10TensorInfoIT_T1_EES9_S9_S9_S9_S8_S8_.num_agpr, 0
	.set _ZN2at6native12_GLOBAL__N_16kernel17gru_cell_backwardIddiLi2EEEvNS_4cuda6detail10TensorInfoIT_T1_EES9_S9_S9_S9_S8_S8_.numbered_sgpr, 59
	.set _ZN2at6native12_GLOBAL__N_16kernel17gru_cell_backwardIddiLi2EEEvNS_4cuda6detail10TensorInfoIT_T1_EES9_S9_S9_S9_S8_S8_.num_named_barrier, 0
	.set _ZN2at6native12_GLOBAL__N_16kernel17gru_cell_backwardIddiLi2EEEvNS_4cuda6detail10TensorInfoIT_T1_EES9_S9_S9_S9_S8_S8_.private_seg_size, 0
	.set _ZN2at6native12_GLOBAL__N_16kernel17gru_cell_backwardIddiLi2EEEvNS_4cuda6detail10TensorInfoIT_T1_EES9_S9_S9_S9_S8_S8_.uses_vcc, 1
	.set _ZN2at6native12_GLOBAL__N_16kernel17gru_cell_backwardIddiLi2EEEvNS_4cuda6detail10TensorInfoIT_T1_EES9_S9_S9_S9_S8_S8_.uses_flat_scratch, 0
	.set _ZN2at6native12_GLOBAL__N_16kernel17gru_cell_backwardIddiLi2EEEvNS_4cuda6detail10TensorInfoIT_T1_EES9_S9_S9_S9_S8_S8_.has_dyn_sized_stack, 0
	.set _ZN2at6native12_GLOBAL__N_16kernel17gru_cell_backwardIddiLi2EEEvNS_4cuda6detail10TensorInfoIT_T1_EES9_S9_S9_S9_S8_S8_.has_recursion, 0
	.set _ZN2at6native12_GLOBAL__N_16kernel17gru_cell_backwardIddiLi2EEEvNS_4cuda6detail10TensorInfoIT_T1_EES9_S9_S9_S9_S8_S8_.has_indirect_call, 0
	.section	.AMDGPU.csdata,"",@progbits
; Kernel info:
; codeLenInByte = 2984
; TotalNumSgprs: 61
; NumVgprs: 51
; ScratchSize: 0
; MemoryBound: 0
; FloatMode: 240
; IeeeMode: 1
; LDSByteSize: 0 bytes/workgroup (compile time only)
; SGPRBlocks: 0
; VGPRBlocks: 3
; NumSGPRsForWavesPerEU: 61
; NumVGPRsForWavesPerEU: 51
; NamedBarCnt: 0
; Occupancy: 16
; WaveLimiterHint : 1
; COMPUTE_PGM_RSRC2:SCRATCH_EN: 0
; COMPUTE_PGM_RSRC2:USER_SGPR: 2
; COMPUTE_PGM_RSRC2:TRAP_HANDLER: 0
; COMPUTE_PGM_RSRC2:TGID_X_EN: 1
; COMPUTE_PGM_RSRC2:TGID_Y_EN: 0
; COMPUTE_PGM_RSRC2:TGID_Z_EN: 0
; COMPUTE_PGM_RSRC2:TIDIG_COMP_CNT: 0
	.section	.text._ZN2at6native12_GLOBAL__N_16kernel17gru_cell_backwardIddlLi1EEEvNS_4cuda6detail10TensorInfoIT_T1_EES9_S9_S9_S9_S8_S8_,"axG",@progbits,_ZN2at6native12_GLOBAL__N_16kernel17gru_cell_backwardIddlLi1EEEvNS_4cuda6detail10TensorInfoIT_T1_EES9_S9_S9_S9_S8_S8_,comdat
	.globl	_ZN2at6native12_GLOBAL__N_16kernel17gru_cell_backwardIddlLi1EEEvNS_4cuda6detail10TensorInfoIT_T1_EES9_S9_S9_S9_S8_S8_ ; -- Begin function _ZN2at6native12_GLOBAL__N_16kernel17gru_cell_backwardIddlLi1EEEvNS_4cuda6detail10TensorInfoIT_T1_EES9_S9_S9_S9_S8_S8_
	.p2align	8
	.type	_ZN2at6native12_GLOBAL__N_16kernel17gru_cell_backwardIddlLi1EEEvNS_4cuda6detail10TensorInfoIT_T1_EES9_S9_S9_S9_S8_S8_,@function
_ZN2at6native12_GLOBAL__N_16kernel17gru_cell_backwardIddlLi1EEEvNS_4cuda6detail10TensorInfoIT_T1_EES9_S9_S9_S9_S8_S8_: ; @_ZN2at6native12_GLOBAL__N_16kernel17gru_cell_backwardIddlLi1EEEvNS_4cuda6detail10TensorInfoIT_T1_EES9_S9_S9_S9_S8_S8_
; %bb.0:
	s_clause 0x1
	s_load_b32 s2, s[0:1], 0x83c
	s_load_b128 s[4:7], s[0:1], 0x820
	s_bfe_u32 s3, ttmp6, 0x4000c
	s_and_b32 s8, ttmp6, 15
	s_add_co_i32 s3, s3, 1
	s_getreg_b32 s9, hwreg(HW_REG_IB_STS2, 6, 4)
	s_mul_i32 s3, ttmp9, s3
	v_mov_b32_e32 v2, 0
	s_add_co_i32 s8, s8, s3
	s_delay_alu instid0(VALU_DEP_1)
	v_mov_b32_e32 v1, v2
	s_wait_kmcnt 0x0
	s_and_b32 s2, s2, 0xffff
	s_cmp_eq_u32 s9, 0
	s_cselect_b32 s3, ttmp9, s8
	s_mov_b32 s8, exec_lo
	v_mad_u32 v0, s3, s2, v0
	s_mov_b32 s3, 0
	s_delay_alu instid0(VALU_DEP_1)
	v_cmpx_gt_i64_e64 s[6:7], v[0:1]
	s_cbranch_execz .LBB50_7
; %bb.1:
	s_clause 0x1
	s_load_b64 s[28:29], s[0:1], 0x410
	s_load_b64 s[30:31], s[0:1], 0x5b0
	v_cvt_f32_u32_e32 v3, s4
	s_add_nc_u64 s[8:9], s[0:1], 0x830
	s_clause 0x1
	s_load_b64 s[34:35], s[0:1], 0x4e0
	s_load_b64 s[36:37], s[0:1], 0x340
	s_load_b32 s20, s[8:9], 0x0
	v_rcp_iflag_f32_e32 v3, v3
	s_wait_xcnt 0x0
	s_sub_co_i32 s8, 0, s4
	s_mov_b32 s21, s3
	s_lshl_b64 s[22:23], s[4:5], 2
	s_lshl_b64 s[24:25], s[4:5], 1
	s_mov_b64 s[26:27], 0xffffffff
	v_nop
	v_mul_f32_e32 v3, 0x4f7ffffe, v3
	s_delay_alu instid0(VALU_DEP_1) | instskip(SKIP_3) | instid1(VALU_DEP_3)
	v_cvt_u32_f32_e32 v3, v3
	s_wait_kmcnt 0x0
	v_mul_u64_e32 v[4:5], s[28:29], v[0:1]
	v_mul_u64_e32 v[6:7], s[30:31], v[0:1]
	v_mul_lo_u32 v8, s8, v3
	s_clause 0x5
	s_load_b64 s[8:9], s[0:1], 0x0
	s_load_b64 s[10:11], s[0:1], 0xd0
	;; [unrolled: 1-line block ×6, first 2 shown]
	s_mul_i32 s20, s20, s2
	s_wait_xcnt 0x0
	s_mul_u64 s[0:1], s[20:21], s[28:29]
	s_mul_u64 s[30:31], s[20:21], s[30:31]
	s_lshl_b64 s[28:29], s[0:1], 3
	s_lshl_b64 s[30:31], s[30:31], 3
	s_mov_b32 s1, 0
	v_mul_hi_u32 v8, v3, v8
	s_delay_alu instid0(VALU_DEP_1)
	v_add_nc_u32_e32 v10, v3, v8
	v_lshl_add_u64 v[4:5], v[4:5], 3, s[36:37]
	v_lshl_add_u64 v[6:7], v[6:7], 3, s[34:35]
	s_ashr_i32 s34, s5, 31
	s_branch .LBB50_3
.LBB50_2:                               ;   in Loop: Header=BB50_3 Depth=1
	s_or_b32 exec_lo, exec_lo, s0
	s_delay_alu instid0(VALU_DEP_1) | instskip(SKIP_1) | instid1(VALU_DEP_2)
	v_lshlrev_b64_e32 v[12:13], 2, v[8:9]
	v_mad_nc_u64_u32 v[32:33], s24, v8, v[0:1]
	v_or_b32_e32 v3, 1, v12
	s_delay_alu instid0(VALU_DEP_3) | instskip(NEXT) | instid1(VALU_DEP_2)
	v_mul_lo_u32 v11, s4, v13
	v_mul_lo_u32 v16, s5, v3
	v_mad_nc_u64_u32 v[14:15], s4, v3, v[0:1]
	v_or_b32_e32 v3, 2, v12
	s_delay_alu instid0(VALU_DEP_1) | instskip(NEXT) | instid1(VALU_DEP_3)
	v_mul_lo_u32 v18, s5, v3
	v_add3_u32 v15, v16, v15, v11
	v_mad_nc_u64_u32 v[16:17], s4, v3, v[0:1]
	v_or_b32_e32 v3, 3, v12
	v_add_nc_u64_e32 v[12:13], 4, v[12:13]
	s_wait_kmcnt 0x0
	v_mul_u64_e32 v[14:15], s[18:19], v[14:15]
	s_delay_alu instid0(VALU_DEP_3) | instskip(NEXT) | instid1(VALU_DEP_3)
	v_mul_lo_u32 v20, s5, v3
	v_mad_nc_u64_u32 v[22:23], s4, v12, v[0:1]
	v_add3_u32 v17, v18, v17, v11
	v_mad_nc_u64_u32 v[18:19], s4, v3, v[0:1]
	s_delay_alu instid0(VALU_DEP_2) | instskip(NEXT) | instid1(VALU_DEP_2)
	v_mul_u64_e32 v[16:17], s[18:19], v[16:17]
	v_add3_u32 v19, v20, v19, v11
	v_mad_nc_u64_u32 v[20:21], s22, v8, v[0:1]
	v_mad_u32 v11, s5, v12, v23
	s_delay_alu instid0(VALU_DEP_3) | instskip(NEXT) | instid1(VALU_DEP_3)
	v_mul_u64_e32 v[18:19], s[18:19], v[18:19]
	v_mad_u32 v3, s23, v8, v21
	v_lshl_add_u64 v[14:15], v[14:15], 3, s[16:17]
	s_delay_alu instid0(VALU_DEP_4)
	v_mad_u32 v23, s4, v13, v11
	global_load_b64 v[14:15], v[14:15], off
	v_mad_u32 v21, s22, v9, v3
	v_lshl_add_u64 v[16:17], v[16:17], 3, s[16:17]
	global_load_b64 v[24:25], v[16:17], off
	global_load_b64 v[26:27], v[4:5], off
	s_wait_xcnt 0x1
	v_mul_u64_e32 v[16:17], s[18:19], v[22:23]
	s_wait_xcnt 0x0
	v_add_nc_u64_e32 v[4:5], s[28:29], v[4:5]
	v_mul_u64_e32 v[12:13], s[18:19], v[20:21]
	v_lshl_add_u64 v[18:19], v[18:19], 3, s[16:17]
	global_load_b64 v[18:19], v[18:19], off
	v_lshl_add_u64 v[16:17], v[16:17], 3, s[16:17]
	v_lshl_add_u64 v[12:13], v[12:13], 3, s[16:17]
	s_clause 0x1
	global_load_b64 v[20:21], v[12:13], off
	global_load_b64 v[22:23], v[16:17], off
	s_wait_loadcnt 0x5
	s_wait_xcnt 0x1
	v_add_f64_e64 v[12:13], -v[14:15], 1.0
	s_wait_loadcnt 0x4
	s_wait_xcnt 0x0
	v_fma_f64 v[16:17], -v[24:25], v[24:25], 1.0
	s_wait_loadcnt 0x2
	v_add_f64_e64 v[18:19], v[18:19], -v[24:25]
	s_delay_alu instid0(VALU_DEP_3) | instskip(SKIP_2) | instid1(VALU_DEP_3)
	v_mul_f64_e32 v[28:29], v[12:13], v[26:27]
	s_wait_loadcnt 0x1
	v_add_f64_e64 v[24:25], -v[20:21], 1.0
	v_mul_f64_e32 v[18:19], v[18:19], v[26:27]
	s_delay_alu instid0(VALU_DEP_3) | instskip(SKIP_2) | instid1(VALU_DEP_2)
	v_mul_f64_e32 v[16:17], v[16:17], v[28:29]
	v_lshlrev_b64_e32 v[28:29], 1, v[8:9]
	v_mad_u32 v8, s25, v8, v33
	v_add_nc_u64_e32 v[30:31], 2, v[28:29]
	v_or_b32_e32 v3, 1, v28
	s_delay_alu instid0(VALU_DEP_3) | instskip(NEXT) | instid1(VALU_DEP_3)
	v_mad_u32 v33, s24, v9, v8
	v_mad_nc_u64_u32 v[36:37], s4, v30, v[0:1]
	v_mul_f64_e32 v[12:13], v[12:13], v[18:19]
	s_delay_alu instid0(VALU_DEP_4) | instskip(NEXT) | instid1(VALU_DEP_3)
	v_mad_nc_u64_u32 v[34:35], s4, v3, v[0:1]
	v_mad_u32 v11, s5, v30, v37
	v_mul_u64_e32 v[8:9], s[10:11], v[32:33]
	v_mul_u64_e32 v[18:19], s[14:15], v[32:33]
	v_add_nc_u64_e32 v[0:1], s[20:21], v[0:1]
	s_wait_loadcnt 0x0
	v_mul_f64_e32 v[22:23], v[22:23], v[16:17]
	v_mad_u32 v3, s5, v3, v35
	v_mad_u32 v37, s4, v31, v11
	s_delay_alu instid0(VALU_DEP_4) | instskip(SKIP_1) | instid1(VALU_DEP_3)
	v_cmp_le_i64_e32 vcc_lo, s[6:7], v[0:1]
	s_or_b32 s1, vcc_lo, s1
	v_mad_u32 v35, s4, v29, v3
	s_delay_alu instid0(VALU_DEP_3)
	v_mul_u64_e32 v[28:29], s[10:11], v[36:37]
	v_mul_u64_e32 v[32:33], s[14:15], v[36:37]
	v_mul_f64_e32 v[12:13], v[14:15], v[12:13]
	v_mul_f64_e32 v[14:15], v[14:15], v[26:27]
	v_mul_u64_e32 v[30:31], s[14:15], v[34:35]
	v_lshl_add_u64 v[8:9], v[8:9], 3, s[8:9]
	v_lshl_add_u64 v[18:19], v[18:19], 3, s[12:13]
	v_mul_f64_e32 v[22:23], v[24:25], v[22:23]
	v_mul_u64_e32 v[24:25], s[10:11], v[34:35]
	v_lshl_add_u64 v[26:27], v[28:29], 3, s[8:9]
	v_lshl_add_u64 v[28:29], v[30:31], 3, s[12:13]
	;; [unrolled: 1-line block ×3, first 2 shown]
	v_mul_f64_e32 v[22:23], v[20:21], v[22:23]
	v_mul_f64_e32 v[20:21], v[20:21], v[16:17]
	v_lshl_add_u64 v[24:25], v[24:25], 3, s[8:9]
	s_clause 0x2
	global_store_b64 v[8:9], v[22:23], off
	global_store_b64 v[24:25], v[12:13], off
	;; [unrolled: 1-line block ×3, first 2 shown]
	s_clause 0x2
	global_store_b64 v[18:19], v[22:23], off
	global_store_b64 v[28:29], v[12:13], off
	;; [unrolled: 1-line block ×4, first 2 shown]
	s_wait_xcnt 0x0
	v_add_nc_u64_e32 v[6:7], s[30:31], v[6:7]
	s_and_not1_b32 exec_lo, exec_lo, s1
	s_cbranch_execz .LBB50_7
.LBB50_3:                               ; =>This Inner Loop Header: Depth=1
	v_or_b32_e32 v3, s5, v1
                                        ; implicit-def: $vgpr8_vgpr9
	s_mov_b32 s0, exec_lo
	s_delay_alu instid0(VALU_DEP_1)
	v_cmpx_ne_u64_e32 0, v[2:3]
	s_xor_b32 s33, exec_lo, s0
	s_cbranch_execz .LBB50_5
; %bb.4:                                ;   in Loop: Header=BB50_3 Depth=1
	s_mov_b32 s35, s34
	v_dual_mov_b32 v15, v2 :: v_dual_ashrrev_i32 v8, 31, v1
	s_add_nc_u64 s[36:37], s[4:5], s[34:35]
	v_mov_b32_e32 v19, v2
	s_xor_b64 s[36:37], s[36:37], s[34:35]
	s_delay_alu instid0(VALU_DEP_2)
	v_mov_b32_e32 v9, v8
	s_cvt_f32_u32 s0, s36
	s_cvt_f32_u32 s2, s37
	s_sub_nc_u64 s[40:41], 0, s[36:37]
	v_mov_b32_e32 v23, v2
	v_add_nc_u64_e32 v[12:13], v[0:1], v[8:9]
	s_fmamk_f32 s0, s2, 0x4f800000, s0
	s_delay_alu instid0(SALU_CYCLE_3) | instskip(NEXT) | instid1(VALU_DEP_1)
	v_s_rcp_f32 s0, s0
	v_xor_b32_e32 v14, v12, v8
	s_delay_alu instid0(VALU_DEP_2) | instskip(NEXT) | instid1(TRANS32_DEP_1)
	v_xor_b32_e32 v18, v13, v8
	s_mul_f32 s0, s0, 0x5f7ffffc
	s_delay_alu instid0(SALU_CYCLE_3) | instskip(NEXT) | instid1(SALU_CYCLE_3)
	s_mul_f32 s2, s0, 0x2f800000
	s_trunc_f32 s2, s2
	s_delay_alu instid0(SALU_CYCLE_3) | instskip(SKIP_1) | instid1(SALU_CYCLE_2)
	s_fmamk_f32 s0, s2, 0xcf800000, s0
	s_cvt_u32_f32 s39, s2
	s_cvt_u32_f32 s38, s0
	s_delay_alu instid0(SALU_CYCLE_3) | instskip(NEXT) | instid1(SALU_CYCLE_1)
	s_mul_u64 s[42:43], s[40:41], s[38:39]
	s_mul_hi_u32 s45, s38, s43
	s_mul_i32 s44, s38, s43
	s_mul_hi_u32 s2, s38, s42
	s_mul_i32 s35, s39, s42
	s_add_nc_u64 s[44:45], s[2:3], s[44:45]
	s_mul_hi_u32 s0, s39, s42
	s_mul_hi_u32 s46, s39, s43
	s_add_co_u32 s2, s44, s35
	s_add_co_ci_u32 s2, s45, s0
	s_mul_i32 s42, s39, s43
	s_add_co_ci_u32 s43, s46, 0
	s_delay_alu instid0(SALU_CYCLE_1) | instskip(NEXT) | instid1(SALU_CYCLE_1)
	s_add_nc_u64 s[42:43], s[2:3], s[42:43]
	s_add_co_u32 s38, s38, s42
	s_cselect_b32 s0, -1, 0
	s_delay_alu instid0(SALU_CYCLE_1) | instskip(SKIP_1) | instid1(SALU_CYCLE_1)
	s_cmp_lg_u32 s0, 0
	s_add_co_ci_u32 s39, s39, s43
	s_mul_u64 s[40:41], s[40:41], s[38:39]
	s_delay_alu instid0(SALU_CYCLE_1)
	s_mul_hi_u32 s43, s38, s41
	s_mul_i32 s42, s38, s41
	s_mul_hi_u32 s2, s38, s40
	s_mul_i32 s35, s39, s40
	s_add_nc_u64 s[42:43], s[2:3], s[42:43]
	s_mul_hi_u32 s0, s39, s40
	s_mul_hi_u32 s44, s39, s41
	s_add_co_u32 s2, s42, s35
	s_add_co_ci_u32 s2, s43, s0
	s_mul_i32 s40, s39, s41
	s_add_co_ci_u32 s41, s44, 0
	s_delay_alu instid0(SALU_CYCLE_1) | instskip(NEXT) | instid1(SALU_CYCLE_1)
	s_add_nc_u64 s[40:41], s[2:3], s[40:41]
	s_add_co_u32 s0, s38, s40
	s_cselect_b32 s2, -1, 0
	v_mul_hi_u32 v22, v14, s0
	s_cmp_lg_u32 s2, 0
	s_add_co_ci_u32 s2, s39, s41
	s_and_b64 s[38:39], s[0:1], s[26:27]
	v_mul_u64_e32 v[16:17], s[2:3], v[14:15]
	v_mul_u64_e32 v[12:13], s[38:39], v[18:19]
	;; [unrolled: 1-line block ×3, first 2 shown]
	s_delay_alu instid0(VALU_DEP_3) | instskip(NEXT) | instid1(VALU_DEP_1)
	v_add_nc_u64_e32 v[16:17], v[22:23], v[16:17]
	v_add_co_u32 v3, vcc_lo, v16, v12
	s_delay_alu instid0(VALU_DEP_2) | instskip(NEXT) | instid1(VALU_DEP_4)
	v_add_co_ci_u32_e32 v22, vcc_lo, v17, v13, vcc_lo
	v_add_co_ci_u32_e32 v21, vcc_lo, 0, v21, vcc_lo
	s_delay_alu instid0(VALU_DEP_1) | instskip(NEXT) | instid1(VALU_DEP_1)
	v_add_nc_u64_e32 v[12:13], v[22:23], v[20:21]
	v_mul_u64_e32 v[16:17], s[36:37], v[12:13]
	s_delay_alu instid0(VALU_DEP_1) | instskip(NEXT) | instid1(VALU_DEP_2)
	v_sub_nc_u32_e32 v3, v18, v17
	v_sub_co_u32 v9, vcc_lo, v14, v16
	s_delay_alu instid0(VALU_DEP_1) | instskip(NEXT) | instid1(VALU_DEP_3)
	v_sub_co_ci_u32_e64 v18, null, v18, v17, vcc_lo
	v_subrev_co_ci_u32_e64 v3, null, s37, v3, vcc_lo
	s_delay_alu instid0(VALU_DEP_3) | instskip(SKIP_1) | instid1(VALU_DEP_3)
	v_sub_co_u32 v11, s0, v9, s36
	v_add_nc_u64_e32 v[16:17], 1, v[12:13]
	v_subrev_co_ci_u32_e64 v3, null, 0, v3, s0
	s_delay_alu instid0(VALU_DEP_3) | instskip(SKIP_1) | instid1(VALU_DEP_3)
	v_cmp_le_u32_e32 vcc_lo, s36, v11
	v_cndmask_b32_e64 v11, 0, -1, vcc_lo
	v_cmp_le_u32_e32 vcc_lo, s37, v3
	v_cndmask_b32_e64 v14, 0, -1, vcc_lo
	;; [unrolled: 2-line block ×4, first 2 shown]
	v_cmp_eq_u32_e32 vcc_lo, s37, v3
	v_cndmask_b32_e32 v3, v14, v11, vcc_lo
	v_cmp_eq_u32_e32 vcc_lo, s37, v18
	v_add_nc_u64_e32 v[14:15], 2, v[12:13]
	v_cndmask_b32_e32 v9, v19, v9, vcc_lo
	s_delay_alu instid0(VALU_DEP_4) | instskip(NEXT) | instid1(VALU_DEP_3)
	v_cmp_ne_u32_e32 vcc_lo, 0, v3
	v_cndmask_b32_e32 v3, v17, v15, vcc_lo
	s_delay_alu instid0(VALU_DEP_3) | instskip(SKIP_1) | instid1(VALU_DEP_1)
	v_cmp_ne_u32_e64 s0, 0, v9
	v_dual_cndmask_b32 v9, v16, v14, vcc_lo :: v_dual_bitop2_b32 v8, s34, v8 bitop3:0x14
	v_dual_cndmask_b32 v3, v13, v3, s0 :: v_dual_cndmask_b32 v11, v12, v9, s0
	s_delay_alu instid0(VALU_DEP_1) | instskip(NEXT) | instid1(VALU_DEP_2)
	v_dual_mov_b32 v9, v8 :: v_dual_bitop2_b32 v13, v3, v8 bitop3:0x14
	v_xor_b32_e32 v12, v11, v8
	s_delay_alu instid0(VALU_DEP_1)
	v_sub_nc_u64_e32 v[8:9], v[12:13], v[8:9]
.LBB50_5:                               ;   in Loop: Header=BB50_3 Depth=1
	s_and_not1_saveexec_b32 s0, s33
	s_cbranch_execz .LBB50_2
; %bb.6:                                ;   in Loop: Header=BB50_3 Depth=1
	v_mul_hi_u32 v3, v0, v10
	s_delay_alu instid0(VALU_DEP_1) | instskip(NEXT) | instid1(VALU_DEP_1)
	v_mul_lo_u32 v8, v3, s4
	v_dual_add_nc_u32 v9, 1, v3 :: v_dual_sub_nc_u32 v8, v0, v8
	s_delay_alu instid0(VALU_DEP_1) | instskip(SKIP_1) | instid1(VALU_DEP_2)
	v_subrev_nc_u32_e32 v11, s4, v8
	v_cmp_le_u32_e32 vcc_lo, s4, v8
	v_dual_cndmask_b32 v8, v8, v11 :: v_dual_cndmask_b32 v3, v3, v9
	s_delay_alu instid0(VALU_DEP_1) | instskip(NEXT) | instid1(VALU_DEP_2)
	v_cmp_le_u32_e32 vcc_lo, s4, v8
	v_add_nc_u32_e32 v9, 1, v3
	s_delay_alu instid0(VALU_DEP_1)
	v_dual_cndmask_b32 v8, v3, v9 :: v_dual_mov_b32 v9, v2
	s_branch .LBB50_2
.LBB50_7:
	s_endpgm
	.section	.rodata,"a",@progbits
	.p2align	6, 0x0
	.amdhsa_kernel _ZN2at6native12_GLOBAL__N_16kernel17gru_cell_backwardIddlLi1EEEvNS_4cuda6detail10TensorInfoIT_T1_EES9_S9_S9_S9_S8_S8_
		.amdhsa_group_segment_fixed_size 0
		.amdhsa_private_segment_fixed_size 0
		.amdhsa_kernarg_size 2352
		.amdhsa_user_sgpr_count 2
		.amdhsa_user_sgpr_dispatch_ptr 0
		.amdhsa_user_sgpr_queue_ptr 0
		.amdhsa_user_sgpr_kernarg_segment_ptr 1
		.amdhsa_user_sgpr_dispatch_id 0
		.amdhsa_user_sgpr_kernarg_preload_length 0
		.amdhsa_user_sgpr_kernarg_preload_offset 0
		.amdhsa_user_sgpr_private_segment_size 0
		.amdhsa_wavefront_size32 1
		.amdhsa_uses_dynamic_stack 0
		.amdhsa_enable_private_segment 0
		.amdhsa_system_sgpr_workgroup_id_x 1
		.amdhsa_system_sgpr_workgroup_id_y 0
		.amdhsa_system_sgpr_workgroup_id_z 0
		.amdhsa_system_sgpr_workgroup_info 0
		.amdhsa_system_vgpr_workitem_id 0
		.amdhsa_next_free_vgpr 38
		.amdhsa_next_free_sgpr 47
		.amdhsa_named_barrier_count 0
		.amdhsa_reserve_vcc 1
		.amdhsa_float_round_mode_32 0
		.amdhsa_float_round_mode_16_64 0
		.amdhsa_float_denorm_mode_32 3
		.amdhsa_float_denorm_mode_16_64 3
		.amdhsa_fp16_overflow 0
		.amdhsa_memory_ordered 1
		.amdhsa_forward_progress 1
		.amdhsa_inst_pref_size 14
		.amdhsa_round_robin_scheduling 0
		.amdhsa_exception_fp_ieee_invalid_op 0
		.amdhsa_exception_fp_denorm_src 0
		.amdhsa_exception_fp_ieee_div_zero 0
		.amdhsa_exception_fp_ieee_overflow 0
		.amdhsa_exception_fp_ieee_underflow 0
		.amdhsa_exception_fp_ieee_inexact 0
		.amdhsa_exception_int_div_zero 0
	.end_amdhsa_kernel
	.section	.text._ZN2at6native12_GLOBAL__N_16kernel17gru_cell_backwardIddlLi1EEEvNS_4cuda6detail10TensorInfoIT_T1_EES9_S9_S9_S9_S8_S8_,"axG",@progbits,_ZN2at6native12_GLOBAL__N_16kernel17gru_cell_backwardIddlLi1EEEvNS_4cuda6detail10TensorInfoIT_T1_EES9_S9_S9_S9_S8_S8_,comdat
.Lfunc_end50:
	.size	_ZN2at6native12_GLOBAL__N_16kernel17gru_cell_backwardIddlLi1EEEvNS_4cuda6detail10TensorInfoIT_T1_EES9_S9_S9_S9_S8_S8_, .Lfunc_end50-_ZN2at6native12_GLOBAL__N_16kernel17gru_cell_backwardIddlLi1EEEvNS_4cuda6detail10TensorInfoIT_T1_EES9_S9_S9_S9_S8_S8_
                                        ; -- End function
	.set _ZN2at6native12_GLOBAL__N_16kernel17gru_cell_backwardIddlLi1EEEvNS_4cuda6detail10TensorInfoIT_T1_EES9_S9_S9_S9_S8_S8_.num_vgpr, 38
	.set _ZN2at6native12_GLOBAL__N_16kernel17gru_cell_backwardIddlLi1EEEvNS_4cuda6detail10TensorInfoIT_T1_EES9_S9_S9_S9_S8_S8_.num_agpr, 0
	.set _ZN2at6native12_GLOBAL__N_16kernel17gru_cell_backwardIddlLi1EEEvNS_4cuda6detail10TensorInfoIT_T1_EES9_S9_S9_S9_S8_S8_.numbered_sgpr, 47
	.set _ZN2at6native12_GLOBAL__N_16kernel17gru_cell_backwardIddlLi1EEEvNS_4cuda6detail10TensorInfoIT_T1_EES9_S9_S9_S9_S8_S8_.num_named_barrier, 0
	.set _ZN2at6native12_GLOBAL__N_16kernel17gru_cell_backwardIddlLi1EEEvNS_4cuda6detail10TensorInfoIT_T1_EES9_S9_S9_S9_S8_S8_.private_seg_size, 0
	.set _ZN2at6native12_GLOBAL__N_16kernel17gru_cell_backwardIddlLi1EEEvNS_4cuda6detail10TensorInfoIT_T1_EES9_S9_S9_S9_S8_S8_.uses_vcc, 1
	.set _ZN2at6native12_GLOBAL__N_16kernel17gru_cell_backwardIddlLi1EEEvNS_4cuda6detail10TensorInfoIT_T1_EES9_S9_S9_S9_S8_S8_.uses_flat_scratch, 0
	.set _ZN2at6native12_GLOBAL__N_16kernel17gru_cell_backwardIddlLi1EEEvNS_4cuda6detail10TensorInfoIT_T1_EES9_S9_S9_S9_S8_S8_.has_dyn_sized_stack, 0
	.set _ZN2at6native12_GLOBAL__N_16kernel17gru_cell_backwardIddlLi1EEEvNS_4cuda6detail10TensorInfoIT_T1_EES9_S9_S9_S9_S8_S8_.has_recursion, 0
	.set _ZN2at6native12_GLOBAL__N_16kernel17gru_cell_backwardIddlLi1EEEvNS_4cuda6detail10TensorInfoIT_T1_EES9_S9_S9_S9_S8_S8_.has_indirect_call, 0
	.section	.AMDGPU.csdata,"",@progbits
; Kernel info:
; codeLenInByte = 1768
; TotalNumSgprs: 49
; NumVgprs: 38
; ScratchSize: 0
; MemoryBound: 0
; FloatMode: 240
; IeeeMode: 1
; LDSByteSize: 0 bytes/workgroup (compile time only)
; SGPRBlocks: 0
; VGPRBlocks: 2
; NumSGPRsForWavesPerEU: 49
; NumVGPRsForWavesPerEU: 38
; NamedBarCnt: 0
; Occupancy: 16
; WaveLimiterHint : 1
; COMPUTE_PGM_RSRC2:SCRATCH_EN: 0
; COMPUTE_PGM_RSRC2:USER_SGPR: 2
; COMPUTE_PGM_RSRC2:TRAP_HANDLER: 0
; COMPUTE_PGM_RSRC2:TGID_X_EN: 1
; COMPUTE_PGM_RSRC2:TGID_Y_EN: 0
; COMPUTE_PGM_RSRC2:TGID_Z_EN: 0
; COMPUTE_PGM_RSRC2:TIDIG_COMP_CNT: 0
	.section	.text._ZN2at6native12_GLOBAL__N_16kernel17gru_cell_backwardIddlLi2EEEvNS_4cuda6detail10TensorInfoIT_T1_EES9_S9_S9_S9_S8_S8_,"axG",@progbits,_ZN2at6native12_GLOBAL__N_16kernel17gru_cell_backwardIddlLi2EEEvNS_4cuda6detail10TensorInfoIT_T1_EES9_S9_S9_S9_S8_S8_,comdat
	.globl	_ZN2at6native12_GLOBAL__N_16kernel17gru_cell_backwardIddlLi2EEEvNS_4cuda6detail10TensorInfoIT_T1_EES9_S9_S9_S9_S8_S8_ ; -- Begin function _ZN2at6native12_GLOBAL__N_16kernel17gru_cell_backwardIddlLi2EEEvNS_4cuda6detail10TensorInfoIT_T1_EES9_S9_S9_S9_S8_S8_
	.p2align	8
	.type	_ZN2at6native12_GLOBAL__N_16kernel17gru_cell_backwardIddlLi2EEEvNS_4cuda6detail10TensorInfoIT_T1_EES9_S9_S9_S9_S8_S8_,@function
_ZN2at6native12_GLOBAL__N_16kernel17gru_cell_backwardIddlLi2EEEvNS_4cuda6detail10TensorInfoIT_T1_EES9_S9_S9_S9_S8_S8_: ; @_ZN2at6native12_GLOBAL__N_16kernel17gru_cell_backwardIddlLi2EEEvNS_4cuda6detail10TensorInfoIT_T1_EES9_S9_S9_S9_S8_S8_
; %bb.0:
	s_clause 0x1
	s_load_b32 s2, s[0:1], 0x83c
	s_load_b128 s[4:7], s[0:1], 0x820
	s_bfe_u32 s3, ttmp6, 0x4000c
	s_and_b32 s8, ttmp6, 15
	s_add_co_i32 s3, s3, 1
	s_getreg_b32 s9, hwreg(HW_REG_IB_STS2, 6, 4)
	s_mul_i32 s3, ttmp9, s3
	v_mov_b32_e32 v2, 0
	s_add_co_i32 s8, s8, s3
	s_delay_alu instid0(VALU_DEP_1)
	v_mov_b32_e32 v1, v2
	s_wait_kmcnt 0x0
	s_and_b32 s2, s2, 0xffff
	s_cmp_eq_u32 s9, 0
	s_cselect_b32 s3, ttmp9, s8
	s_mov_b32 s8, exec_lo
	v_mad_u32 v0, s3, s2, v0
	s_mov_b32 s3, 0
	s_delay_alu instid0(VALU_DEP_1)
	v_cmpx_gt_i64_e64 s[6:7], v[0:1]
	s_cbranch_execz .LBB51_59
; %bb.1:
	s_add_nc_u64 s[24:25], s[0:1], 0x830
	v_cvt_f32_u32_e32 v3, s4
	s_clause 0x5
	s_load_b64 s[28:29], s[0:1], 0x0
	s_load_b64 s[30:31], s[0:1], 0x10
	s_load_b128 s[8:11], s[0:1], 0xd0
	s_load_b64 s[34:35], s[0:1], 0x1a0
	s_load_b64 s[36:37], s[0:1], 0x1b0
	s_load_b128 s[12:15], s[0:1], 0x270
	s_load_b32 s33, s[24:25], 0x0
	s_clause 0x7
	s_load_b64 s[38:39], s[0:1], 0x340
	s_load_b64 s[40:41], s[0:1], 0x350
	s_load_b128 s[16:19], s[0:1], 0x410
	s_load_b64 s[42:43], s[0:1], 0x4e0
	s_load_b64 s[44:45], s[0:1], 0x4f0
	s_load_b128 s[20:23], s[0:1], 0x5b0
	s_load_b64 s[46:47], s[0:1], 0x680
	s_load_b64 s[48:49], s[0:1], 0x690
	s_wait_xcnt 0x0
	s_load_b128 s[24:27], s[0:1], 0x750
	s_mov_b32 s51, s3
	s_lshl_b64 s[52:53], s[4:5], 2
	v_rcp_iflag_f32_e32 v3, v3
	s_lshl_b64 s[54:55], s[4:5], 1
	s_mov_b64 s[56:57], 0xffffffff
	s_ashr_i32 s62, s5, 31
	s_wait_xcnt 0x0
	s_mov_b32 s1, 0
	v_nop
	v_mul_f32_e32 v3, 0x4f7ffffe, v3
	s_wait_kmcnt 0x0
	s_mul_i32 s50, s33, s2
	s_delay_alu instid0(VALU_DEP_1)
	v_cvt_u32_f32_e32 v40, v3
	s_sub_nc_u64 s[58:59], 0, s[40:41]
	s_sub_nc_u64 s[60:61], 0, s[44:45]
	s_branch .LBB51_3
.LBB51_2:                               ;   in Loop: Header=BB51_3 Depth=1
	s_or_b32 exec_lo, exec_lo, s0
	s_delay_alu instid0(VALU_DEP_1) | instskip(SKIP_2) | instid1(VALU_DEP_1)
	v_mad_nc_u64_u32 v[4:5], s60, v6, v[0:1]
	v_mul_f64_e32 v[8:9], v[8:9], v[12:13]
	v_add_nc_u64_e32 v[0:1], s[50:51], v[0:1]
	v_cmp_le_i64_e32 vcc_lo, s[6:7], v[0:1]
	s_delay_alu instid0(VALU_DEP_4) | instskip(SKIP_1) | instid1(VALU_DEP_1)
	v_mad_u32 v3, s61, v6, v5
	s_or_b32 s1, vcc_lo, s1
	v_mad_u32 v5, s60, v7, v3
	v_mul_u64_e32 v[6:7], s[20:21], v[6:7]
	s_delay_alu instid0(VALU_DEP_2) | instskip(NEXT) | instid1(VALU_DEP_2)
	v_mul_u64_e32 v[4:5], s[22:23], v[4:5]
	v_lshl_add_u64 v[6:7], v[6:7], 3, s[42:43]
	s_delay_alu instid0(VALU_DEP_1)
	v_lshl_add_u64 v[4:5], v[4:5], 3, v[6:7]
	global_store_b64 v[4:5], v[8:9], off
	s_wait_xcnt 0x0
	s_and_not1_b32 exec_lo, exec_lo, s1
	s_cbranch_execz .LBB51_59
.LBB51_3:                               ; =>This Inner Loop Header: Depth=1
	v_dual_ashrrev_i32 v4, 31, v1 :: v_dual_bitop2_b32 v3, s5, v1 bitop3:0x54
                                        ; implicit-def: $vgpr10_vgpr11
	s_mov_b32 s0, exec_lo
	s_delay_alu instid0(VALU_DEP_1)
	v_cmpx_ne_u64_e32 0, v[2:3]
	s_xor_b32 s33, exec_lo, s0
	s_cbranch_execz .LBB51_5
; %bb.4:                                ;   in Loop: Header=BB51_3 Depth=1
	s_mov_b32 s63, s62
	v_dual_mov_b32 v5, v4 :: v_dual_mov_b32 v9, v2
	s_add_nc_u64 s[64:65], s[4:5], s[62:63]
	v_mov_b32_e32 v17, v2
	s_xor_b64 s[64:65], s[64:65], s[62:63]
	s_delay_alu instid0(VALU_DEP_2) | instskip(SKIP_4) | instid1(SALU_CYCLE_1)
	v_add_nc_u64_e32 v[6:7], v[0:1], v[4:5]
	s_cvt_f32_u32 s0, s64
	s_cvt_f32_u32 s2, s65
	s_sub_nc_u64 s[68:69], 0, s[64:65]
	v_mov_b32_e32 v13, v2
	s_fmamk_f32 s0, s2, 0x4f800000, s0
	s_delay_alu instid0(VALU_DEP_2) | instskip(SKIP_1) | instid1(SALU_CYCLE_1)
	v_xor_b32_e32 v12, v7, v4
	v_xor_b32_e32 v8, v6, v4
	v_s_rcp_f32 s0, s0
	s_delay_alu instid0(TRANS32_DEP_1) | instskip(NEXT) | instid1(SALU_CYCLE_3)
	s_mul_f32 s0, s0, 0x5f7ffffc
	s_mul_f32 s2, s0, 0x2f800000
	s_delay_alu instid0(SALU_CYCLE_3) | instskip(NEXT) | instid1(SALU_CYCLE_3)
	s_trunc_f32 s2, s2
	s_fmamk_f32 s0, s2, 0xcf800000, s0
	s_cvt_u32_f32 s67, s2
	s_delay_alu instid0(SALU_CYCLE_2) | instskip(NEXT) | instid1(SALU_CYCLE_3)
	s_cvt_u32_f32 s66, s0
	s_mul_u64 s[70:71], s[68:69], s[66:67]
	s_delay_alu instid0(SALU_CYCLE_1)
	s_mul_hi_u32 s73, s66, s71
	s_mul_i32 s72, s66, s71
	s_mul_hi_u32 s2, s66, s70
	s_mul_i32 s63, s67, s70
	s_add_nc_u64 s[72:73], s[2:3], s[72:73]
	s_mul_hi_u32 s0, s67, s70
	s_mul_hi_u32 s74, s67, s71
	s_add_co_u32 s2, s72, s63
	s_add_co_ci_u32 s2, s73, s0
	s_mul_i32 s70, s67, s71
	s_add_co_ci_u32 s71, s74, 0
	s_delay_alu instid0(SALU_CYCLE_1) | instskip(NEXT) | instid1(SALU_CYCLE_1)
	s_add_nc_u64 s[70:71], s[2:3], s[70:71]
	s_add_co_u32 s66, s66, s70
	s_cselect_b32 s0, -1, 0
	s_delay_alu instid0(SALU_CYCLE_1) | instskip(SKIP_1) | instid1(SALU_CYCLE_1)
	s_cmp_lg_u32 s0, 0
	s_add_co_ci_u32 s67, s67, s71
	s_mul_u64 s[68:69], s[68:69], s[66:67]
	s_delay_alu instid0(SALU_CYCLE_1)
	s_mul_hi_u32 s71, s66, s69
	s_mul_i32 s70, s66, s69
	s_mul_hi_u32 s2, s66, s68
	s_mul_i32 s63, s67, s68
	s_add_nc_u64 s[70:71], s[2:3], s[70:71]
	s_mul_hi_u32 s0, s67, s68
	s_mul_hi_u32 s72, s67, s69
	s_add_co_u32 s2, s70, s63
	s_add_co_ci_u32 s2, s71, s0
	s_mul_i32 s68, s67, s69
	s_add_co_ci_u32 s69, s72, 0
	s_delay_alu instid0(SALU_CYCLE_1) | instskip(NEXT) | instid1(SALU_CYCLE_1)
	s_add_nc_u64 s[68:69], s[2:3], s[68:69]
	s_add_co_u32 s0, s66, s68
	s_cselect_b32 s2, -1, 0
	v_nop
	v_mul_hi_u32 v16, v8, s0
	s_cmp_lg_u32 s2, 0
	s_add_co_ci_u32 s2, s67, s69
	s_and_b64 s[66:67], s[0:1], s[56:57]
	v_mul_u64_e32 v[10:11], s[2:3], v[8:9]
	v_mul_u64_e32 v[6:7], s[66:67], v[12:13]
	;; [unrolled: 1-line block ×3, first 2 shown]
	s_delay_alu instid0(VALU_DEP_3) | instskip(NEXT) | instid1(VALU_DEP_1)
	v_add_nc_u64_e32 v[10:11], v[16:17], v[10:11]
	v_add_co_u32 v3, vcc_lo, v10, v6
	s_delay_alu instid0(VALU_DEP_2) | instskip(NEXT) | instid1(VALU_DEP_4)
	v_add_co_ci_u32_e32 v16, vcc_lo, v11, v7, vcc_lo
	v_add_co_ci_u32_e32 v15, vcc_lo, 0, v15, vcc_lo
	s_delay_alu instid0(VALU_DEP_1) | instskip(NEXT) | instid1(VALU_DEP_1)
	v_add_nc_u64_e32 v[6:7], v[16:17], v[14:15]
	v_mul_u64_e32 v[10:11], s[64:65], v[6:7]
	s_delay_alu instid0(VALU_DEP_1) | instskip(NEXT) | instid1(VALU_DEP_2)
	v_sub_nc_u32_e32 v3, v12, v11
	v_sub_co_u32 v5, vcc_lo, v8, v10
	s_delay_alu instid0(VALU_DEP_1) | instskip(NEXT) | instid1(VALU_DEP_3)
	v_sub_co_ci_u32_e64 v12, null, v12, v11, vcc_lo
	v_subrev_co_ci_u32_e64 v3, null, s65, v3, vcc_lo
	s_delay_alu instid0(VALU_DEP_3) | instskip(SKIP_1) | instid1(VALU_DEP_3)
	v_sub_co_u32 v8, s0, v5, s64
	v_add_nc_u64_e32 v[10:11], 1, v[6:7]
	v_subrev_co_ci_u32_e64 v3, null, 0, v3, s0
	s_delay_alu instid0(VALU_DEP_3) | instskip(SKIP_1) | instid1(VALU_DEP_3)
	v_cmp_le_u32_e32 vcc_lo, s64, v8
	v_cndmask_b32_e64 v8, 0, -1, vcc_lo
	v_cmp_le_u32_e32 vcc_lo, s65, v3
	v_cndmask_b32_e64 v9, 0, -1, vcc_lo
	;; [unrolled: 2-line block ×4, first 2 shown]
	v_cmp_eq_u32_e32 vcc_lo, s65, v3
	v_cndmask_b32_e32 v3, v9, v8, vcc_lo
	v_cmp_eq_u32_e32 vcc_lo, s65, v12
	v_add_nc_u64_e32 v[8:9], 2, v[6:7]
	v_cndmask_b32_e32 v5, v13, v5, vcc_lo
	s_delay_alu instid0(VALU_DEP_4) | instskip(NEXT) | instid1(VALU_DEP_2)
	v_cmp_ne_u32_e32 vcc_lo, 0, v3
	v_cmp_ne_u32_e64 s0, 0, v5
	s_delay_alu instid0(VALU_DEP_4) | instskip(NEXT) | instid1(VALU_DEP_1)
	v_dual_cndmask_b32 v3, v11, v9, vcc_lo :: v_dual_cndmask_b32 v5, v10, v8, vcc_lo
	v_dual_cndmask_b32 v3, v7, v3, s0 :: v_dual_bitop2_b32 v8, s62, v4 bitop3:0x14
	s_delay_alu instid0(VALU_DEP_1) | instskip(NEXT) | instid1(VALU_DEP_2)
	v_dual_cndmask_b32 v5, v6, v5, s0 :: v_dual_mov_b32 v9, v8
	v_xor_b32_e32 v7, v3, v8
	s_delay_alu instid0(VALU_DEP_2) | instskip(NEXT) | instid1(VALU_DEP_1)
	v_xor_b32_e32 v6, v5, v8
	v_sub_nc_u64_e32 v[10:11], v[6:7], v[8:9]
.LBB51_5:                               ;   in Loop: Header=BB51_3 Depth=1
	s_and_not1_saveexec_b32 s0, s33
	s_cbranch_execz .LBB51_7
; %bb.6:                                ;   in Loop: Header=BB51_3 Depth=1
	s_sub_co_i32 s2, 0, s4
	v_mov_b32_e32 v11, v2
	v_mul_lo_u32 v3, s2, v40
	s_delay_alu instid0(VALU_DEP_1) | instskip(NEXT) | instid1(VALU_DEP_1)
	v_mul_hi_u32 v3, v40, v3
	v_add_nc_u32_e32 v3, v40, v3
	s_delay_alu instid0(VALU_DEP_1) | instskip(NEXT) | instid1(VALU_DEP_1)
	v_mul_hi_u32 v3, v0, v3
	v_mul_lo_u32 v5, v3, s4
	s_delay_alu instid0(VALU_DEP_1) | instskip(NEXT) | instid1(VALU_DEP_1)
	v_dual_add_nc_u32 v6, 1, v3 :: v_dual_sub_nc_u32 v5, v0, v5
	v_subrev_nc_u32_e32 v7, s4, v5
	v_cmp_le_u32_e32 vcc_lo, s4, v5
	s_delay_alu instid0(VALU_DEP_2) | instskip(NEXT) | instid1(VALU_DEP_1)
	v_dual_cndmask_b32 v5, v5, v7, vcc_lo :: v_dual_cndmask_b32 v3, v3, v6, vcc_lo
	v_cmp_le_u32_e32 vcc_lo, s4, v5
	s_delay_alu instid0(VALU_DEP_2) | instskip(NEXT) | instid1(VALU_DEP_1)
	v_add_nc_u32_e32 v6, 1, v3
	v_cndmask_b32_e32 v10, v3, v6, vcc_lo
.LBB51_7:                               ;   in Loop: Header=BB51_3 Depth=1
	s_or_b32 exec_lo, exec_lo, s0
	s_delay_alu instid0(VALU_DEP_1) | instskip(SKIP_1) | instid1(VALU_DEP_1)
	v_mul_u64_e32 v[6:7], s[52:53], v[10:11]
                                        ; implicit-def: $vgpr12_vgpr13
	s_mov_b32 s0, exec_lo
	v_add_nc_u64_e32 v[8:9], v[0:1], v[6:7]
	s_delay_alu instid0(VALU_DEP_1) | instskip(NEXT) | instid1(VALU_DEP_1)
	v_or_b32_e32 v3, s49, v9
	v_cmpx_ne_u64_e32 0, v[2:3]
	s_xor_b32 s33, exec_lo, s0
	s_cbranch_execz .LBB51_9
; %bb.8:                                ;   in Loop: Header=BB51_3 Depth=1
	s_ashr_i32 s64, s49, 31
	v_dual_mov_b32 v15, v2 :: v_dual_ashrrev_i32 v12, 31, v9
	s_mov_b32 s65, s64
	v_mov_b32_e32 v19, v2
	s_add_nc_u64 s[66:67], s[48:49], s[64:65]
	s_delay_alu instid0(VALU_DEP_2)
	v_mov_b32_e32 v13, v12
	s_xor_b64 s[66:67], s[66:67], s[64:65]
	v_mov_b32_e32 v23, v2
	s_cvt_f32_u32 s0, s66
	s_cvt_f32_u32 s2, s67
	s_sub_nc_u64 s[70:71], 0, s[66:67]
	v_add_nc_u64_e32 v[8:9], v[8:9], v[12:13]
	s_delay_alu instid0(SALU_CYCLE_1) | instskip(NEXT) | instid1(SALU_CYCLE_3)
	s_fmamk_f32 s0, s2, 0x4f800000, s0
	v_s_rcp_f32 s0, s0
	s_delay_alu instid0(VALU_DEP_1) | instskip(NEXT) | instid1(VALU_DEP_2)
	v_xor_b32_e32 v14, v8, v12
	v_xor_b32_e32 v18, v9, v12
	s_delay_alu instid0(TRANS32_DEP_1) | instskip(NEXT) | instid1(SALU_CYCLE_3)
	s_mul_f32 s0, s0, 0x5f7ffffc
	s_mul_f32 s2, s0, 0x2f800000
	s_delay_alu instid0(SALU_CYCLE_3) | instskip(NEXT) | instid1(SALU_CYCLE_3)
	s_trunc_f32 s2, s2
	s_fmamk_f32 s0, s2, 0xcf800000, s0
	s_cvt_u32_f32 s69, s2
	s_delay_alu instid0(SALU_CYCLE_2) | instskip(NEXT) | instid1(SALU_CYCLE_3)
	s_cvt_u32_f32 s68, s0
	s_mul_u64 s[72:73], s[70:71], s[68:69]
	s_delay_alu instid0(SALU_CYCLE_1)
	s_mul_hi_u32 s75, s68, s73
	s_mul_i32 s74, s68, s73
	s_mul_hi_u32 s2, s68, s72
	s_mul_i32 s63, s69, s72
	s_add_nc_u64 s[74:75], s[2:3], s[74:75]
	s_mul_hi_u32 s0, s69, s72
	s_mul_hi_u32 s65, s69, s73
	s_add_co_u32 s2, s74, s63
	s_add_co_ci_u32 s2, s75, s0
	s_mul_i32 s72, s69, s73
	s_add_co_ci_u32 s73, s65, 0
	s_delay_alu instid0(SALU_CYCLE_1) | instskip(NEXT) | instid1(SALU_CYCLE_1)
	s_add_nc_u64 s[72:73], s[2:3], s[72:73]
	s_add_co_u32 s68, s68, s72
	s_cselect_b32 s0, -1, 0
	s_delay_alu instid0(SALU_CYCLE_1) | instskip(SKIP_1) | instid1(SALU_CYCLE_1)
	s_cmp_lg_u32 s0, 0
	s_add_co_ci_u32 s69, s69, s73
	s_mul_u64 s[70:71], s[70:71], s[68:69]
	s_delay_alu instid0(SALU_CYCLE_1)
	s_mul_hi_u32 s73, s68, s71
	s_mul_i32 s72, s68, s71
	s_mul_hi_u32 s2, s68, s70
	s_mul_i32 s63, s69, s70
	s_add_nc_u64 s[72:73], s[2:3], s[72:73]
	s_mul_hi_u32 s0, s69, s70
	s_mul_hi_u32 s65, s69, s71
	s_add_co_u32 s2, s72, s63
	s_add_co_ci_u32 s2, s73, s0
	s_mul_i32 s70, s69, s71
	s_add_co_ci_u32 s71, s65, 0
	s_delay_alu instid0(SALU_CYCLE_1) | instskip(NEXT) | instid1(SALU_CYCLE_1)
	s_add_nc_u64 s[70:71], s[2:3], s[70:71]
	s_add_co_u32 s0, s68, s70
	s_cselect_b32 s2, -1, 0
	v_mul_hi_u32 v22, v14, s0
	s_cmp_lg_u32 s2, 0
	s_add_co_ci_u32 s2, s69, s71
	s_and_b64 s[68:69], s[0:1], s[56:57]
	v_mul_u64_e32 v[16:17], s[2:3], v[14:15]
	v_mul_u64_e32 v[8:9], s[68:69], v[18:19]
	v_mul_u64_e32 v[20:21], s[2:3], v[18:19]
	s_delay_alu instid0(VALU_DEP_3) | instskip(NEXT) | instid1(VALU_DEP_1)
	v_add_nc_u64_e32 v[16:17], v[22:23], v[16:17]
	v_add_co_u32 v3, vcc_lo, v16, v8
	s_delay_alu instid0(VALU_DEP_2) | instskip(NEXT) | instid1(VALU_DEP_4)
	v_add_co_ci_u32_e32 v22, vcc_lo, v17, v9, vcc_lo
	v_add_co_ci_u32_e32 v21, vcc_lo, 0, v21, vcc_lo
	s_delay_alu instid0(VALU_DEP_1) | instskip(NEXT) | instid1(VALU_DEP_1)
	v_add_nc_u64_e32 v[8:9], v[22:23], v[20:21]
	v_mul_u64_e32 v[16:17], s[66:67], v[8:9]
	s_delay_alu instid0(VALU_DEP_1) | instskip(NEXT) | instid1(VALU_DEP_2)
	v_sub_nc_u32_e32 v3, v18, v17
	v_sub_co_u32 v5, vcc_lo, v14, v16
	s_delay_alu instid0(VALU_DEP_1) | instskip(NEXT) | instid1(VALU_DEP_3)
	v_sub_co_ci_u32_e64 v18, null, v18, v17, vcc_lo
	v_subrev_co_ci_u32_e64 v3, null, s67, v3, vcc_lo
	s_delay_alu instid0(VALU_DEP_3) | instskip(SKIP_1) | instid1(VALU_DEP_3)
	v_sub_co_u32 v13, s0, v5, s66
	v_add_nc_u64_e32 v[16:17], 1, v[8:9]
	v_subrev_co_ci_u32_e64 v3, null, 0, v3, s0
	s_delay_alu instid0(VALU_DEP_3) | instskip(SKIP_1) | instid1(VALU_DEP_3)
	v_cmp_le_u32_e32 vcc_lo, s66, v13
	v_cndmask_b32_e64 v13, 0, -1, vcc_lo
	v_cmp_le_u32_e32 vcc_lo, s67, v3
	v_cndmask_b32_e64 v14, 0, -1, vcc_lo
	;; [unrolled: 2-line block ×4, first 2 shown]
	v_cmp_eq_u32_e32 vcc_lo, s67, v3
	v_cndmask_b32_e32 v3, v14, v13, vcc_lo
	v_cmp_eq_u32_e32 vcc_lo, s67, v18
	v_add_nc_u64_e32 v[14:15], 2, v[8:9]
	v_cndmask_b32_e32 v5, v19, v5, vcc_lo
	s_delay_alu instid0(VALU_DEP_4) | instskip(NEXT) | instid1(VALU_DEP_3)
	v_cmp_ne_u32_e32 vcc_lo, 0, v3
	v_cndmask_b32_e32 v3, v17, v15, vcc_lo
	s_delay_alu instid0(VALU_DEP_3) | instskip(SKIP_1) | instid1(VALU_DEP_1)
	v_cmp_ne_u32_e64 s0, 0, v5
	v_dual_cndmask_b32 v5, v16, v14, vcc_lo :: v_dual_bitop2_b32 v12, s64, v12 bitop3:0x14
	v_dual_cndmask_b32 v3, v9, v3, s0 :: v_dual_cndmask_b32 v5, v8, v5, s0
	s_delay_alu instid0(VALU_DEP_1) | instskip(NEXT) | instid1(VALU_DEP_2)
	v_dual_mov_b32 v13, v12 :: v_dual_bitop2_b32 v9, v3, v12 bitop3:0x14
	v_xor_b32_e32 v8, v5, v12
	s_delay_alu instid0(VALU_DEP_1)
	v_sub_nc_u64_e32 v[12:13], v[8:9], v[12:13]
                                        ; implicit-def: $vgpr8_vgpr9
.LBB51_9:                               ;   in Loop: Header=BB51_3 Depth=1
	s_or_saveexec_b32 s0, s33
	v_cvt_f32_u32_e32 v5, s48
	s_xor_b32 exec_lo, exec_lo, s0
	s_cbranch_execz .LBB51_11
; %bb.10:                               ;   in Loop: Header=BB51_3 Depth=1
	s_delay_alu instid0(VALU_DEP_1) | instskip(SKIP_2) | instid1(TRANS32_DEP_1)
	v_rcp_iflag_f32_e32 v3, v5
	s_sub_co_i32 s2, 0, s48
	v_mov_b32_e32 v13, v2
	v_mul_f32_e32 v3, 0x4f7ffffe, v3
	s_delay_alu instid0(VALU_DEP_1) | instskip(NEXT) | instid1(VALU_DEP_1)
	v_cvt_u32_f32_e32 v3, v3
	v_mul_lo_u32 v9, s2, v3
	s_delay_alu instid0(VALU_DEP_1) | instskip(NEXT) | instid1(VALU_DEP_1)
	v_mul_hi_u32 v9, v3, v9
	v_add_nc_u32_e32 v3, v3, v9
	s_delay_alu instid0(VALU_DEP_1) | instskip(NEXT) | instid1(VALU_DEP_1)
	v_mul_hi_u32 v3, v8, v3
	v_mul_lo_u32 v9, v3, s48
	s_delay_alu instid0(VALU_DEP_1) | instskip(NEXT) | instid1(VALU_DEP_1)
	v_dual_sub_nc_u32 v8, v8, v9 :: v_dual_add_nc_u32 v9, 1, v3
	v_subrev_nc_u32_e32 v12, s48, v8
	v_cmp_le_u32_e32 vcc_lo, s48, v8
	s_delay_alu instid0(VALU_DEP_2) | instskip(NEXT) | instid1(VALU_DEP_1)
	v_dual_cndmask_b32 v8, v8, v12 :: v_dual_cndmask_b32 v3, v3, v9
	v_cmp_le_u32_e32 vcc_lo, s48, v8
	s_delay_alu instid0(VALU_DEP_2) | instskip(NEXT) | instid1(VALU_DEP_1)
	v_add_nc_u32_e32 v9, 1, v3
	v_cndmask_b32_e32 v12, v3, v9, vcc_lo
.LBB51_11:                              ;   in Loop: Header=BB51_3 Depth=1
	s_or_b32 exec_lo, exec_lo, s0
	s_delay_alu instid0(VALU_DEP_1) | instskip(SKIP_1) | instid1(VALU_DEP_1)
	v_mul_u64_e32 v[8:9], s[48:49], v[12:13]
                                        ; implicit-def: $vgpr16_vgpr17
	s_mov_b32 s0, exec_lo
	v_sub_nc_u64_e32 v[6:7], v[6:7], v[8:9]
	v_mul_u64_e32 v[8:9], s[24:25], v[12:13]
	v_lshlrev_b64_e32 v[12:13], 2, v[10:11]
	s_delay_alu instid0(VALU_DEP_3) | instskip(NEXT) | instid1(VALU_DEP_1)
	v_add_nc_u64_e32 v[6:7], v[0:1], v[6:7]
	v_mul_u64_e32 v[6:7], s[26:27], v[6:7]
	s_delay_alu instid0(VALU_DEP_4) | instskip(NEXT) | instid1(VALU_DEP_1)
	v_lshl_add_u64 v[8:9], v[8:9], 3, s[46:47]
	v_lshl_add_u64 v[6:7], v[6:7], 3, v[8:9]
	v_mad_nc_u64_u32 v[8:9], s4, v12, s[4:5]
	global_load_b64 v[6:7], v[6:7], off
	v_mad_u32 v3, s5, v12, v9
	v_alignbit_b32 v9, v11, v10, 30
	s_delay_alu instid0(VALU_DEP_1) | instskip(NEXT) | instid1(VALU_DEP_1)
	v_mad_u32 v9, s4, v9, v3
	v_add_nc_u64_e32 v[14:15], v[0:1], v[8:9]
	s_delay_alu instid0(VALU_DEP_1) | instskip(SKIP_1) | instid1(VALU_DEP_1)
	v_or_b32_e32 v3, s49, v15
	s_wait_xcnt 0x0
	v_cmpx_ne_u64_e32 0, v[2:3]
	s_xor_b32 s33, exec_lo, s0
	s_cbranch_execz .LBB51_13
; %bb.12:                               ;   in Loop: Header=BB51_3 Depth=1
	s_ashr_i32 s64, s49, 31
	v_dual_mov_b32 v19, v2 :: v_dual_ashrrev_i32 v16, 31, v15
	s_mov_b32 s65, s64
	v_mov_b32_e32 v27, v2
	s_add_nc_u64 s[66:67], s[48:49], s[64:65]
	s_delay_alu instid0(VALU_DEP_2) | instskip(SKIP_1) | instid1(SALU_CYCLE_1)
	v_mov_b32_e32 v17, v16
	s_xor_b64 s[66:67], s[66:67], s[64:65]
	s_cvt_f32_u32 s0, s66
	s_cvt_f32_u32 s2, s67
	s_sub_nc_u64 s[70:71], 0, s[66:67]
	v_add_nc_u64_e32 v[14:15], v[14:15], v[16:17]
	v_mov_b32_e32 v23, v2
	s_fmamk_f32 s0, s2, 0x4f800000, s0
	s_delay_alu instid0(SALU_CYCLE_3) | instskip(NEXT) | instid1(VALU_DEP_2)
	v_s_rcp_f32 s0, s0
	v_xor_b32_e32 v18, v14, v16
	s_delay_alu instid0(VALU_DEP_3) | instskip(NEXT) | instid1(TRANS32_DEP_1)
	v_xor_b32_e32 v22, v15, v16
	s_mul_f32 s0, s0, 0x5f7ffffc
	s_delay_alu instid0(SALU_CYCLE_3) | instskip(NEXT) | instid1(SALU_CYCLE_3)
	s_mul_f32 s2, s0, 0x2f800000
	s_trunc_f32 s2, s2
	s_delay_alu instid0(SALU_CYCLE_3) | instskip(SKIP_1) | instid1(SALU_CYCLE_2)
	s_fmamk_f32 s0, s2, 0xcf800000, s0
	s_cvt_u32_f32 s69, s2
	s_cvt_u32_f32 s68, s0
	s_delay_alu instid0(SALU_CYCLE_3) | instskip(NEXT) | instid1(SALU_CYCLE_1)
	s_mul_u64 s[72:73], s[70:71], s[68:69]
	s_mul_hi_u32 s75, s68, s73
	s_mul_i32 s74, s68, s73
	s_mul_hi_u32 s2, s68, s72
	s_mul_i32 s63, s69, s72
	s_add_nc_u64 s[74:75], s[2:3], s[74:75]
	s_mul_hi_u32 s0, s69, s72
	s_mul_hi_u32 s65, s69, s73
	s_add_co_u32 s2, s74, s63
	s_add_co_ci_u32 s2, s75, s0
	s_mul_i32 s72, s69, s73
	s_add_co_ci_u32 s73, s65, 0
	s_delay_alu instid0(SALU_CYCLE_1) | instskip(NEXT) | instid1(SALU_CYCLE_1)
	s_add_nc_u64 s[72:73], s[2:3], s[72:73]
	s_add_co_u32 s68, s68, s72
	s_cselect_b32 s0, -1, 0
	s_delay_alu instid0(SALU_CYCLE_1) | instskip(SKIP_1) | instid1(SALU_CYCLE_1)
	s_cmp_lg_u32 s0, 0
	s_add_co_ci_u32 s69, s69, s73
	s_mul_u64 s[70:71], s[70:71], s[68:69]
	s_delay_alu instid0(SALU_CYCLE_1)
	s_mul_hi_u32 s73, s68, s71
	s_mul_i32 s72, s68, s71
	s_mul_hi_u32 s2, s68, s70
	s_mul_i32 s63, s69, s70
	s_add_nc_u64 s[72:73], s[2:3], s[72:73]
	s_mul_hi_u32 s0, s69, s70
	s_mul_hi_u32 s65, s69, s71
	s_add_co_u32 s2, s72, s63
	s_add_co_ci_u32 s2, s73, s0
	s_mul_i32 s70, s69, s71
	s_add_co_ci_u32 s71, s65, 0
	s_delay_alu instid0(SALU_CYCLE_1) | instskip(NEXT) | instid1(SALU_CYCLE_1)
	s_add_nc_u64 s[70:71], s[2:3], s[70:71]
	s_add_co_u32 s0, s68, s70
	s_cselect_b32 s2, -1, 0
	v_mul_hi_u32 v26, v18, s0
	s_cmp_lg_u32 s2, 0
	s_add_co_ci_u32 s2, s69, s71
	s_and_b64 s[68:69], s[0:1], s[56:57]
	v_mul_u64_e32 v[20:21], s[2:3], v[18:19]
	v_mul_u64_e32 v[14:15], s[68:69], v[22:23]
	;; [unrolled: 1-line block ×3, first 2 shown]
	s_delay_alu instid0(VALU_DEP_3) | instskip(NEXT) | instid1(VALU_DEP_1)
	v_add_nc_u64_e32 v[20:21], v[26:27], v[20:21]
	v_add_co_u32 v3, vcc_lo, v20, v14
	s_delay_alu instid0(VALU_DEP_2) | instskip(NEXT) | instid1(VALU_DEP_4)
	v_add_co_ci_u32_e32 v26, vcc_lo, v21, v15, vcc_lo
	v_add_co_ci_u32_e32 v25, vcc_lo, 0, v25, vcc_lo
	s_delay_alu instid0(VALU_DEP_1) | instskip(NEXT) | instid1(VALU_DEP_1)
	v_add_nc_u64_e32 v[14:15], v[26:27], v[24:25]
	v_mul_u64_e32 v[20:21], s[66:67], v[14:15]
	s_delay_alu instid0(VALU_DEP_1) | instskip(NEXT) | instid1(VALU_DEP_2)
	v_sub_nc_u32_e32 v3, v22, v21
	v_sub_co_u32 v17, vcc_lo, v18, v20
	s_delay_alu instid0(VALU_DEP_1) | instskip(NEXT) | instid1(VALU_DEP_3)
	v_sub_co_ci_u32_e64 v22, null, v22, v21, vcc_lo
	v_subrev_co_ci_u32_e64 v3, null, s67, v3, vcc_lo
	s_delay_alu instid0(VALU_DEP_3) | instskip(SKIP_1) | instid1(VALU_DEP_3)
	v_sub_co_u32 v18, s0, v17, s66
	v_add_nc_u64_e32 v[20:21], 1, v[14:15]
	v_subrev_co_ci_u32_e64 v3, null, 0, v3, s0
	s_delay_alu instid0(VALU_DEP_3) | instskip(SKIP_1) | instid1(VALU_DEP_3)
	v_cmp_le_u32_e32 vcc_lo, s66, v18
	v_cndmask_b32_e64 v18, 0, -1, vcc_lo
	v_cmp_le_u32_e32 vcc_lo, s67, v3
	v_cndmask_b32_e64 v19, 0, -1, vcc_lo
	;; [unrolled: 2-line block ×4, first 2 shown]
	v_cmp_eq_u32_e32 vcc_lo, s67, v3
	v_cndmask_b32_e32 v3, v19, v18, vcc_lo
	v_cmp_eq_u32_e32 vcc_lo, s67, v22
	v_add_nc_u64_e32 v[18:19], 2, v[14:15]
	v_cndmask_b32_e32 v17, v23, v17, vcc_lo
	s_delay_alu instid0(VALU_DEP_4) | instskip(NEXT) | instid1(VALU_DEP_3)
	v_cmp_ne_u32_e32 vcc_lo, 0, v3
	v_cndmask_b32_e32 v3, v21, v19, vcc_lo
	s_delay_alu instid0(VALU_DEP_3) | instskip(SKIP_1) | instid1(VALU_DEP_1)
	v_cmp_ne_u32_e64 s0, 0, v17
	v_dual_cndmask_b32 v17, v20, v18, vcc_lo :: v_dual_bitop2_b32 v16, s64, v16 bitop3:0x14
	v_dual_cndmask_b32 v3, v15, v3, s0 :: v_dual_cndmask_b32 v14, v14, v17, s0
	s_delay_alu instid0(VALU_DEP_1) | instskip(NEXT) | instid1(VALU_DEP_2)
	v_dual_mov_b32 v17, v16 :: v_dual_bitop2_b32 v15, v3, v16 bitop3:0x14
	v_xor_b32_e32 v14, v14, v16
	s_delay_alu instid0(VALU_DEP_1)
	v_sub_nc_u64_e32 v[16:17], v[14:15], v[16:17]
                                        ; implicit-def: $vgpr14_vgpr15
.LBB51_13:                              ;   in Loop: Header=BB51_3 Depth=1
	s_and_not1_saveexec_b32 s0, s33
	s_cbranch_execz .LBB51_15
; %bb.14:                               ;   in Loop: Header=BB51_3 Depth=1
	v_rcp_iflag_f32_e32 v3, v5
	s_sub_co_i32 s2, 0, s48
	v_mov_b32_e32 v17, v2
	s_delay_alu instid0(TRANS32_DEP_1) | instskip(NEXT) | instid1(VALU_DEP_1)
	v_mul_f32_e32 v3, 0x4f7ffffe, v3
	v_cvt_u32_f32_e32 v3, v3
	s_delay_alu instid0(VALU_DEP_1) | instskip(NEXT) | instid1(VALU_DEP_1)
	v_mul_lo_u32 v15, s2, v3
	v_mul_hi_u32 v15, v3, v15
	s_delay_alu instid0(VALU_DEP_1) | instskip(NEXT) | instid1(VALU_DEP_1)
	v_add_nc_u32_e32 v3, v3, v15
	v_mul_hi_u32 v3, v14, v3
	s_delay_alu instid0(VALU_DEP_1) | instskip(NEXT) | instid1(VALU_DEP_1)
	v_mul_lo_u32 v15, v3, s48
	v_sub_nc_u32_e32 v14, v14, v15
	v_add_nc_u32_e32 v15, 1, v3
	s_delay_alu instid0(VALU_DEP_2) | instskip(SKIP_1) | instid1(VALU_DEP_2)
	v_subrev_nc_u32_e32 v16, s48, v14
	v_cmp_le_u32_e32 vcc_lo, s48, v14
	v_dual_cndmask_b32 v14, v14, v16 :: v_dual_cndmask_b32 v3, v3, v15
	s_delay_alu instid0(VALU_DEP_1) | instskip(NEXT) | instid1(VALU_DEP_2)
	v_cmp_le_u32_e32 vcc_lo, s48, v14
	v_add_nc_u32_e32 v15, 1, v3
	s_delay_alu instid0(VALU_DEP_1)
	v_cndmask_b32_e32 v16, v3, v15, vcc_lo
.LBB51_15:                              ;   in Loop: Header=BB51_3 Depth=1
	s_or_b32 exec_lo, exec_lo, s0
	s_delay_alu instid0(VALU_DEP_1) | instskip(SKIP_1) | instid1(VALU_DEP_1)
	v_mul_u64_e32 v[14:15], s[48:49], v[16:17]
                                        ; implicit-def: $vgpr18_vgpr19
	s_mov_b32 s0, exec_lo
	v_sub_nc_u64_e32 v[8:9], v[8:9], v[14:15]
	v_mul_u64_e32 v[14:15], s[24:25], v[16:17]
	s_delay_alu instid0(VALU_DEP_2) | instskip(NEXT) | instid1(VALU_DEP_1)
	v_add_nc_u64_e32 v[8:9], v[0:1], v[8:9]
	v_mul_u64_e32 v[8:9], s[26:27], v[8:9]
	s_delay_alu instid0(VALU_DEP_3) | instskip(NEXT) | instid1(VALU_DEP_1)
	v_lshl_add_u64 v[14:15], v[14:15], 3, s[46:47]
	v_lshl_add_u64 v[8:9], v[8:9], 3, v[14:15]
	v_add_nc_u64_e32 v[14:15], 2, v[12:13]
	global_load_b64 v[8:9], v[8:9], off
	v_mul_u64_e32 v[14:15], s[4:5], v[14:15]
	s_delay_alu instid0(VALU_DEP_1) | instskip(NEXT) | instid1(VALU_DEP_1)
	v_add_nc_u64_e32 v[16:17], v[0:1], v[14:15]
	v_or_b32_e32 v3, s49, v17
	s_wait_xcnt 0x0
	s_delay_alu instid0(VALU_DEP_1)
	v_cmpx_ne_u64_e32 0, v[2:3]
	s_xor_b32 s33, exec_lo, s0
	s_cbranch_execz .LBB51_17
; %bb.16:                               ;   in Loop: Header=BB51_3 Depth=1
	s_ashr_i32 s64, s49, 31
	v_dual_mov_b32 v21, v2 :: v_dual_ashrrev_i32 v18, 31, v17
	s_mov_b32 s65, s64
	s_delay_alu instid0(SALU_CYCLE_1) | instskip(NEXT) | instid1(VALU_DEP_1)
	s_add_nc_u64 s[66:67], s[48:49], s[64:65]
	v_mov_b32_e32 v19, v18
	s_xor_b64 s[66:67], s[66:67], s[64:65]
	s_delay_alu instid0(SALU_CYCLE_1)
	s_cvt_f32_u32 s0, s66
	s_cvt_f32_u32 s2, s67
	s_sub_nc_u64 s[70:71], 0, s[66:67]
	v_add_nc_u64_e32 v[16:17], v[16:17], v[18:19]
	v_mov_b32_e32 v25, v2
	s_fmamk_f32 s0, s2, 0x4f800000, s0
	s_delay_alu instid0(SALU_CYCLE_3) | instskip(NEXT) | instid1(VALU_DEP_2)
	v_s_rcp_f32 s0, s0
	v_xor_b32_e32 v20, v16, v18
	s_delay_alu instid0(VALU_DEP_3) | instskip(NEXT) | instid1(TRANS32_DEP_1)
	v_dual_mov_b32 v29, v2 :: v_dual_bitop2_b32 v24, v17, v18 bitop3:0x14
	s_mul_f32 s0, s0, 0x5f7ffffc
	s_delay_alu instid0(SALU_CYCLE_3) | instskip(NEXT) | instid1(SALU_CYCLE_3)
	s_mul_f32 s2, s0, 0x2f800000
	s_trunc_f32 s2, s2
	s_delay_alu instid0(SALU_CYCLE_3) | instskip(SKIP_1) | instid1(SALU_CYCLE_2)
	s_fmamk_f32 s0, s2, 0xcf800000, s0
	s_cvt_u32_f32 s69, s2
	s_cvt_u32_f32 s68, s0
	s_delay_alu instid0(SALU_CYCLE_3) | instskip(NEXT) | instid1(SALU_CYCLE_1)
	s_mul_u64 s[72:73], s[70:71], s[68:69]
	s_mul_hi_u32 s75, s68, s73
	s_mul_i32 s74, s68, s73
	s_mul_hi_u32 s2, s68, s72
	s_mul_i32 s63, s69, s72
	s_add_nc_u64 s[74:75], s[2:3], s[74:75]
	s_mul_hi_u32 s0, s69, s72
	s_mul_hi_u32 s65, s69, s73
	s_add_co_u32 s2, s74, s63
	s_add_co_ci_u32 s2, s75, s0
	s_mul_i32 s72, s69, s73
	s_add_co_ci_u32 s73, s65, 0
	s_delay_alu instid0(SALU_CYCLE_1) | instskip(NEXT) | instid1(SALU_CYCLE_1)
	s_add_nc_u64 s[72:73], s[2:3], s[72:73]
	s_add_co_u32 s68, s68, s72
	s_cselect_b32 s0, -1, 0
	s_delay_alu instid0(SALU_CYCLE_1) | instskip(SKIP_1) | instid1(SALU_CYCLE_1)
	s_cmp_lg_u32 s0, 0
	s_add_co_ci_u32 s69, s69, s73
	s_mul_u64 s[70:71], s[70:71], s[68:69]
	s_delay_alu instid0(SALU_CYCLE_1)
	s_mul_hi_u32 s73, s68, s71
	s_mul_i32 s72, s68, s71
	s_mul_hi_u32 s2, s68, s70
	s_mul_i32 s63, s69, s70
	s_add_nc_u64 s[72:73], s[2:3], s[72:73]
	s_mul_hi_u32 s0, s69, s70
	s_mul_hi_u32 s65, s69, s71
	s_add_co_u32 s2, s72, s63
	s_add_co_ci_u32 s2, s73, s0
	s_mul_i32 s70, s69, s71
	s_add_co_ci_u32 s71, s65, 0
	s_delay_alu instid0(SALU_CYCLE_1) | instskip(NEXT) | instid1(SALU_CYCLE_1)
	s_add_nc_u64 s[70:71], s[2:3], s[70:71]
	s_add_co_u32 s0, s68, s70
	s_cselect_b32 s2, -1, 0
	v_mul_hi_u32 v28, v20, s0
	s_cmp_lg_u32 s2, 0
	s_add_co_ci_u32 s2, s69, s71
	s_and_b64 s[68:69], s[0:1], s[56:57]
	v_mul_u64_e32 v[22:23], s[2:3], v[20:21]
	v_mul_u64_e32 v[16:17], s[68:69], v[24:25]
	;; [unrolled: 1-line block ×3, first 2 shown]
	s_delay_alu instid0(VALU_DEP_3) | instskip(NEXT) | instid1(VALU_DEP_1)
	v_add_nc_u64_e32 v[22:23], v[28:29], v[22:23]
	v_add_co_u32 v3, vcc_lo, v22, v16
	s_delay_alu instid0(VALU_DEP_2) | instskip(NEXT) | instid1(VALU_DEP_4)
	v_add_co_ci_u32_e32 v28, vcc_lo, v23, v17, vcc_lo
	v_add_co_ci_u32_e32 v27, vcc_lo, 0, v27, vcc_lo
	s_delay_alu instid0(VALU_DEP_1) | instskip(NEXT) | instid1(VALU_DEP_1)
	v_add_nc_u64_e32 v[16:17], v[28:29], v[26:27]
	v_mul_u64_e32 v[22:23], s[66:67], v[16:17]
	s_delay_alu instid0(VALU_DEP_1) | instskip(NEXT) | instid1(VALU_DEP_2)
	v_sub_nc_u32_e32 v3, v24, v23
	v_sub_co_u32 v19, vcc_lo, v20, v22
	s_delay_alu instid0(VALU_DEP_1) | instskip(NEXT) | instid1(VALU_DEP_3)
	v_sub_co_ci_u32_e64 v24, null, v24, v23, vcc_lo
	v_subrev_co_ci_u32_e64 v3, null, s67, v3, vcc_lo
	s_delay_alu instid0(VALU_DEP_3) | instskip(SKIP_1) | instid1(VALU_DEP_3)
	v_sub_co_u32 v20, s0, v19, s66
	v_add_nc_u64_e32 v[22:23], 1, v[16:17]
	v_subrev_co_ci_u32_e64 v3, null, 0, v3, s0
	s_delay_alu instid0(VALU_DEP_3) | instskip(SKIP_1) | instid1(VALU_DEP_3)
	v_cmp_le_u32_e32 vcc_lo, s66, v20
	v_cndmask_b32_e64 v20, 0, -1, vcc_lo
	v_cmp_le_u32_e32 vcc_lo, s67, v3
	v_cndmask_b32_e64 v21, 0, -1, vcc_lo
	;; [unrolled: 2-line block ×4, first 2 shown]
	v_cmp_eq_u32_e32 vcc_lo, s67, v3
	v_cndmask_b32_e32 v3, v21, v20, vcc_lo
	v_cmp_eq_u32_e32 vcc_lo, s67, v24
	v_add_nc_u64_e32 v[20:21], 2, v[16:17]
	v_cndmask_b32_e32 v19, v25, v19, vcc_lo
	s_delay_alu instid0(VALU_DEP_4) | instskip(NEXT) | instid1(VALU_DEP_3)
	v_cmp_ne_u32_e32 vcc_lo, 0, v3
	v_cndmask_b32_e32 v3, v23, v21, vcc_lo
	s_delay_alu instid0(VALU_DEP_3) | instskip(SKIP_1) | instid1(VALU_DEP_2)
	v_cmp_ne_u32_e64 s0, 0, v19
	v_dual_cndmask_b32 v19, v22, v20, vcc_lo :: v_dual_bitop2_b32 v18, s64, v18 bitop3:0x14
	v_cndmask_b32_e64 v3, v17, v3, s0
	s_delay_alu instid0(VALU_DEP_2) | instskip(NEXT) | instid1(VALU_DEP_2)
	v_dual_cndmask_b32 v16, v16, v19, s0 :: v_dual_mov_b32 v19, v18
	v_xor_b32_e32 v17, v3, v18
	s_delay_alu instid0(VALU_DEP_2) | instskip(NEXT) | instid1(VALU_DEP_1)
	v_xor_b32_e32 v16, v16, v18
	v_sub_nc_u64_e32 v[18:19], v[16:17], v[18:19]
                                        ; implicit-def: $vgpr16_vgpr17
.LBB51_17:                              ;   in Loop: Header=BB51_3 Depth=1
	s_and_not1_saveexec_b32 s0, s33
	s_cbranch_execz .LBB51_19
; %bb.18:                               ;   in Loop: Header=BB51_3 Depth=1
	v_rcp_iflag_f32_e32 v3, v5
	s_sub_co_i32 s2, 0, s48
	v_mov_b32_e32 v19, v2
	s_delay_alu instid0(TRANS32_DEP_1) | instskip(NEXT) | instid1(VALU_DEP_1)
	v_mul_f32_e32 v3, 0x4f7ffffe, v3
	v_cvt_u32_f32_e32 v3, v3
	s_delay_alu instid0(VALU_DEP_1) | instskip(NEXT) | instid1(VALU_DEP_1)
	v_mul_lo_u32 v17, s2, v3
	v_mul_hi_u32 v17, v3, v17
	s_delay_alu instid0(VALU_DEP_1) | instskip(NEXT) | instid1(VALU_DEP_1)
	v_add_nc_u32_e32 v3, v3, v17
	v_mul_hi_u32 v3, v16, v3
	s_delay_alu instid0(VALU_DEP_1) | instskip(NEXT) | instid1(VALU_DEP_1)
	v_mul_lo_u32 v17, v3, s48
	v_dual_sub_nc_u32 v16, v16, v17 :: v_dual_add_nc_u32 v17, 1, v3
	s_delay_alu instid0(VALU_DEP_1) | instskip(SKIP_1) | instid1(VALU_DEP_2)
	v_subrev_nc_u32_e32 v18, s48, v16
	v_cmp_le_u32_e32 vcc_lo, s48, v16
	v_dual_cndmask_b32 v16, v16, v18 :: v_dual_cndmask_b32 v3, v3, v17
	s_delay_alu instid0(VALU_DEP_1) | instskip(NEXT) | instid1(VALU_DEP_2)
	v_cmp_le_u32_e32 vcc_lo, s48, v16
	v_add_nc_u32_e32 v17, 1, v3
	s_delay_alu instid0(VALU_DEP_1)
	v_cndmask_b32_e32 v18, v3, v17, vcc_lo
.LBB51_19:                              ;   in Loop: Header=BB51_3 Depth=1
	s_or_b32 exec_lo, exec_lo, s0
	s_delay_alu instid0(VALU_DEP_1) | instskip(SKIP_1) | instid1(VALU_DEP_1)
	v_mul_u64_e32 v[16:17], s[48:49], v[18:19]
                                        ; implicit-def: $vgpr20_vgpr21
	s_mov_b32 s0, exec_lo
	v_sub_nc_u64_e32 v[14:15], v[14:15], v[16:17]
	v_mul_u64_e32 v[16:17], s[24:25], v[18:19]
	s_delay_alu instid0(VALU_DEP_2) | instskip(NEXT) | instid1(VALU_DEP_1)
	v_add_nc_u64_e32 v[14:15], v[0:1], v[14:15]
	v_mul_u64_e32 v[14:15], s[26:27], v[14:15]
	s_delay_alu instid0(VALU_DEP_3) | instskip(NEXT) | instid1(VALU_DEP_1)
	v_lshl_add_u64 v[16:17], v[16:17], 3, s[46:47]
	v_lshl_add_u64 v[14:15], v[14:15], 3, v[16:17]
	global_load_b64 v[16:17], v[14:15], off
	s_wait_xcnt 0x0
	v_add_nc_u64_e32 v[14:15], 3, v[12:13]
	s_delay_alu instid0(VALU_DEP_1) | instskip(NEXT) | instid1(VALU_DEP_1)
	v_mul_u64_e32 v[14:15], s[4:5], v[14:15]
	v_add_nc_u64_e32 v[18:19], v[0:1], v[14:15]
	s_delay_alu instid0(VALU_DEP_1) | instskip(NEXT) | instid1(VALU_DEP_1)
	v_or_b32_e32 v3, s49, v19
	v_cmpx_ne_u64_e32 0, v[2:3]
	s_xor_b32 s33, exec_lo, s0
	s_cbranch_execz .LBB51_21
; %bb.20:                               ;   in Loop: Header=BB51_3 Depth=1
	s_ashr_i32 s64, s49, 31
	v_dual_mov_b32 v23, v2 :: v_dual_ashrrev_i32 v20, 31, v19
	s_mov_b32 s65, s64
	v_mov_b32_e32 v31, v2
	s_add_nc_u64 s[66:67], s[48:49], s[64:65]
	s_delay_alu instid0(VALU_DEP_2) | instskip(SKIP_1) | instid1(SALU_CYCLE_1)
	v_mov_b32_e32 v21, v20
	s_xor_b64 s[66:67], s[66:67], s[64:65]
	s_cvt_f32_u32 s0, s66
	s_cvt_f32_u32 s2, s67
	s_sub_nc_u64 s[70:71], 0, s[66:67]
	v_add_nc_u64_e32 v[18:19], v[18:19], v[20:21]
	v_mov_b32_e32 v27, v2
	s_fmamk_f32 s0, s2, 0x4f800000, s0
	s_delay_alu instid0(SALU_CYCLE_3) | instskip(NEXT) | instid1(VALU_DEP_2)
	v_s_rcp_f32 s0, s0
	v_xor_b32_e32 v22, v18, v20
	s_delay_alu instid0(VALU_DEP_3) | instskip(NEXT) | instid1(TRANS32_DEP_1)
	v_xor_b32_e32 v26, v19, v20
	s_mul_f32 s0, s0, 0x5f7ffffc
	s_delay_alu instid0(SALU_CYCLE_3) | instskip(NEXT) | instid1(SALU_CYCLE_3)
	s_mul_f32 s2, s0, 0x2f800000
	s_trunc_f32 s2, s2
	s_delay_alu instid0(SALU_CYCLE_3) | instskip(SKIP_1) | instid1(SALU_CYCLE_2)
	s_fmamk_f32 s0, s2, 0xcf800000, s0
	s_cvt_u32_f32 s69, s2
	s_cvt_u32_f32 s68, s0
	s_delay_alu instid0(SALU_CYCLE_3) | instskip(NEXT) | instid1(SALU_CYCLE_1)
	s_mul_u64 s[72:73], s[70:71], s[68:69]
	s_mul_hi_u32 s75, s68, s73
	s_mul_i32 s74, s68, s73
	s_mul_hi_u32 s2, s68, s72
	s_mul_i32 s63, s69, s72
	s_add_nc_u64 s[74:75], s[2:3], s[74:75]
	s_mul_hi_u32 s0, s69, s72
	s_mul_hi_u32 s65, s69, s73
	s_add_co_u32 s2, s74, s63
	s_add_co_ci_u32 s2, s75, s0
	s_mul_i32 s72, s69, s73
	s_add_co_ci_u32 s73, s65, 0
	s_delay_alu instid0(SALU_CYCLE_1) | instskip(NEXT) | instid1(SALU_CYCLE_1)
	s_add_nc_u64 s[72:73], s[2:3], s[72:73]
	s_add_co_u32 s68, s68, s72
	s_cselect_b32 s0, -1, 0
	s_delay_alu instid0(SALU_CYCLE_1) | instskip(SKIP_1) | instid1(SALU_CYCLE_1)
	s_cmp_lg_u32 s0, 0
	s_add_co_ci_u32 s69, s69, s73
	s_mul_u64 s[70:71], s[70:71], s[68:69]
	s_delay_alu instid0(SALU_CYCLE_1)
	s_mul_hi_u32 s73, s68, s71
	s_mul_i32 s72, s68, s71
	s_mul_hi_u32 s2, s68, s70
	s_mul_i32 s63, s69, s70
	s_add_nc_u64 s[72:73], s[2:3], s[72:73]
	s_mul_hi_u32 s0, s69, s70
	s_mul_hi_u32 s65, s69, s71
	s_add_co_u32 s2, s72, s63
	s_add_co_ci_u32 s2, s73, s0
	s_mul_i32 s70, s69, s71
	s_add_co_ci_u32 s71, s65, 0
	s_delay_alu instid0(SALU_CYCLE_1) | instskip(NEXT) | instid1(SALU_CYCLE_1)
	s_add_nc_u64 s[70:71], s[2:3], s[70:71]
	s_add_co_u32 s0, s68, s70
	s_cselect_b32 s2, -1, 0
	v_mul_hi_u32 v30, v22, s0
	s_cmp_lg_u32 s2, 0
	s_add_co_ci_u32 s2, s69, s71
	s_and_b64 s[68:69], s[0:1], s[56:57]
	v_mul_u64_e32 v[24:25], s[2:3], v[22:23]
	v_mul_u64_e32 v[18:19], s[68:69], v[26:27]
	;; [unrolled: 1-line block ×3, first 2 shown]
	s_delay_alu instid0(VALU_DEP_3) | instskip(NEXT) | instid1(VALU_DEP_1)
	v_add_nc_u64_e32 v[24:25], v[30:31], v[24:25]
	v_add_co_u32 v3, vcc_lo, v24, v18
	s_delay_alu instid0(VALU_DEP_2) | instskip(NEXT) | instid1(VALU_DEP_4)
	v_add_co_ci_u32_e32 v30, vcc_lo, v25, v19, vcc_lo
	v_add_co_ci_u32_e32 v29, vcc_lo, 0, v29, vcc_lo
	s_delay_alu instid0(VALU_DEP_1) | instskip(NEXT) | instid1(VALU_DEP_1)
	v_add_nc_u64_e32 v[18:19], v[30:31], v[28:29]
	v_mul_u64_e32 v[24:25], s[66:67], v[18:19]
	s_delay_alu instid0(VALU_DEP_1) | instskip(NEXT) | instid1(VALU_DEP_2)
	v_sub_nc_u32_e32 v3, v26, v25
	v_sub_co_u32 v21, vcc_lo, v22, v24
	s_delay_alu instid0(VALU_DEP_1) | instskip(NEXT) | instid1(VALU_DEP_3)
	v_sub_co_ci_u32_e64 v26, null, v26, v25, vcc_lo
	v_subrev_co_ci_u32_e64 v3, null, s67, v3, vcc_lo
	s_delay_alu instid0(VALU_DEP_3) | instskip(SKIP_1) | instid1(VALU_DEP_3)
	v_sub_co_u32 v22, s0, v21, s66
	v_add_nc_u64_e32 v[24:25], 1, v[18:19]
	v_subrev_co_ci_u32_e64 v3, null, 0, v3, s0
	s_delay_alu instid0(VALU_DEP_3) | instskip(SKIP_1) | instid1(VALU_DEP_3)
	v_cmp_le_u32_e32 vcc_lo, s66, v22
	v_cndmask_b32_e64 v22, 0, -1, vcc_lo
	v_cmp_le_u32_e32 vcc_lo, s67, v3
	v_cndmask_b32_e64 v23, 0, -1, vcc_lo
	;; [unrolled: 2-line block ×4, first 2 shown]
	v_cmp_eq_u32_e32 vcc_lo, s67, v3
	v_cndmask_b32_e32 v3, v23, v22, vcc_lo
	v_cmp_eq_u32_e32 vcc_lo, s67, v26
	v_add_nc_u64_e32 v[22:23], 2, v[18:19]
	v_cndmask_b32_e32 v21, v27, v21, vcc_lo
	s_delay_alu instid0(VALU_DEP_4) | instskip(NEXT) | instid1(VALU_DEP_3)
	v_cmp_ne_u32_e32 vcc_lo, 0, v3
	v_cndmask_b32_e32 v3, v25, v23, vcc_lo
	s_delay_alu instid0(VALU_DEP_3) | instskip(SKIP_1) | instid1(VALU_DEP_1)
	v_cmp_ne_u32_e64 s0, 0, v21
	v_dual_cndmask_b32 v21, v24, v22, vcc_lo :: v_dual_bitop2_b32 v20, s64, v20 bitop3:0x14
	v_dual_cndmask_b32 v3, v19, v3, s0 :: v_dual_cndmask_b32 v18, v18, v21, s0
	s_delay_alu instid0(VALU_DEP_1) | instskip(NEXT) | instid1(VALU_DEP_2)
	v_dual_mov_b32 v21, v20 :: v_dual_bitop2_b32 v19, v3, v20 bitop3:0x14
	v_xor_b32_e32 v18, v18, v20
	s_delay_alu instid0(VALU_DEP_1)
	v_sub_nc_u64_e32 v[20:21], v[18:19], v[20:21]
                                        ; implicit-def: $vgpr18_vgpr19
.LBB51_21:                              ;   in Loop: Header=BB51_3 Depth=1
	s_and_not1_saveexec_b32 s0, s33
	s_cbranch_execz .LBB51_23
; %bb.22:                               ;   in Loop: Header=BB51_3 Depth=1
	v_rcp_iflag_f32_e32 v3, v5
	s_sub_co_i32 s2, 0, s48
	v_mov_b32_e32 v21, v2
	s_delay_alu instid0(TRANS32_DEP_1) | instskip(NEXT) | instid1(VALU_DEP_1)
	v_mul_f32_e32 v3, 0x4f7ffffe, v3
	v_cvt_u32_f32_e32 v3, v3
	s_delay_alu instid0(VALU_DEP_1) | instskip(NEXT) | instid1(VALU_DEP_1)
	v_mul_lo_u32 v19, s2, v3
	v_mul_hi_u32 v19, v3, v19
	s_delay_alu instid0(VALU_DEP_1) | instskip(NEXT) | instid1(VALU_DEP_1)
	v_add_nc_u32_e32 v3, v3, v19
	v_mul_hi_u32 v3, v18, v3
	s_delay_alu instid0(VALU_DEP_1) | instskip(NEXT) | instid1(VALU_DEP_1)
	v_mul_lo_u32 v19, v3, s48
	v_sub_nc_u32_e32 v18, v18, v19
	v_add_nc_u32_e32 v19, 1, v3
	s_delay_alu instid0(VALU_DEP_2) | instskip(SKIP_1) | instid1(VALU_DEP_2)
	v_subrev_nc_u32_e32 v20, s48, v18
	v_cmp_le_u32_e32 vcc_lo, s48, v18
	v_dual_cndmask_b32 v18, v18, v20 :: v_dual_cndmask_b32 v3, v3, v19
	s_delay_alu instid0(VALU_DEP_1) | instskip(NEXT) | instid1(VALU_DEP_2)
	v_cmp_le_u32_e32 vcc_lo, s48, v18
	v_add_nc_u32_e32 v19, 1, v3
	s_delay_alu instid0(VALU_DEP_1)
	v_cndmask_b32_e32 v20, v3, v19, vcc_lo
.LBB51_23:                              ;   in Loop: Header=BB51_3 Depth=1
	s_or_b32 exec_lo, exec_lo, s0
	s_delay_alu instid0(VALU_DEP_1) | instskip(SKIP_2) | instid1(VALU_DEP_1)
	v_mul_u64_e32 v[18:19], s[48:49], v[20:21]
	v_add_nc_u64_e32 v[12:13], 4, v[12:13]
	s_mov_b32 s0, exec_lo
	v_mul_u64_e32 v[12:13], s[4:5], v[12:13]
	s_delay_alu instid0(VALU_DEP_3) | instskip(SKIP_1) | instid1(VALU_DEP_2)
	v_sub_nc_u64_e32 v[14:15], v[14:15], v[18:19]
	v_mul_u64_e32 v[18:19], s[24:25], v[20:21]
	v_add_nc_u64_e32 v[14:15], v[0:1], v[14:15]
	s_delay_alu instid0(VALU_DEP_1) | instskip(NEXT) | instid1(VALU_DEP_3)
	v_mul_u64_e32 v[14:15], s[26:27], v[14:15]
	v_lshl_add_u64 v[18:19], v[18:19], 3, s[46:47]
	s_delay_alu instid0(VALU_DEP_1) | instskip(SKIP_3) | instid1(VALU_DEP_1)
	v_lshl_add_u64 v[14:15], v[14:15], 3, v[18:19]
                                        ; implicit-def: $vgpr18_vgpr19
	global_load_b64 v[20:21], v[14:15], off
	s_wait_xcnt 0x0
	v_add_nc_u64_e32 v[14:15], v[0:1], v[12:13]
	v_or_b32_e32 v3, s49, v15
	s_delay_alu instid0(VALU_DEP_1)
	v_cmpx_ne_u64_e32 0, v[2:3]
	s_xor_b32 s33, exec_lo, s0
	s_cbranch_execz .LBB51_25
; %bb.24:                               ;   in Loop: Header=BB51_3 Depth=1
	s_ashr_i32 s64, s49, 31
	v_dual_mov_b32 v23, v2 :: v_dual_ashrrev_i32 v18, 31, v15
	s_mov_b32 s65, s64
	v_mov_b32_e32 v27, v2
	s_add_nc_u64 s[66:67], s[48:49], s[64:65]
	s_delay_alu instid0(VALU_DEP_2)
	v_mov_b32_e32 v19, v18
	s_xor_b64 s[66:67], s[66:67], s[64:65]
	v_mov_b32_e32 v31, v2
	s_cvt_f32_u32 s0, s66
	s_cvt_f32_u32 s2, s67
	s_sub_nc_u64 s[70:71], 0, s[66:67]
	v_add_nc_u64_e32 v[14:15], v[14:15], v[18:19]
	s_delay_alu instid0(SALU_CYCLE_1) | instskip(NEXT) | instid1(SALU_CYCLE_3)
	s_fmamk_f32 s0, s2, 0x4f800000, s0
	v_s_rcp_f32 s0, s0
	s_delay_alu instid0(VALU_DEP_1) | instskip(NEXT) | instid1(VALU_DEP_2)
	v_xor_b32_e32 v22, v14, v18
	v_xor_b32_e32 v26, v15, v18
	;; [unrolled: 1-line block ×3, first 2 shown]
	s_delay_alu instid0(TRANS32_DEP_1) | instskip(NEXT) | instid1(SALU_CYCLE_3)
	s_mul_f32 s0, s0, 0x5f7ffffc
	s_mul_f32 s2, s0, 0x2f800000
	s_delay_alu instid0(SALU_CYCLE_3) | instskip(NEXT) | instid1(SALU_CYCLE_3)
	s_trunc_f32 s2, s2
	s_fmamk_f32 s0, s2, 0xcf800000, s0
	s_cvt_u32_f32 s69, s2
	s_delay_alu instid0(SALU_CYCLE_2) | instskip(NEXT) | instid1(SALU_CYCLE_3)
	s_cvt_u32_f32 s68, s0
	s_mul_u64 s[72:73], s[70:71], s[68:69]
	s_delay_alu instid0(SALU_CYCLE_1)
	s_mul_hi_u32 s75, s68, s73
	s_mul_i32 s74, s68, s73
	s_mul_hi_u32 s2, s68, s72
	s_mul_i32 s63, s69, s72
	s_add_nc_u64 s[74:75], s[2:3], s[74:75]
	s_mul_hi_u32 s0, s69, s72
	s_mul_hi_u32 s65, s69, s73
	s_add_co_u32 s2, s74, s63
	s_add_co_ci_u32 s2, s75, s0
	s_mul_i32 s72, s69, s73
	s_add_co_ci_u32 s73, s65, 0
	s_delay_alu instid0(SALU_CYCLE_1) | instskip(NEXT) | instid1(SALU_CYCLE_1)
	s_add_nc_u64 s[72:73], s[2:3], s[72:73]
	s_add_co_u32 s68, s68, s72
	s_cselect_b32 s0, -1, 0
	s_delay_alu instid0(SALU_CYCLE_1) | instskip(SKIP_1) | instid1(SALU_CYCLE_1)
	s_cmp_lg_u32 s0, 0
	s_add_co_ci_u32 s69, s69, s73
	s_mul_u64 s[70:71], s[70:71], s[68:69]
	s_delay_alu instid0(SALU_CYCLE_1)
	s_mul_hi_u32 s73, s68, s71
	s_mul_i32 s72, s68, s71
	s_mul_hi_u32 s2, s68, s70
	s_mul_i32 s63, s69, s70
	s_add_nc_u64 s[72:73], s[2:3], s[72:73]
	s_mul_hi_u32 s0, s69, s70
	s_mul_hi_u32 s65, s69, s71
	s_add_co_u32 s2, s72, s63
	s_add_co_ci_u32 s2, s73, s0
	s_mul_i32 s70, s69, s71
	s_add_co_ci_u32 s71, s65, 0
	s_delay_alu instid0(SALU_CYCLE_1) | instskip(NEXT) | instid1(SALU_CYCLE_1)
	s_add_nc_u64 s[70:71], s[2:3], s[70:71]
	s_add_co_u32 s0, s68, s70
	s_cselect_b32 s2, -1, 0
	v_mul_hi_u32 v30, v22, s0
	s_cmp_lg_u32 s2, 0
	s_add_co_ci_u32 s2, s69, s71
	s_and_b64 s[68:69], s[0:1], s[56:57]
	v_mul_u64_e32 v[24:25], s[2:3], v[22:23]
	v_mul_u64_e32 v[14:15], s[68:69], v[26:27]
	;; [unrolled: 1-line block ×3, first 2 shown]
	s_delay_alu instid0(VALU_DEP_3) | instskip(NEXT) | instid1(VALU_DEP_1)
	v_add_nc_u64_e32 v[24:25], v[30:31], v[24:25]
	v_add_co_u32 v3, vcc_lo, v24, v14
	s_delay_alu instid0(VALU_DEP_2) | instskip(NEXT) | instid1(VALU_DEP_4)
	v_add_co_ci_u32_e32 v30, vcc_lo, v25, v15, vcc_lo
	v_add_co_ci_u32_e32 v29, vcc_lo, 0, v29, vcc_lo
	s_delay_alu instid0(VALU_DEP_1) | instskip(NEXT) | instid1(VALU_DEP_1)
	v_add_nc_u64_e32 v[14:15], v[30:31], v[28:29]
	v_mul_u64_e32 v[24:25], s[66:67], v[14:15]
	s_delay_alu instid0(VALU_DEP_1) | instskip(NEXT) | instid1(VALU_DEP_2)
	v_sub_nc_u32_e32 v3, v26, v25
	v_sub_co_u32 v5, vcc_lo, v22, v24
	s_delay_alu instid0(VALU_DEP_1) | instskip(NEXT) | instid1(VALU_DEP_3)
	v_sub_co_ci_u32_e64 v26, null, v26, v25, vcc_lo
	v_subrev_co_ci_u32_e64 v3, null, s67, v3, vcc_lo
	s_delay_alu instid0(VALU_DEP_3) | instskip(SKIP_1) | instid1(VALU_DEP_3)
	v_sub_co_u32 v19, s0, v5, s66
	v_add_nc_u64_e32 v[24:25], 1, v[14:15]
	v_subrev_co_ci_u32_e64 v3, null, 0, v3, s0
	s_delay_alu instid0(VALU_DEP_3) | instskip(SKIP_1) | instid1(VALU_DEP_3)
	v_cmp_le_u32_e32 vcc_lo, s66, v19
	v_cndmask_b32_e64 v19, 0, -1, vcc_lo
	v_cmp_le_u32_e32 vcc_lo, s67, v3
	v_cndmask_b32_e64 v22, 0, -1, vcc_lo
	;; [unrolled: 2-line block ×4, first 2 shown]
	v_cmp_eq_u32_e32 vcc_lo, s67, v3
	v_cndmask_b32_e32 v3, v22, v19, vcc_lo
	v_cmp_eq_u32_e32 vcc_lo, s67, v26
	v_add_nc_u64_e32 v[22:23], 2, v[14:15]
	v_dual_mov_b32 v19, v18 :: v_dual_cndmask_b32 v5, v27, v5, vcc_lo
	s_delay_alu instid0(VALU_DEP_4) | instskip(NEXT) | instid1(VALU_DEP_2)
	v_cmp_ne_u32_e32 vcc_lo, 0, v3
	v_cmp_ne_u32_e64 s0, 0, v5
	s_delay_alu instid0(VALU_DEP_4) | instskip(NEXT) | instid1(VALU_DEP_1)
	v_dual_cndmask_b32 v5, v24, v22, vcc_lo :: v_dual_cndmask_b32 v3, v25, v23, vcc_lo
	v_dual_cndmask_b32 v5, v14, v5, s0 :: v_dual_cndmask_b32 v3, v15, v3, s0
	s_delay_alu instid0(VALU_DEP_1) | instskip(NEXT) | instid1(VALU_DEP_2)
	v_xor_b32_e32 v14, v5, v18
	v_xor_b32_e32 v15, v3, v18
                                        ; implicit-def: $vgpr5
	s_delay_alu instid0(VALU_DEP_1)
	v_sub_nc_u64_e32 v[18:19], v[14:15], v[18:19]
                                        ; implicit-def: $vgpr14_vgpr15
.LBB51_25:                              ;   in Loop: Header=BB51_3 Depth=1
	s_and_not1_saveexec_b32 s0, s33
	s_cbranch_execz .LBB51_27
; %bb.26:                               ;   in Loop: Header=BB51_3 Depth=1
	v_rcp_iflag_f32_e32 v3, v5
	s_sub_co_i32 s2, 0, s48
	v_mov_b32_e32 v19, v2
	s_delay_alu instid0(TRANS32_DEP_1) | instskip(NEXT) | instid1(VALU_DEP_1)
	v_mul_f32_e32 v3, 0x4f7ffffe, v3
	v_cvt_u32_f32_e32 v3, v3
	s_delay_alu instid0(VALU_DEP_1) | instskip(NEXT) | instid1(VALU_DEP_1)
	v_mul_lo_u32 v5, s2, v3
	v_mul_hi_u32 v5, v3, v5
	s_delay_alu instid0(VALU_DEP_1) | instskip(NEXT) | instid1(VALU_DEP_1)
	v_add_nc_u32_e32 v3, v3, v5
	v_mul_hi_u32 v3, v14, v3
	s_delay_alu instid0(VALU_DEP_1) | instskip(NEXT) | instid1(VALU_DEP_1)
	v_mul_lo_u32 v5, v3, s48
	v_dual_sub_nc_u32 v5, v14, v5 :: v_dual_add_nc_u32 v14, 1, v3
	s_delay_alu instid0(VALU_DEP_1) | instskip(SKIP_1) | instid1(VALU_DEP_2)
	v_subrev_nc_u32_e32 v15, s48, v5
	v_cmp_le_u32_e32 vcc_lo, s48, v5
	v_dual_cndmask_b32 v5, v5, v15, vcc_lo :: v_dual_cndmask_b32 v3, v3, v14, vcc_lo
	s_delay_alu instid0(VALU_DEP_1) | instskip(NEXT) | instid1(VALU_DEP_2)
	v_cmp_le_u32_e32 vcc_lo, s48, v5
	v_add_nc_u32_e32 v14, 1, v3
	s_delay_alu instid0(VALU_DEP_1)
	v_cndmask_b32_e32 v18, v3, v14, vcc_lo
.LBB51_27:                              ;   in Loop: Header=BB51_3 Depth=1
	s_or_b32 exec_lo, exec_lo, s0
	s_delay_alu instid0(VALU_DEP_1) | instskip(SKIP_2) | instid1(VALU_DEP_2)
	v_mul_u64_e32 v[14:15], s[48:49], v[18:19]
	v_or_b32_e32 v3, s41, v1
	s_mov_b32 s0, exec_lo
	v_sub_nc_u64_e32 v[12:13], v[12:13], v[14:15]
	v_mul_u64_e32 v[14:15], s[24:25], v[18:19]
	s_delay_alu instid0(VALU_DEP_2) | instskip(NEXT) | instid1(VALU_DEP_1)
	v_add_nc_u64_e32 v[12:13], v[0:1], v[12:13]
	v_mul_u64_e32 v[12:13], s[26:27], v[12:13]
	s_delay_alu instid0(VALU_DEP_3) | instskip(NEXT) | instid1(VALU_DEP_1)
	v_lshl_add_u64 v[14:15], v[14:15], 3, s[46:47]
	v_lshl_add_u64 v[12:13], v[12:13], 3, v[14:15]
	global_load_b64 v[22:23], v[12:13], off
                                        ; implicit-def: $vgpr12_vgpr13
	s_wait_xcnt 0x0
	v_cmpx_ne_u64_e32 0, v[2:3]
	s_xor_b32 s33, exec_lo, s0
	s_cbranch_execz .LBB51_29
; %bb.28:                               ;   in Loop: Header=BB51_3 Depth=1
	s_ashr_i32 s64, s41, 31
	v_dual_mov_b32 v5, v4 :: v_dual_mov_b32 v15, v2
	s_mov_b32 s65, s64
	v_mov_b32_e32 v25, v2
	s_add_nc_u64 s[66:67], s[40:41], s[64:65]
	s_delay_alu instid0(VALU_DEP_2)
	v_add_nc_u64_e32 v[12:13], v[0:1], v[4:5]
	s_xor_b64 s[66:67], s[66:67], s[64:65]
	v_mov_b32_e32 v29, v2
	s_cvt_f32_u32 s0, s66
	s_cvt_f32_u32 s2, s67
	s_sub_nc_u64 s[70:71], 0, s[66:67]
	s_delay_alu instid0(VALU_DEP_2) | instskip(NEXT) | instid1(SALU_CYCLE_1)
	v_xor_b32_e32 v14, v12, v4
	s_fmamk_f32 s0, s2, 0x4f800000, s0
	v_xor_b32_e32 v24, v13, v4
	s_delay_alu instid0(SALU_CYCLE_2) | instskip(NEXT) | instid1(TRANS32_DEP_1)
	v_s_rcp_f32 s0, s0
	s_mul_f32 s0, s0, 0x5f7ffffc
	s_delay_alu instid0(SALU_CYCLE_3) | instskip(NEXT) | instid1(SALU_CYCLE_3)
	s_mul_f32 s2, s0, 0x2f800000
	s_trunc_f32 s2, s2
	s_delay_alu instid0(SALU_CYCLE_3) | instskip(SKIP_1) | instid1(SALU_CYCLE_2)
	s_fmamk_f32 s0, s2, 0xcf800000, s0
	s_cvt_u32_f32 s69, s2
	s_cvt_u32_f32 s68, s0
	s_delay_alu instid0(SALU_CYCLE_3) | instskip(NEXT) | instid1(SALU_CYCLE_1)
	s_mul_u64 s[72:73], s[70:71], s[68:69]
	s_mul_hi_u32 s75, s68, s73
	s_mul_i32 s74, s68, s73
	s_mul_hi_u32 s2, s68, s72
	s_mul_i32 s63, s69, s72
	s_add_nc_u64 s[74:75], s[2:3], s[74:75]
	s_mul_hi_u32 s0, s69, s72
	s_mul_hi_u32 s65, s69, s73
	s_add_co_u32 s2, s74, s63
	s_add_co_ci_u32 s2, s75, s0
	s_mul_i32 s72, s69, s73
	s_add_co_ci_u32 s73, s65, 0
	s_delay_alu instid0(SALU_CYCLE_1) | instskip(NEXT) | instid1(SALU_CYCLE_1)
	s_add_nc_u64 s[72:73], s[2:3], s[72:73]
	s_add_co_u32 s68, s68, s72
	s_cselect_b32 s0, -1, 0
	s_delay_alu instid0(SALU_CYCLE_1) | instskip(SKIP_1) | instid1(SALU_CYCLE_1)
	s_cmp_lg_u32 s0, 0
	s_add_co_ci_u32 s69, s69, s73
	s_mul_u64 s[70:71], s[70:71], s[68:69]
	s_delay_alu instid0(SALU_CYCLE_1)
	s_mul_hi_u32 s73, s68, s71
	s_mul_i32 s72, s68, s71
	s_mul_hi_u32 s2, s68, s70
	s_mul_i32 s63, s69, s70
	s_add_nc_u64 s[72:73], s[2:3], s[72:73]
	s_mul_hi_u32 s0, s69, s70
	s_mul_hi_u32 s65, s69, s71
	s_add_co_u32 s2, s72, s63
	s_add_co_ci_u32 s2, s73, s0
	s_mul_i32 s70, s69, s71
	s_add_co_ci_u32 s71, s65, 0
	s_delay_alu instid0(SALU_CYCLE_1) | instskip(NEXT) | instid1(SALU_CYCLE_1)
	s_add_nc_u64 s[70:71], s[2:3], s[70:71]
	s_add_co_u32 s0, s68, s70
	s_cselect_b32 s2, -1, 0
	v_nop
	v_mul_hi_u32 v28, v14, s0
	s_cmp_lg_u32 s2, 0
	s_add_co_ci_u32 s2, s69, s71
	s_and_b64 s[68:69], s[0:1], s[56:57]
	v_mul_u64_e32 v[18:19], s[2:3], v[14:15]
	v_mul_u64_e32 v[12:13], s[68:69], v[24:25]
	;; [unrolled: 1-line block ×3, first 2 shown]
	s_delay_alu instid0(VALU_DEP_3) | instskip(NEXT) | instid1(VALU_DEP_1)
	v_add_nc_u64_e32 v[18:19], v[28:29], v[18:19]
	v_add_co_u32 v3, vcc_lo, v18, v12
	s_delay_alu instid0(VALU_DEP_2) | instskip(NEXT) | instid1(VALU_DEP_4)
	v_add_co_ci_u32_e32 v28, vcc_lo, v19, v13, vcc_lo
	v_add_co_ci_u32_e32 v27, vcc_lo, 0, v27, vcc_lo
	s_delay_alu instid0(VALU_DEP_1) | instskip(NEXT) | instid1(VALU_DEP_1)
	v_add_nc_u64_e32 v[12:13], v[28:29], v[26:27]
	v_mul_u64_e32 v[18:19], s[66:67], v[12:13]
	s_delay_alu instid0(VALU_DEP_1) | instskip(NEXT) | instid1(VALU_DEP_2)
	v_sub_nc_u32_e32 v3, v24, v19
	v_sub_co_u32 v5, vcc_lo, v14, v18
	s_delay_alu instid0(VALU_DEP_1) | instskip(NEXT) | instid1(VALU_DEP_3)
	v_sub_co_ci_u32_e64 v24, null, v24, v19, vcc_lo
	v_subrev_co_ci_u32_e64 v3, null, s67, v3, vcc_lo
	s_delay_alu instid0(VALU_DEP_3) | instskip(SKIP_1) | instid1(VALU_DEP_3)
	v_sub_co_u32 v14, s0, v5, s66
	v_add_nc_u64_e32 v[18:19], 1, v[12:13]
	v_subrev_co_ci_u32_e64 v3, null, 0, v3, s0
	s_delay_alu instid0(VALU_DEP_3) | instskip(SKIP_1) | instid1(VALU_DEP_3)
	v_cmp_le_u32_e32 vcc_lo, s66, v14
	v_cndmask_b32_e64 v14, 0, -1, vcc_lo
	v_cmp_le_u32_e32 vcc_lo, s67, v3
	v_cndmask_b32_e64 v15, 0, -1, vcc_lo
	;; [unrolled: 2-line block ×4, first 2 shown]
	v_cmp_eq_u32_e32 vcc_lo, s67, v3
	v_cndmask_b32_e32 v3, v15, v14, vcc_lo
	v_cmp_eq_u32_e32 vcc_lo, s67, v24
	v_add_nc_u64_e32 v[14:15], 2, v[12:13]
	v_cndmask_b32_e32 v5, v25, v5, vcc_lo
	s_delay_alu instid0(VALU_DEP_4) | instskip(NEXT) | instid1(VALU_DEP_2)
	v_cmp_ne_u32_e32 vcc_lo, 0, v3
	v_cmp_ne_u32_e64 s0, 0, v5
	s_delay_alu instid0(VALU_DEP_4) | instskip(NEXT) | instid1(VALU_DEP_1)
	v_dual_cndmask_b32 v3, v19, v15, vcc_lo :: v_dual_cndmask_b32 v5, v18, v14, vcc_lo
	v_dual_cndmask_b32 v3, v13, v3, s0 :: v_dual_bitop2_b32 v14, s64, v4 bitop3:0x14
	s_delay_alu instid0(VALU_DEP_1) | instskip(NEXT) | instid1(VALU_DEP_2)
	v_dual_cndmask_b32 v5, v12, v5, s0 :: v_dual_mov_b32 v15, v14
	v_xor_b32_e32 v13, v3, v14
	s_delay_alu instid0(VALU_DEP_2) | instskip(NEXT) | instid1(VALU_DEP_1)
	v_xor_b32_e32 v12, v5, v14
	v_sub_nc_u64_e32 v[12:13], v[12:13], v[14:15]
.LBB51_29:                              ;   in Loop: Header=BB51_3 Depth=1
	s_and_not1_saveexec_b32 s0, s33
	s_cbranch_execz .LBB51_31
; %bb.30:                               ;   in Loop: Header=BB51_3 Depth=1
	v_cvt_f32_u32_e32 v3, s40
	s_sub_co_i32 s2, 0, s40
	s_delay_alu instid0(VALU_DEP_1) | instskip(SKIP_1) | instid1(TRANS32_DEP_1)
	v_rcp_iflag_f32_e32 v3, v3
	v_nop
	v_mul_f32_e32 v3, 0x4f7ffffe, v3
	s_delay_alu instid0(VALU_DEP_1) | instskip(NEXT) | instid1(VALU_DEP_1)
	v_cvt_u32_f32_e32 v3, v3
	v_mul_lo_u32 v5, s2, v3
	s_delay_alu instid0(VALU_DEP_1) | instskip(NEXT) | instid1(VALU_DEP_1)
	v_mul_hi_u32 v5, v3, v5
	v_add_nc_u32_e32 v3, v3, v5
	s_delay_alu instid0(VALU_DEP_1) | instskip(NEXT) | instid1(VALU_DEP_1)
	v_mul_hi_u32 v3, v0, v3
	v_mul_lo_u32 v5, v3, s40
	s_delay_alu instid0(VALU_DEP_1) | instskip(NEXT) | instid1(VALU_DEP_1)
	v_sub_nc_u32_e32 v5, v0, v5
	v_subrev_nc_u32_e32 v13, s40, v5
	v_cmp_le_u32_e32 vcc_lo, s40, v5
	s_delay_alu instid0(VALU_DEP_2) | instskip(NEXT) | instid1(VALU_DEP_1)
	v_dual_cndmask_b32 v5, v5, v13 :: v_dual_add_nc_u32 v12, 1, v3
	v_dual_cndmask_b32 v3, v3, v12, vcc_lo :: v_dual_mov_b32 v13, v2
	s_delay_alu instid0(VALU_DEP_2) | instskip(NEXT) | instid1(VALU_DEP_2)
	v_cmp_le_u32_e32 vcc_lo, s40, v5
	v_add_nc_u32_e32 v12, 1, v3
	s_delay_alu instid0(VALU_DEP_1)
	v_cndmask_b32_e32 v12, v3, v12, vcc_lo
.LBB51_31:                              ;   in Loop: Header=BB51_3 Depth=1
	s_or_b32 exec_lo, exec_lo, s0
	s_delay_alu instid0(VALU_DEP_1) | instskip(SKIP_2) | instid1(VALU_DEP_2)
	v_mad_nc_u64_u32 v[14:15], s58, v12, v[0:1]
	v_mul_u64_e32 v[18:19], s[54:55], v[10:11]
                                        ; implicit-def: $vgpr26_vgpr27
	s_mov_b32 s0, exec_lo
	v_mad_u32 v3, s59, v12, v15
	s_delay_alu instid0(VALU_DEP_1) | instskip(SKIP_1) | instid1(VALU_DEP_4)
	v_mad_u32 v15, s58, v13, v3
	v_mul_u64_e32 v[12:13], s[16:17], v[12:13]
	v_add_nc_u64_e32 v[28:29], v[0:1], v[18:19]
	s_delay_alu instid0(VALU_DEP_3) | instskip(NEXT) | instid1(VALU_DEP_2)
	v_mul_u64_e32 v[14:15], s[18:19], v[14:15]
	v_dual_ashrrev_i32 v24, 31, v29 :: v_dual_bitop2_b32 v3, s31, v29 bitop3:0x54
	s_delay_alu instid0(VALU_DEP_4) | instskip(NEXT) | instid1(VALU_DEP_1)
	v_lshl_add_u64 v[12:13], v[12:13], 3, s[38:39]
	v_lshl_add_u64 v[12:13], v[14:15], 3, v[12:13]
	global_load_b64 v[12:13], v[12:13], off
	s_wait_xcnt 0x0
	v_cmpx_ne_u64_e32 0, v[2:3]
	s_xor_b32 s33, exec_lo, s0
	s_cbranch_execz .LBB51_33
; %bb.32:                               ;   in Loop: Header=BB51_3 Depth=1
	s_ashr_i32 s64, s31, 31
	v_dual_mov_b32 v25, v24 :: v_dual_mov_b32 v27, v2
	s_mov_b32 s65, s64
	v_mov_b32_e32 v37, v2
	s_add_nc_u64 s[66:67], s[30:31], s[64:65]
	s_delay_alu instid0(VALU_DEP_2)
	v_add_nc_u64_e32 v[14:15], v[28:29], v[24:25]
	s_xor_b64 s[66:67], s[66:67], s[64:65]
	v_mov_b32_e32 v33, v2
	s_cvt_f32_u32 s0, s66
	s_cvt_f32_u32 s2, s67
	s_sub_nc_u64 s[70:71], 0, s[66:67]
	s_delay_alu instid0(VALU_DEP_2) | instskip(NEXT) | instid1(SALU_CYCLE_1)
	v_xor_b32_e32 v32, v15, v24
	s_fmamk_f32 s0, s2, 0x4f800000, s0
	v_xor_b32_e32 v26, v14, v24
	s_delay_alu instid0(SALU_CYCLE_2) | instskip(NEXT) | instid1(TRANS32_DEP_1)
	v_s_rcp_f32 s0, s0
	s_mul_f32 s0, s0, 0x5f7ffffc
	s_delay_alu instid0(SALU_CYCLE_3) | instskip(NEXT) | instid1(SALU_CYCLE_3)
	s_mul_f32 s2, s0, 0x2f800000
	s_trunc_f32 s2, s2
	s_delay_alu instid0(SALU_CYCLE_3) | instskip(SKIP_1) | instid1(SALU_CYCLE_2)
	s_fmamk_f32 s0, s2, 0xcf800000, s0
	s_cvt_u32_f32 s69, s2
	s_cvt_u32_f32 s68, s0
	s_delay_alu instid0(SALU_CYCLE_3) | instskip(NEXT) | instid1(SALU_CYCLE_1)
	s_mul_u64 s[72:73], s[70:71], s[68:69]
	s_mul_hi_u32 s75, s68, s73
	s_mul_i32 s74, s68, s73
	s_mul_hi_u32 s2, s68, s72
	s_mul_i32 s63, s69, s72
	s_add_nc_u64 s[74:75], s[2:3], s[74:75]
	s_mul_hi_u32 s0, s69, s72
	s_mul_hi_u32 s65, s69, s73
	s_add_co_u32 s2, s74, s63
	s_add_co_ci_u32 s2, s75, s0
	s_mul_i32 s72, s69, s73
	s_add_co_ci_u32 s73, s65, 0
	s_delay_alu instid0(SALU_CYCLE_1) | instskip(NEXT) | instid1(SALU_CYCLE_1)
	s_add_nc_u64 s[72:73], s[2:3], s[72:73]
	s_add_co_u32 s68, s68, s72
	s_cselect_b32 s0, -1, 0
	s_delay_alu instid0(SALU_CYCLE_1) | instskip(SKIP_1) | instid1(SALU_CYCLE_1)
	s_cmp_lg_u32 s0, 0
	s_add_co_ci_u32 s69, s69, s73
	s_mul_u64 s[70:71], s[70:71], s[68:69]
	s_delay_alu instid0(SALU_CYCLE_1)
	s_mul_hi_u32 s73, s68, s71
	s_mul_i32 s72, s68, s71
	s_mul_hi_u32 s2, s68, s70
	s_mul_i32 s63, s69, s70
	s_add_nc_u64 s[72:73], s[2:3], s[72:73]
	s_mul_hi_u32 s0, s69, s70
	s_mul_hi_u32 s65, s69, s71
	s_add_co_u32 s2, s72, s63
	s_add_co_ci_u32 s2, s73, s0
	s_mul_i32 s70, s69, s71
	s_add_co_ci_u32 s71, s65, 0
	s_delay_alu instid0(SALU_CYCLE_1) | instskip(NEXT) | instid1(SALU_CYCLE_1)
	s_add_nc_u64 s[70:71], s[2:3], s[70:71]
	s_add_co_u32 s0, s68, s70
	s_cselect_b32 s2, -1, 0
	v_nop
	v_mul_hi_u32 v36, v26, s0
	s_cmp_lg_u32 s2, 0
	s_add_co_ci_u32 s2, s69, s71
	s_and_b64 s[68:69], s[0:1], s[56:57]
	v_mul_u64_e32 v[30:31], s[2:3], v[26:27]
	v_mul_u64_e32 v[14:15], s[68:69], v[32:33]
	;; [unrolled: 1-line block ×3, first 2 shown]
	s_delay_alu instid0(VALU_DEP_3) | instskip(NEXT) | instid1(VALU_DEP_1)
	v_add_nc_u64_e32 v[30:31], v[36:37], v[30:31]
	v_add_co_u32 v3, vcc_lo, v30, v14
	s_delay_alu instid0(VALU_DEP_2) | instskip(NEXT) | instid1(VALU_DEP_4)
	v_add_co_ci_u32_e32 v36, vcc_lo, v31, v15, vcc_lo
	v_add_co_ci_u32_e32 v35, vcc_lo, 0, v35, vcc_lo
	s_delay_alu instid0(VALU_DEP_1) | instskip(NEXT) | instid1(VALU_DEP_1)
	v_add_nc_u64_e32 v[14:15], v[36:37], v[34:35]
	v_mul_u64_e32 v[30:31], s[66:67], v[14:15]
	s_delay_alu instid0(VALU_DEP_1) | instskip(NEXT) | instid1(VALU_DEP_2)
	v_sub_nc_u32_e32 v3, v32, v31
	v_sub_co_u32 v5, vcc_lo, v26, v30
	s_delay_alu instid0(VALU_DEP_1) | instskip(NEXT) | instid1(VALU_DEP_3)
	v_sub_co_ci_u32_e64 v32, null, v32, v31, vcc_lo
	v_subrev_co_ci_u32_e64 v3, null, s67, v3, vcc_lo
	s_delay_alu instid0(VALU_DEP_3) | instskip(SKIP_1) | instid1(VALU_DEP_3)
	v_sub_co_u32 v25, s0, v5, s66
	v_add_nc_u64_e32 v[30:31], 1, v[14:15]
	v_subrev_co_ci_u32_e64 v3, null, 0, v3, s0
	s_delay_alu instid0(VALU_DEP_3) | instskip(SKIP_1) | instid1(VALU_DEP_3)
	v_cmp_le_u32_e32 vcc_lo, s66, v25
	v_cndmask_b32_e64 v25, 0, -1, vcc_lo
	v_cmp_le_u32_e32 vcc_lo, s67, v3
	v_cndmask_b32_e64 v26, 0, -1, vcc_lo
	;; [unrolled: 2-line block ×4, first 2 shown]
	v_cmp_eq_u32_e32 vcc_lo, s67, v3
	v_cndmask_b32_e32 v3, v26, v25, vcc_lo
	v_cmp_eq_u32_e32 vcc_lo, s67, v32
	v_add_nc_u64_e32 v[26:27], 2, v[14:15]
	v_cndmask_b32_e32 v5, v33, v5, vcc_lo
	s_delay_alu instid0(VALU_DEP_4) | instskip(NEXT) | instid1(VALU_DEP_2)
	v_cmp_ne_u32_e32 vcc_lo, 0, v3
	v_cmp_ne_u32_e64 s0, 0, v5
	s_delay_alu instid0(VALU_DEP_4) | instskip(NEXT) | instid1(VALU_DEP_1)
	v_dual_cndmask_b32 v3, v31, v27, vcc_lo :: v_dual_cndmask_b32 v5, v30, v26, vcc_lo
	v_dual_cndmask_b32 v3, v15, v3, s0 :: v_dual_bitop2_b32 v26, s64, v24 bitop3:0x14
	s_delay_alu instid0(VALU_DEP_2) | instskip(NEXT) | instid1(VALU_DEP_2)
	v_cndmask_b32_e64 v5, v14, v5, s0
	v_dual_mov_b32 v27, v26 :: v_dual_bitop2_b32 v15, v3, v26 bitop3:0x14
	s_delay_alu instid0(VALU_DEP_2) | instskip(NEXT) | instid1(VALU_DEP_1)
	v_xor_b32_e32 v14, v5, v26
	v_sub_nc_u64_e32 v[26:27], v[14:15], v[26:27]
.LBB51_33:                              ;   in Loop: Header=BB51_3 Depth=1
	s_or_saveexec_b32 s0, s33
	v_cvt_f32_u32_e32 v5, s30
	s_xor_b32 exec_lo, exec_lo, s0
	s_cbranch_execz .LBB51_35
; %bb.34:                               ;   in Loop: Header=BB51_3 Depth=1
	s_delay_alu instid0(VALU_DEP_1) | instskip(SKIP_2) | instid1(TRANS32_DEP_1)
	v_rcp_iflag_f32_e32 v3, v5
	s_sub_co_i32 s2, 0, s30
	v_mov_b32_e32 v27, v2
	v_mul_f32_e32 v3, 0x4f7ffffe, v3
	s_delay_alu instid0(VALU_DEP_1) | instskip(NEXT) | instid1(VALU_DEP_1)
	v_cvt_u32_f32_e32 v3, v3
	v_mul_lo_u32 v14, s2, v3
	s_delay_alu instid0(VALU_DEP_1) | instskip(NEXT) | instid1(VALU_DEP_1)
	v_mul_hi_u32 v14, v3, v14
	v_add_nc_u32_e32 v3, v3, v14
	s_delay_alu instid0(VALU_DEP_1) | instskip(NEXT) | instid1(VALU_DEP_1)
	v_mul_hi_u32 v3, v28, v3
	v_mul_lo_u32 v14, v3, s30
	s_delay_alu instid0(VALU_DEP_1) | instskip(NEXT) | instid1(VALU_DEP_1)
	v_dual_add_nc_u32 v15, 1, v3 :: v_dual_sub_nc_u32 v14, v28, v14
	v_subrev_nc_u32_e32 v25, s30, v14
	v_cmp_le_u32_e32 vcc_lo, s30, v14
	s_delay_alu instid0(VALU_DEP_2) | instskip(NEXT) | instid1(VALU_DEP_1)
	v_dual_cndmask_b32 v14, v14, v25 :: v_dual_cndmask_b32 v3, v3, v15
	v_cmp_le_u32_e32 vcc_lo, s30, v14
	s_delay_alu instid0(VALU_DEP_2) | instskip(NEXT) | instid1(VALU_DEP_1)
	v_add_nc_u32_e32 v15, 1, v3
	v_cndmask_b32_e32 v26, v3, v15, vcc_lo
.LBB51_35:                              ;   in Loop: Header=BB51_3 Depth=1
	s_or_b32 exec_lo, exec_lo, s0
	s_wait_loadcnt 0x4
	v_add_f64_e64 v[34:35], -v[8:9], 1.0
	s_wait_loadcnt 0x3
	v_fma_f64 v[14:15], -v[16:17], v[16:17], 1.0
	v_mul_u64_e32 v[32:33], s[30:31], v[26:27]
	v_lshlrev_b64_e32 v[36:37], 1, v[10:11]
	v_mul_u64_e32 v[26:27], s[8:9], v[26:27]
	v_alignbit_b32 v10, v11, v10, 31
	s_mov_b32 s0, exec_lo
	s_wait_loadcnt 0x0
	v_mul_f64_e32 v[30:31], v[34:35], v[12:13]
	v_sub_nc_u64_e32 v[32:33], v[18:19], v[32:33]
	s_delay_alu instid0(VALU_DEP_1) | instskip(NEXT) | instid1(VALU_DEP_1)
	v_add_nc_u64_e32 v[32:33], v[0:1], v[32:33]
	v_mul_u64_e32 v[38:39], s[10:11], v[32:33]
	s_delay_alu instid0(VALU_DEP_4) | instskip(SKIP_1) | instid1(VALU_DEP_2)
	v_mul_f64_e32 v[14:15], v[14:15], v[30:31]
	v_add_f64_e64 v[30:31], -v[6:7], 1.0
	v_mul_f64_e32 v[22:23], v[22:23], v[14:15]
	s_delay_alu instid0(VALU_DEP_1) | instskip(SKIP_1) | instid1(VALU_DEP_1)
	v_mul_f64_e32 v[30:31], v[30:31], v[22:23]
	v_mad_nc_u64_u32 v[22:23], s4, v36, s[4:5]
	v_mad_u32 v3, s5, v36, v23
	s_delay_alu instid0(VALU_DEP_1) | instskip(SKIP_1) | instid1(VALU_DEP_1)
	v_mad_u32 v23, s4, v10, v3
	v_lshl_add_u64 v[10:11], v[26:27], 3, s[28:29]
	v_lshl_add_u64 v[10:11], v[38:39], 3, v[10:11]
                                        ; implicit-def: $vgpr38_vgpr39
	v_mul_f64_e32 v[32:33], v[6:7], v[30:31]
	s_delay_alu instid0(VALU_DEP_4) | instskip(NEXT) | instid1(VALU_DEP_1)
	v_add_nc_u64_e32 v[30:31], v[0:1], v[22:23]
	v_dual_ashrrev_i32 v26, 31, v31 :: v_dual_bitop2_b32 v3, s31, v31 bitop3:0x54
	global_store_b64 v[10:11], v[32:33], off
	s_wait_xcnt 0x0
	v_cmpx_ne_u64_e32 0, v[2:3]
	s_xor_b32 s33, exec_lo, s0
	s_cbranch_execz .LBB51_37
; %bb.36:                               ;   in Loop: Header=BB51_3 Depth=1
	s_ashr_i32 s64, s31, 31
	v_dual_mov_b32 v27, v26 :: v_dual_mov_b32 v39, v2
	s_mov_b32 s65, s64
	v_mov_b32_e32 v49, v2
	s_add_nc_u64 s[66:67], s[30:31], s[64:65]
	s_delay_alu instid0(VALU_DEP_2)
	v_add_nc_u64_e32 v[10:11], v[30:31], v[26:27]
	s_xor_b64 s[66:67], s[66:67], s[64:65]
	v_mov_b32_e32 v45, v2
	s_cvt_f32_u32 s0, s66
	s_cvt_f32_u32 s2, s67
	s_sub_nc_u64 s[70:71], 0, s[66:67]
	s_delay_alu instid0(VALU_DEP_2) | instskip(NEXT) | instid1(SALU_CYCLE_1)
	v_xor_b32_e32 v44, v11, v26
	s_fmamk_f32 s0, s2, 0x4f800000, s0
	v_xor_b32_e32 v38, v10, v26
	s_delay_alu instid0(SALU_CYCLE_2) | instskip(NEXT) | instid1(TRANS32_DEP_1)
	v_s_rcp_f32 s0, s0
	s_mul_f32 s0, s0, 0x5f7ffffc
	s_delay_alu instid0(SALU_CYCLE_3) | instskip(NEXT) | instid1(SALU_CYCLE_3)
	s_mul_f32 s2, s0, 0x2f800000
	s_trunc_f32 s2, s2
	s_delay_alu instid0(SALU_CYCLE_3) | instskip(SKIP_1) | instid1(SALU_CYCLE_2)
	s_fmamk_f32 s0, s2, 0xcf800000, s0
	s_cvt_u32_f32 s69, s2
	s_cvt_u32_f32 s68, s0
	s_delay_alu instid0(SALU_CYCLE_3) | instskip(NEXT) | instid1(SALU_CYCLE_1)
	s_mul_u64 s[72:73], s[70:71], s[68:69]
	s_mul_hi_u32 s75, s68, s73
	s_mul_i32 s74, s68, s73
	s_mul_hi_u32 s2, s68, s72
	s_mul_i32 s63, s69, s72
	s_add_nc_u64 s[74:75], s[2:3], s[74:75]
	s_mul_hi_u32 s0, s69, s72
	s_mul_hi_u32 s65, s69, s73
	s_add_co_u32 s2, s74, s63
	s_add_co_ci_u32 s2, s75, s0
	s_mul_i32 s72, s69, s73
	s_add_co_ci_u32 s73, s65, 0
	s_delay_alu instid0(SALU_CYCLE_1) | instskip(NEXT) | instid1(SALU_CYCLE_1)
	s_add_nc_u64 s[72:73], s[2:3], s[72:73]
	s_add_co_u32 s68, s68, s72
	s_cselect_b32 s0, -1, 0
	s_delay_alu instid0(SALU_CYCLE_1) | instskip(SKIP_1) | instid1(SALU_CYCLE_1)
	s_cmp_lg_u32 s0, 0
	s_add_co_ci_u32 s69, s69, s73
	s_mul_u64 s[70:71], s[70:71], s[68:69]
	s_delay_alu instid0(SALU_CYCLE_1)
	s_mul_hi_u32 s73, s68, s71
	s_mul_i32 s72, s68, s71
	s_mul_hi_u32 s2, s68, s70
	s_mul_i32 s63, s69, s70
	s_add_nc_u64 s[72:73], s[2:3], s[72:73]
	s_mul_hi_u32 s0, s69, s70
	s_mul_hi_u32 s65, s69, s71
	s_add_co_u32 s2, s72, s63
	s_add_co_ci_u32 s2, s73, s0
	s_mul_i32 s70, s69, s71
	s_add_co_ci_u32 s71, s65, 0
	s_delay_alu instid0(SALU_CYCLE_1) | instskip(NEXT) | instid1(SALU_CYCLE_1)
	s_add_nc_u64 s[70:71], s[2:3], s[70:71]
	s_add_co_u32 s0, s68, s70
	s_cselect_b32 s2, -1, 0
	v_nop
	v_mul_hi_u32 v48, v38, s0
	s_cmp_lg_u32 s2, 0
	s_add_co_ci_u32 s2, s69, s71
	s_and_b64 s[68:69], s[0:1], s[56:57]
	v_mul_u64_e32 v[42:43], s[2:3], v[38:39]
	v_mul_u64_e32 v[10:11], s[68:69], v[44:45]
	;; [unrolled: 1-line block ×3, first 2 shown]
	s_delay_alu instid0(VALU_DEP_3) | instskip(NEXT) | instid1(VALU_DEP_1)
	v_add_nc_u64_e32 v[42:43], v[48:49], v[42:43]
	v_add_co_u32 v3, vcc_lo, v42, v10
	s_delay_alu instid0(VALU_DEP_2) | instskip(NEXT) | instid1(VALU_DEP_4)
	v_add_co_ci_u32_e32 v48, vcc_lo, v43, v11, vcc_lo
	v_add_co_ci_u32_e32 v47, vcc_lo, 0, v47, vcc_lo
	s_delay_alu instid0(VALU_DEP_1) | instskip(NEXT) | instid1(VALU_DEP_1)
	v_add_nc_u64_e32 v[10:11], v[48:49], v[46:47]
	v_mul_u64_e32 v[42:43], s[66:67], v[10:11]
	s_delay_alu instid0(VALU_DEP_1) | instskip(NEXT) | instid1(VALU_DEP_2)
	v_sub_nc_u32_e32 v3, v44, v43
	v_sub_co_u32 v25, vcc_lo, v38, v42
	s_delay_alu instid0(VALU_DEP_1) | instskip(NEXT) | instid1(VALU_DEP_3)
	v_sub_co_ci_u32_e64 v41, null, v44, v43, vcc_lo
	v_subrev_co_ci_u32_e64 v3, null, s67, v3, vcc_lo
	s_delay_alu instid0(VALU_DEP_3) | instskip(SKIP_1) | instid1(VALU_DEP_3)
	v_sub_co_u32 v27, s0, v25, s66
	v_add_nc_u64_e32 v[42:43], 1, v[10:11]
	v_subrev_co_ci_u32_e64 v3, null, 0, v3, s0
	s_delay_alu instid0(VALU_DEP_3) | instskip(SKIP_1) | instid1(VALU_DEP_3)
	v_cmp_le_u32_e32 vcc_lo, s66, v27
	v_cndmask_b32_e64 v27, 0, -1, vcc_lo
	v_cmp_le_u32_e32 vcc_lo, s67, v3
	v_cndmask_b32_e64 v38, 0, -1, vcc_lo
	;; [unrolled: 2-line block ×4, first 2 shown]
	v_cmp_eq_u32_e32 vcc_lo, s67, v3
	v_cndmask_b32_e32 v3, v38, v27, vcc_lo
	v_cmp_eq_u32_e32 vcc_lo, s67, v41
	v_add_nc_u64_e32 v[38:39], 2, v[10:11]
	v_cndmask_b32_e32 v25, v44, v25, vcc_lo
	s_delay_alu instid0(VALU_DEP_4) | instskip(NEXT) | instid1(VALU_DEP_2)
	v_cmp_ne_u32_e32 vcc_lo, 0, v3
	v_cmp_ne_u32_e64 s0, 0, v25
	s_delay_alu instid0(VALU_DEP_4) | instskip(NEXT) | instid1(VALU_DEP_1)
	v_dual_cndmask_b32 v3, v43, v39, vcc_lo :: v_dual_cndmask_b32 v25, v42, v38, vcc_lo
	v_dual_cndmask_b32 v3, v11, v3, s0 :: v_dual_bitop2_b32 v38, s64, v26 bitop3:0x14
	s_delay_alu instid0(VALU_DEP_2) | instskip(NEXT) | instid1(VALU_DEP_2)
	v_cndmask_b32_e64 v10, v10, v25, s0
	v_dual_mov_b32 v39, v38 :: v_dual_bitop2_b32 v11, v3, v38 bitop3:0x14
	s_delay_alu instid0(VALU_DEP_2) | instskip(NEXT) | instid1(VALU_DEP_1)
	v_xor_b32_e32 v10, v10, v38
	v_sub_nc_u64_e32 v[38:39], v[10:11], v[38:39]
.LBB51_37:                              ;   in Loop: Header=BB51_3 Depth=1
	s_and_not1_saveexec_b32 s0, s33
	s_cbranch_execz .LBB51_39
; %bb.38:                               ;   in Loop: Header=BB51_3 Depth=1
	v_rcp_iflag_f32_e32 v3, v5
	s_sub_co_i32 s2, 0, s30
	v_mov_b32_e32 v39, v2
	s_delay_alu instid0(TRANS32_DEP_1) | instskip(NEXT) | instid1(VALU_DEP_1)
	v_mul_f32_e32 v3, 0x4f7ffffe, v3
	v_cvt_u32_f32_e32 v3, v3
	s_delay_alu instid0(VALU_DEP_1) | instskip(NEXT) | instid1(VALU_DEP_1)
	v_mul_lo_u32 v10, s2, v3
	v_mul_hi_u32 v10, v3, v10
	s_delay_alu instid0(VALU_DEP_1) | instskip(NEXT) | instid1(VALU_DEP_1)
	v_add_nc_u32_e32 v3, v3, v10
	v_mul_hi_u32 v3, v30, v3
	s_delay_alu instid0(VALU_DEP_1) | instskip(NEXT) | instid1(VALU_DEP_1)
	v_mul_lo_u32 v10, v3, s30
	v_dual_add_nc_u32 v11, 1, v3 :: v_dual_sub_nc_u32 v10, v30, v10
	s_delay_alu instid0(VALU_DEP_1) | instskip(SKIP_1) | instid1(VALU_DEP_2)
	v_subrev_nc_u32_e32 v25, s30, v10
	v_cmp_le_u32_e32 vcc_lo, s30, v10
	v_dual_cndmask_b32 v10, v10, v25 :: v_dual_cndmask_b32 v3, v3, v11
	s_delay_alu instid0(VALU_DEP_1) | instskip(NEXT) | instid1(VALU_DEP_2)
	v_cmp_le_u32_e32 vcc_lo, s30, v10
	v_add_nc_u32_e32 v11, 1, v3
	s_delay_alu instid0(VALU_DEP_1)
	v_cndmask_b32_e32 v38, v3, v11, vcc_lo
.LBB51_39:                              ;   in Loop: Header=BB51_3 Depth=1
	s_or_b32 exec_lo, exec_lo, s0
	v_add_f64_e64 v[10:11], v[20:21], -v[16:17]
	s_delay_alu instid0(VALU_DEP_2) | instskip(SKIP_1) | instid1(VALU_DEP_2)
	v_mul_u64_e32 v[16:17], s[30:31], v[38:39]
	s_mov_b32 s0, exec_lo
	v_mul_f64_e32 v[10:11], v[10:11], v[12:13]
	s_delay_alu instid0(VALU_DEP_2) | instskip(NEXT) | instid1(VALU_DEP_1)
	v_sub_nc_u64_e32 v[16:17], v[22:23], v[16:17]
	v_add_nc_u64_e32 v[16:17], v[0:1], v[16:17]
	s_delay_alu instid0(VALU_DEP_1) | instskip(NEXT) | instid1(VALU_DEP_4)
	v_mul_u64_e32 v[16:17], s[10:11], v[16:17]
	v_mul_f64_e32 v[20:21], v[34:35], v[10:11]
	v_add_nc_u64_e32 v[10:11], 2, v[36:37]
	v_mul_u64_e32 v[36:37], s[8:9], v[38:39]
	s_delay_alu instid0(VALU_DEP_2) | instskip(NEXT) | instid1(VALU_DEP_4)
	v_mul_u64_e32 v[10:11], s[4:5], v[10:11]
	v_mul_f64_e32 v[34:35], v[8:9], v[20:21]
	s_delay_alu instid0(VALU_DEP_3) | instskip(NEXT) | instid1(VALU_DEP_1)
	v_lshl_add_u64 v[36:37], v[36:37], 3, s[28:29]
	v_lshl_add_u64 v[36:37], v[16:17], 3, v[36:37]
	s_delay_alu instid0(VALU_DEP_4) | instskip(NEXT) | instid1(VALU_DEP_1)
	v_add_nc_u64_e32 v[20:21], v[0:1], v[10:11]
	v_dual_ashrrev_i32 v16, 31, v21 :: v_dual_bitop2_b32 v3, s31, v21 bitop3:0x54
	global_store_b64 v[36:37], v[34:35], off
                                        ; implicit-def: $vgpr36_vgpr37
	s_wait_xcnt 0x0
	v_cmpx_ne_u64_e32 0, v[2:3]
	s_xor_b32 s33, exec_lo, s0
	s_cbranch_execz .LBB51_41
; %bb.40:                               ;   in Loop: Header=BB51_3 Depth=1
	s_ashr_i32 s64, s31, 31
	v_dual_mov_b32 v17, v16 :: v_dual_mov_b32 v39, v2
	s_mov_b32 s65, s64
	v_mov_b32_e32 v45, v2
	s_add_nc_u64 s[66:67], s[30:31], s[64:65]
	s_delay_alu instid0(VALU_DEP_2)
	v_add_nc_u64_e32 v[36:37], v[20:21], v[16:17]
	s_xor_b64 s[66:67], s[66:67], s[64:65]
	v_mov_b32_e32 v49, v2
	s_cvt_f32_u32 s0, s66
	s_cvt_f32_u32 s2, s67
	s_sub_nc_u64 s[70:71], 0, s[66:67]
	s_delay_alu instid0(VALU_DEP_2) | instskip(NEXT) | instid1(SALU_CYCLE_1)
	v_xor_b32_e32 v38, v36, v16
	s_fmamk_f32 s0, s2, 0x4f800000, s0
	v_xor_b32_e32 v44, v37, v16
	s_delay_alu instid0(SALU_CYCLE_2) | instskip(NEXT) | instid1(TRANS32_DEP_1)
	v_s_rcp_f32 s0, s0
	s_mul_f32 s0, s0, 0x5f7ffffc
	s_delay_alu instid0(SALU_CYCLE_3) | instskip(NEXT) | instid1(SALU_CYCLE_3)
	s_mul_f32 s2, s0, 0x2f800000
	s_trunc_f32 s2, s2
	s_delay_alu instid0(SALU_CYCLE_3) | instskip(SKIP_1) | instid1(SALU_CYCLE_2)
	s_fmamk_f32 s0, s2, 0xcf800000, s0
	s_cvt_u32_f32 s69, s2
	s_cvt_u32_f32 s68, s0
	s_delay_alu instid0(SALU_CYCLE_3) | instskip(NEXT) | instid1(SALU_CYCLE_1)
	s_mul_u64 s[72:73], s[70:71], s[68:69]
	s_mul_hi_u32 s75, s68, s73
	s_mul_i32 s74, s68, s73
	s_mul_hi_u32 s2, s68, s72
	s_mul_i32 s63, s69, s72
	s_add_nc_u64 s[74:75], s[2:3], s[74:75]
	s_mul_hi_u32 s0, s69, s72
	s_mul_hi_u32 s65, s69, s73
	s_add_co_u32 s2, s74, s63
	s_add_co_ci_u32 s2, s75, s0
	s_mul_i32 s72, s69, s73
	s_add_co_ci_u32 s73, s65, 0
	s_delay_alu instid0(SALU_CYCLE_1) | instskip(NEXT) | instid1(SALU_CYCLE_1)
	s_add_nc_u64 s[72:73], s[2:3], s[72:73]
	s_add_co_u32 s68, s68, s72
	s_cselect_b32 s0, -1, 0
	s_delay_alu instid0(SALU_CYCLE_1) | instskip(SKIP_1) | instid1(SALU_CYCLE_1)
	s_cmp_lg_u32 s0, 0
	s_add_co_ci_u32 s69, s69, s73
	s_mul_u64 s[70:71], s[70:71], s[68:69]
	s_delay_alu instid0(SALU_CYCLE_1)
	s_mul_hi_u32 s73, s68, s71
	s_mul_i32 s72, s68, s71
	s_mul_hi_u32 s2, s68, s70
	s_mul_i32 s63, s69, s70
	s_add_nc_u64 s[72:73], s[2:3], s[72:73]
	s_mul_hi_u32 s0, s69, s70
	s_mul_hi_u32 s65, s69, s71
	s_add_co_u32 s2, s72, s63
	s_add_co_ci_u32 s2, s73, s0
	s_mul_i32 s70, s69, s71
	s_add_co_ci_u32 s71, s65, 0
	s_delay_alu instid0(SALU_CYCLE_1) | instskip(NEXT) | instid1(SALU_CYCLE_1)
	s_add_nc_u64 s[70:71], s[2:3], s[70:71]
	s_add_co_u32 s0, s68, s70
	s_cselect_b32 s2, -1, 0
	v_nop
	v_mul_hi_u32 v48, v38, s0
	s_cmp_lg_u32 s2, 0
	s_add_co_ci_u32 s2, s69, s71
	s_and_b64 s[68:69], s[0:1], s[56:57]
	v_mul_u64_e32 v[42:43], s[2:3], v[38:39]
	v_mul_u64_e32 v[36:37], s[68:69], v[44:45]
	;; [unrolled: 1-line block ×3, first 2 shown]
	s_delay_alu instid0(VALU_DEP_3) | instskip(NEXT) | instid1(VALU_DEP_1)
	v_add_nc_u64_e32 v[42:43], v[48:49], v[42:43]
	v_add_co_u32 v3, vcc_lo, v42, v36
	s_delay_alu instid0(VALU_DEP_2) | instskip(NEXT) | instid1(VALU_DEP_4)
	v_add_co_ci_u32_e32 v48, vcc_lo, v43, v37, vcc_lo
	v_add_co_ci_u32_e32 v47, vcc_lo, 0, v47, vcc_lo
	s_delay_alu instid0(VALU_DEP_1) | instskip(NEXT) | instid1(VALU_DEP_1)
	v_add_nc_u64_e32 v[36:37], v[48:49], v[46:47]
	v_mul_u64_e32 v[42:43], s[66:67], v[36:37]
	s_delay_alu instid0(VALU_DEP_1) | instskip(NEXT) | instid1(VALU_DEP_2)
	v_sub_nc_u32_e32 v3, v44, v43
	v_sub_co_u32 v5, vcc_lo, v38, v42
	s_delay_alu instid0(VALU_DEP_1) | instskip(NEXT) | instid1(VALU_DEP_3)
	v_sub_co_ci_u32_e64 v25, null, v44, v43, vcc_lo
	v_subrev_co_ci_u32_e64 v3, null, s67, v3, vcc_lo
	s_delay_alu instid0(VALU_DEP_3) | instskip(SKIP_1) | instid1(VALU_DEP_3)
	v_sub_co_u32 v17, s0, v5, s66
	v_add_nc_u64_e32 v[38:39], 2, v[36:37]
	v_subrev_co_ci_u32_e64 v3, null, 0, v3, s0
	s_delay_alu instid0(VALU_DEP_3) | instskip(SKIP_2) | instid1(VALU_DEP_4)
	v_cmp_le_u32_e32 vcc_lo, s66, v17
	v_add_nc_u64_e32 v[42:43], 1, v[36:37]
	v_cndmask_b32_e64 v17, 0, -1, vcc_lo
	v_cmp_le_u32_e32 vcc_lo, s67, v3
	v_cndmask_b32_e64 v27, 0, -1, vcc_lo
	v_cmp_le_u32_e32 vcc_lo, s66, v5
	;; [unrolled: 2-line block ×3, first 2 shown]
	v_cndmask_b32_e64 v41, 0, -1, vcc_lo
	v_cmp_eq_u32_e32 vcc_lo, s67, v3
	v_cndmask_b32_e32 v3, v27, v17, vcc_lo
	v_cmp_eq_u32_e32 vcc_lo, s67, v25
	s_delay_alu instid0(VALU_DEP_4) | instskip(NEXT) | instid1(VALU_DEP_3)
	v_cndmask_b32_e32 v5, v41, v5, vcc_lo
	v_cmp_ne_u32_e32 vcc_lo, 0, v3
	s_delay_alu instid0(VALU_DEP_2) | instskip(SKIP_1) | instid1(VALU_DEP_1)
	v_cmp_ne_u32_e64 s0, 0, v5
	v_dual_cndmask_b32 v3, v43, v39, vcc_lo :: v_dual_cndmask_b32 v5, v42, v38, vcc_lo
	v_dual_cndmask_b32 v3, v37, v3, s0 :: v_dual_bitop2_b32 v38, s64, v16 bitop3:0x14
	s_delay_alu instid0(VALU_DEP_1) | instskip(NEXT) | instid1(VALU_DEP_2)
	v_dual_cndmask_b32 v5, v36, v5, s0 :: v_dual_mov_b32 v39, v38
	v_xor_b32_e32 v37, v3, v38
	s_delay_alu instid0(VALU_DEP_2) | instskip(NEXT) | instid1(VALU_DEP_1)
	v_xor_b32_e32 v36, v5, v38
                                        ; implicit-def: $vgpr5
	v_sub_nc_u64_e32 v[36:37], v[36:37], v[38:39]
.LBB51_41:                              ;   in Loop: Header=BB51_3 Depth=1
	s_and_not1_saveexec_b32 s0, s33
	s_cbranch_execz .LBB51_43
; %bb.42:                               ;   in Loop: Header=BB51_3 Depth=1
	v_rcp_iflag_f32_e32 v3, v5
	s_sub_co_i32 s2, 0, s30
	v_mov_b32_e32 v37, v2
	s_delay_alu instid0(TRANS32_DEP_1) | instskip(NEXT) | instid1(VALU_DEP_1)
	v_mul_f32_e32 v3, 0x4f7ffffe, v3
	v_cvt_u32_f32_e32 v3, v3
	s_delay_alu instid0(VALU_DEP_1) | instskip(NEXT) | instid1(VALU_DEP_1)
	v_mul_lo_u32 v5, s2, v3
	v_mul_hi_u32 v5, v3, v5
	s_delay_alu instid0(VALU_DEP_1) | instskip(NEXT) | instid1(VALU_DEP_1)
	v_add_nc_u32_e32 v3, v3, v5
	v_mul_hi_u32 v3, v20, v3
	s_delay_alu instid0(VALU_DEP_1) | instskip(NEXT) | instid1(VALU_DEP_1)
	v_mul_lo_u32 v5, v3, s30
	v_sub_nc_u32_e32 v5, v20, v5
	s_delay_alu instid0(VALU_DEP_1) | instskip(SKIP_1) | instid1(VALU_DEP_2)
	v_subrev_nc_u32_e32 v25, s30, v5
	v_cmp_le_u32_e32 vcc_lo, s30, v5
	v_dual_add_nc_u32 v17, 1, v3 :: v_dual_cndmask_b32 v5, v5, v25, vcc_lo
	s_delay_alu instid0(VALU_DEP_1) | instskip(NEXT) | instid1(VALU_DEP_2)
	v_cndmask_b32_e32 v3, v3, v17, vcc_lo
	v_cmp_le_u32_e32 vcc_lo, s30, v5
	s_delay_alu instid0(VALU_DEP_2) | instskip(NEXT) | instid1(VALU_DEP_1)
	v_add_nc_u32_e32 v17, 1, v3
	v_cndmask_b32_e32 v36, v3, v17, vcc_lo
.LBB51_43:                              ;   in Loop: Header=BB51_3 Depth=1
	s_or_b32 exec_lo, exec_lo, s0
	s_delay_alu instid0(VALU_DEP_1) | instskip(SKIP_3) | instid1(VALU_DEP_3)
	v_mul_u64_e32 v[38:39], s[30:31], v[36:37]
	v_mul_u64_e32 v[36:37], s[8:9], v[36:37]
	v_or_b32_e32 v3, s37, v29
	s_mov_b32 s0, exec_lo
	v_sub_nc_u64_e32 v[38:39], v[10:11], v[38:39]
	s_delay_alu instid0(VALU_DEP_3) | instskip(NEXT) | instid1(VALU_DEP_2)
	v_lshl_add_u64 v[36:37], v[36:37], 3, s[28:29]
	v_add_nc_u64_e32 v[38:39], v[0:1], v[38:39]
	s_delay_alu instid0(VALU_DEP_1) | instskip(NEXT) | instid1(VALU_DEP_1)
	v_mul_u64_e32 v[38:39], s[10:11], v[38:39]
	v_lshl_add_u64 v[36:37], v[38:39], 3, v[36:37]
	global_store_b64 v[36:37], v[14:15], off
                                        ; implicit-def: $vgpr36_vgpr37
	s_wait_xcnt 0x0
	v_cmpx_ne_u64_e32 0, v[2:3]
	s_xor_b32 s33, exec_lo, s0
	s_cbranch_execz .LBB51_45
; %bb.44:                               ;   in Loop: Header=BB51_3 Depth=1
	s_ashr_i32 s64, s37, 31
	v_dual_mov_b32 v25, v24 :: v_dual_mov_b32 v37, v2
	s_mov_b32 s65, s64
	v_mov_b32_e32 v43, v2
	s_add_nc_u64 s[66:67], s[36:37], s[64:65]
	s_delay_alu instid0(VALU_DEP_2)
	v_add_nc_u64_e32 v[28:29], v[28:29], v[24:25]
	s_xor_b64 s[66:67], s[66:67], s[64:65]
	v_mov_b32_e32 v47, v2
	s_cvt_f32_u32 s0, s66
	s_cvt_f32_u32 s2, s67
	s_sub_nc_u64 s[70:71], 0, s[66:67]
	s_delay_alu instid0(VALU_DEP_2) | instskip(NEXT) | instid1(SALU_CYCLE_1)
	v_xor_b32_e32 v36, v28, v24
	s_fmamk_f32 s0, s2, 0x4f800000, s0
	v_xor_b32_e32 v42, v29, v24
	v_xor_b32_e32 v24, s64, v24
	s_delay_alu instid0(SALU_CYCLE_1) | instskip(NEXT) | instid1(TRANS32_DEP_1)
	v_s_rcp_f32 s0, s0
	s_mul_f32 s0, s0, 0x5f7ffffc
	s_delay_alu instid0(SALU_CYCLE_3) | instskip(NEXT) | instid1(SALU_CYCLE_3)
	s_mul_f32 s2, s0, 0x2f800000
	s_trunc_f32 s2, s2
	s_delay_alu instid0(SALU_CYCLE_3) | instskip(SKIP_1) | instid1(SALU_CYCLE_2)
	s_fmamk_f32 s0, s2, 0xcf800000, s0
	s_cvt_u32_f32 s69, s2
	s_cvt_u32_f32 s68, s0
	s_delay_alu instid0(SALU_CYCLE_3) | instskip(NEXT) | instid1(SALU_CYCLE_1)
	s_mul_u64 s[72:73], s[70:71], s[68:69]
	s_mul_hi_u32 s75, s68, s73
	s_mul_i32 s74, s68, s73
	s_mul_hi_u32 s2, s68, s72
	s_mul_i32 s63, s69, s72
	s_add_nc_u64 s[74:75], s[2:3], s[74:75]
	s_mul_hi_u32 s0, s69, s72
	s_mul_hi_u32 s65, s69, s73
	s_add_co_u32 s2, s74, s63
	s_add_co_ci_u32 s2, s75, s0
	s_mul_i32 s72, s69, s73
	s_add_co_ci_u32 s73, s65, 0
	s_delay_alu instid0(SALU_CYCLE_1) | instskip(NEXT) | instid1(SALU_CYCLE_1)
	s_add_nc_u64 s[72:73], s[2:3], s[72:73]
	s_add_co_u32 s68, s68, s72
	s_cselect_b32 s0, -1, 0
	s_delay_alu instid0(SALU_CYCLE_1) | instskip(SKIP_1) | instid1(SALU_CYCLE_1)
	s_cmp_lg_u32 s0, 0
	s_add_co_ci_u32 s69, s69, s73
	s_mul_u64 s[70:71], s[70:71], s[68:69]
	s_delay_alu instid0(SALU_CYCLE_1)
	s_mul_hi_u32 s73, s68, s71
	s_mul_i32 s72, s68, s71
	s_mul_hi_u32 s2, s68, s70
	s_mul_i32 s63, s69, s70
	s_add_nc_u64 s[72:73], s[2:3], s[72:73]
	s_mul_hi_u32 s0, s69, s70
	s_mul_hi_u32 s65, s69, s71
	s_add_co_u32 s2, s72, s63
	s_add_co_ci_u32 s2, s73, s0
	s_mul_i32 s70, s69, s71
	s_add_co_ci_u32 s71, s65, 0
	s_delay_alu instid0(SALU_CYCLE_1) | instskip(NEXT) | instid1(SALU_CYCLE_1)
	s_add_nc_u64 s[70:71], s[2:3], s[70:71]
	s_add_co_u32 s0, s68, s70
	s_cselect_b32 s2, -1, 0
	v_nop
	v_mul_hi_u32 v46, v36, s0
	s_cmp_lg_u32 s2, 0
	s_add_co_ci_u32 s2, s69, s71
	s_and_b64 s[68:69], s[0:1], s[56:57]
	v_mul_u64_e32 v[38:39], s[2:3], v[36:37]
	v_mul_u64_e32 v[28:29], s[68:69], v[42:43]
	;; [unrolled: 1-line block ×3, first 2 shown]
	s_delay_alu instid0(VALU_DEP_3) | instskip(NEXT) | instid1(VALU_DEP_1)
	v_add_nc_u64_e32 v[38:39], v[46:47], v[38:39]
	v_add_co_u32 v3, vcc_lo, v38, v28
	s_delay_alu instid0(VALU_DEP_2) | instskip(NEXT) | instid1(VALU_DEP_4)
	v_add_co_ci_u32_e32 v46, vcc_lo, v39, v29, vcc_lo
	v_add_co_ci_u32_e32 v45, vcc_lo, 0, v45, vcc_lo
	s_delay_alu instid0(VALU_DEP_1) | instskip(NEXT) | instid1(VALU_DEP_1)
	v_add_nc_u64_e32 v[28:29], v[46:47], v[44:45]
	v_mul_u64_e32 v[38:39], s[66:67], v[28:29]
	s_delay_alu instid0(VALU_DEP_1) | instskip(NEXT) | instid1(VALU_DEP_2)
	v_sub_nc_u32_e32 v3, v42, v39
	v_sub_co_u32 v5, vcc_lo, v36, v38
	s_delay_alu instid0(VALU_DEP_1) | instskip(NEXT) | instid1(VALU_DEP_3)
	v_sub_co_ci_u32_e64 v25, null, v42, v39, vcc_lo
	v_subrev_co_ci_u32_e64 v3, null, s67, v3, vcc_lo
	s_delay_alu instid0(VALU_DEP_3) | instskip(SKIP_1) | instid1(VALU_DEP_3)
	v_sub_co_u32 v17, s0, v5, s66
	v_add_nc_u64_e32 v[36:37], 2, v[28:29]
	v_subrev_co_ci_u32_e64 v3, null, 0, v3, s0
	s_delay_alu instid0(VALU_DEP_3) | instskip(SKIP_2) | instid1(VALU_DEP_4)
	v_cmp_le_u32_e32 vcc_lo, s66, v17
	v_add_nc_u64_e32 v[38:39], 1, v[28:29]
	v_cndmask_b32_e64 v17, 0, -1, vcc_lo
	v_cmp_le_u32_e32 vcc_lo, s67, v3
	v_cndmask_b32_e64 v27, 0, -1, vcc_lo
	v_cmp_le_u32_e32 vcc_lo, s66, v5
	;; [unrolled: 2-line block ×3, first 2 shown]
	v_cndmask_b32_e64 v41, 0, -1, vcc_lo
	v_cmp_eq_u32_e32 vcc_lo, s67, v3
	v_cndmask_b32_e32 v3, v27, v17, vcc_lo
	v_cmp_eq_u32_e32 vcc_lo, s67, v25
	s_delay_alu instid0(VALU_DEP_4) | instskip(NEXT) | instid1(VALU_DEP_3)
	v_cndmask_b32_e32 v5, v41, v5, vcc_lo
	v_cmp_ne_u32_e32 vcc_lo, 0, v3
	s_delay_alu instid0(VALU_DEP_2) | instskip(SKIP_1) | instid1(VALU_DEP_1)
	v_cmp_ne_u32_e64 s0, 0, v5
	v_dual_cndmask_b32 v3, v39, v37, vcc_lo :: v_dual_cndmask_b32 v5, v38, v36, vcc_lo
	v_dual_cndmask_b32 v3, v29, v3, s0 :: v_dual_cndmask_b32 v5, v28, v5, s0
	s_delay_alu instid0(VALU_DEP_1) | instskip(NEXT) | instid1(VALU_DEP_2)
	v_dual_mov_b32 v25, v24 :: v_dual_bitop2_b32 v29, v3, v24 bitop3:0x14
	v_xor_b32_e32 v28, v5, v24
	s_delay_alu instid0(VALU_DEP_1)
	v_sub_nc_u64_e32 v[36:37], v[28:29], v[24:25]
                                        ; implicit-def: $vgpr28_vgpr29
.LBB51_45:                              ;   in Loop: Header=BB51_3 Depth=1
	s_or_saveexec_b32 s0, s33
	v_cvt_f32_u32_e32 v5, s36
	s_xor_b32 exec_lo, exec_lo, s0
	s_cbranch_execz .LBB51_47
; %bb.46:                               ;   in Loop: Header=BB51_3 Depth=1
	s_delay_alu instid0(VALU_DEP_1) | instskip(SKIP_2) | instid1(TRANS32_DEP_1)
	v_rcp_iflag_f32_e32 v3, v5
	s_sub_co_i32 s2, 0, s36
	v_mov_b32_e32 v37, v2
	v_mul_f32_e32 v3, 0x4f7ffffe, v3
	s_delay_alu instid0(VALU_DEP_1) | instskip(NEXT) | instid1(VALU_DEP_1)
	v_cvt_u32_f32_e32 v3, v3
	v_mul_lo_u32 v17, s2, v3
	s_delay_alu instid0(VALU_DEP_1) | instskip(NEXT) | instid1(VALU_DEP_1)
	v_mul_hi_u32 v17, v3, v17
	v_add_nc_u32_e32 v3, v3, v17
	s_delay_alu instid0(VALU_DEP_1) | instskip(NEXT) | instid1(VALU_DEP_1)
	v_mul_hi_u32 v3, v28, v3
	v_mul_lo_u32 v17, v3, s36
	s_delay_alu instid0(VALU_DEP_1) | instskip(NEXT) | instid1(VALU_DEP_1)
	v_sub_nc_u32_e32 v17, v28, v17
	v_subrev_nc_u32_e32 v25, s36, v17
	v_cmp_le_u32_e32 vcc_lo, s36, v17
	s_delay_alu instid0(VALU_DEP_2) | instskip(NEXT) | instid1(VALU_DEP_1)
	v_dual_cndmask_b32 v17, v17, v25 :: v_dual_add_nc_u32 v24, 1, v3
	v_cndmask_b32_e32 v3, v3, v24, vcc_lo
	s_delay_alu instid0(VALU_DEP_2) | instskip(NEXT) | instid1(VALU_DEP_2)
	v_cmp_le_u32_e32 vcc_lo, s36, v17
	v_add_nc_u32_e32 v24, 1, v3
	s_delay_alu instid0(VALU_DEP_1)
	v_cndmask_b32_e32 v36, v3, v24, vcc_lo
.LBB51_47:                              ;   in Loop: Header=BB51_3 Depth=1
	s_or_b32 exec_lo, exec_lo, s0
	s_delay_alu instid0(VALU_DEP_1) | instskip(SKIP_2) | instid1(VALU_DEP_2)
	v_mul_u64_e32 v[24:25], s[36:37], v[36:37]
	v_or_b32_e32 v3, s37, v31
	s_mov_b32 s0, exec_lo
	v_sub_nc_u64_e32 v[18:19], v[18:19], v[24:25]
	v_mul_u64_e32 v[24:25], s[12:13], v[36:37]
	s_delay_alu instid0(VALU_DEP_2) | instskip(NEXT) | instid1(VALU_DEP_1)
	v_add_nc_u64_e32 v[18:19], v[0:1], v[18:19]
	v_mul_u64_e32 v[18:19], s[14:15], v[18:19]
	s_delay_alu instid0(VALU_DEP_3) | instskip(NEXT) | instid1(VALU_DEP_1)
	v_lshl_add_u64 v[24:25], v[24:25], 3, s[34:35]
	v_lshl_add_u64 v[18:19], v[18:19], 3, v[24:25]
	global_store_b64 v[18:19], v[32:33], off
                                        ; implicit-def: $vgpr18_vgpr19
	s_wait_xcnt 0x0
	v_cmpx_ne_u64_e32 0, v[2:3]
	s_xor_b32 s33, exec_lo, s0
	s_cbranch_execz .LBB51_49
; %bb.48:                               ;   in Loop: Header=BB51_3 Depth=1
	s_ashr_i32 s64, s37, 31
	v_dual_mov_b32 v27, v26 :: v_dual_mov_b32 v25, v2
	s_mov_b32 s65, s64
	v_mov_b32_e32 v37, v2
	s_add_nc_u64 s[66:67], s[36:37], s[64:65]
	s_delay_alu instid0(VALU_DEP_2)
	v_add_nc_u64_e32 v[18:19], v[30:31], v[26:27]
	s_xor_b64 s[66:67], s[66:67], s[64:65]
	v_mov_b32_e32 v31, v2
	s_cvt_f32_u32 s0, s66
	s_cvt_f32_u32 s2, s67
	s_sub_nc_u64 s[70:71], 0, s[66:67]
	s_delay_alu instid0(VALU_DEP_2) | instskip(NEXT) | instid1(SALU_CYCLE_1)
	v_xor_b32_e32 v24, v18, v26
	s_fmamk_f32 s0, s2, 0x4f800000, s0
	v_xor_b32_e32 v30, v19, v26
	s_delay_alu instid0(SALU_CYCLE_2) | instskip(NEXT) | instid1(TRANS32_DEP_1)
	v_s_rcp_f32 s0, s0
	s_mul_f32 s0, s0, 0x5f7ffffc
	s_delay_alu instid0(SALU_CYCLE_3) | instskip(NEXT) | instid1(SALU_CYCLE_3)
	s_mul_f32 s2, s0, 0x2f800000
	s_trunc_f32 s2, s2
	s_delay_alu instid0(SALU_CYCLE_3) | instskip(SKIP_1) | instid1(SALU_CYCLE_2)
	s_fmamk_f32 s0, s2, 0xcf800000, s0
	s_cvt_u32_f32 s69, s2
	s_cvt_u32_f32 s68, s0
	s_delay_alu instid0(SALU_CYCLE_3) | instskip(NEXT) | instid1(SALU_CYCLE_1)
	s_mul_u64 s[72:73], s[70:71], s[68:69]
	s_mul_hi_u32 s75, s68, s73
	s_mul_i32 s74, s68, s73
	s_mul_hi_u32 s2, s68, s72
	s_mul_i32 s63, s69, s72
	s_add_nc_u64 s[74:75], s[2:3], s[74:75]
	s_mul_hi_u32 s0, s69, s72
	s_mul_hi_u32 s65, s69, s73
	s_add_co_u32 s2, s74, s63
	s_add_co_ci_u32 s2, s75, s0
	s_mul_i32 s72, s69, s73
	s_add_co_ci_u32 s73, s65, 0
	s_delay_alu instid0(SALU_CYCLE_1) | instskip(NEXT) | instid1(SALU_CYCLE_1)
	s_add_nc_u64 s[72:73], s[2:3], s[72:73]
	s_add_co_u32 s68, s68, s72
	s_cselect_b32 s0, -1, 0
	s_delay_alu instid0(SALU_CYCLE_1) | instskip(SKIP_1) | instid1(SALU_CYCLE_1)
	s_cmp_lg_u32 s0, 0
	s_add_co_ci_u32 s69, s69, s73
	s_mul_u64 s[70:71], s[70:71], s[68:69]
	s_delay_alu instid0(SALU_CYCLE_1)
	s_mul_hi_u32 s73, s68, s71
	s_mul_i32 s72, s68, s71
	s_mul_hi_u32 s2, s68, s70
	s_mul_i32 s63, s69, s70
	s_add_nc_u64 s[72:73], s[2:3], s[72:73]
	s_mul_hi_u32 s0, s69, s70
	s_mul_hi_u32 s65, s69, s71
	s_add_co_u32 s2, s72, s63
	s_add_co_ci_u32 s2, s73, s0
	s_mul_i32 s70, s69, s71
	s_add_co_ci_u32 s71, s65, 0
	s_delay_alu instid0(SALU_CYCLE_1) | instskip(NEXT) | instid1(SALU_CYCLE_1)
	s_add_nc_u64 s[70:71], s[2:3], s[70:71]
	s_add_co_u32 s0, s68, s70
	s_cselect_b32 s2, -1, 0
	v_nop
	v_mul_hi_u32 v36, v24, s0
	s_cmp_lg_u32 s2, 0
	s_add_co_ci_u32 s2, s69, s71
	s_and_b64 s[68:69], s[0:1], s[56:57]
	v_mul_u64_e32 v[28:29], s[2:3], v[24:25]
	v_mul_u64_e32 v[18:19], s[68:69], v[30:31]
	;; [unrolled: 1-line block ×3, first 2 shown]
	s_delay_alu instid0(VALU_DEP_3) | instskip(NEXT) | instid1(VALU_DEP_1)
	v_add_nc_u64_e32 v[28:29], v[36:37], v[28:29]
	v_add_co_u32 v3, vcc_lo, v28, v18
	s_delay_alu instid0(VALU_DEP_2) | instskip(NEXT) | instid1(VALU_DEP_4)
	v_add_co_ci_u32_e32 v36, vcc_lo, v29, v19, vcc_lo
	v_add_co_ci_u32_e32 v33, vcc_lo, 0, v33, vcc_lo
	s_delay_alu instid0(VALU_DEP_1) | instskip(NEXT) | instid1(VALU_DEP_1)
	v_add_nc_u64_e32 v[18:19], v[36:37], v[32:33]
	v_mul_u64_e32 v[28:29], s[66:67], v[18:19]
	s_delay_alu instid0(VALU_DEP_1) | instskip(NEXT) | instid1(VALU_DEP_2)
	v_sub_nc_u32_e32 v3, v30, v29
	v_sub_co_u32 v17, vcc_lo, v24, v28
	s_delay_alu instid0(VALU_DEP_1) | instskip(NEXT) | instid1(VALU_DEP_3)
	v_sub_co_ci_u32_e64 v27, null, v30, v29, vcc_lo
	v_subrev_co_ci_u32_e64 v3, null, s67, v3, vcc_lo
	s_delay_alu instid0(VALU_DEP_3) | instskip(SKIP_1) | instid1(VALU_DEP_3)
	v_sub_co_u32 v24, s0, v17, s66
	v_add_nc_u64_e32 v[28:29], 1, v[18:19]
	v_subrev_co_ci_u32_e64 v3, null, 0, v3, s0
	s_delay_alu instid0(VALU_DEP_3) | instskip(SKIP_1) | instid1(VALU_DEP_3)
	v_cmp_le_u32_e32 vcc_lo, s66, v24
	v_cndmask_b32_e64 v24, 0, -1, vcc_lo
	v_cmp_le_u32_e32 vcc_lo, s67, v3
	v_cndmask_b32_e64 v25, 0, -1, vcc_lo
	;; [unrolled: 2-line block ×4, first 2 shown]
	v_cmp_eq_u32_e32 vcc_lo, s67, v3
	v_cndmask_b32_e32 v3, v25, v24, vcc_lo
	v_cmp_eq_u32_e32 vcc_lo, s67, v27
	v_add_nc_u64_e32 v[24:25], 2, v[18:19]
	v_cndmask_b32_e32 v17, v30, v17, vcc_lo
	s_delay_alu instid0(VALU_DEP_4) | instskip(NEXT) | instid1(VALU_DEP_2)
	v_cmp_ne_u32_e32 vcc_lo, 0, v3
                                        ; implicit-def: $vgpr30_vgpr31
	v_cmp_ne_u32_e64 s0, 0, v17
	s_delay_alu instid0(VALU_DEP_4) | instskip(NEXT) | instid1(VALU_DEP_1)
	v_dual_cndmask_b32 v3, v29, v25, vcc_lo :: v_dual_cndmask_b32 v17, v28, v24, vcc_lo
	v_dual_cndmask_b32 v3, v19, v3, s0 :: v_dual_bitop2_b32 v24, s64, v26 bitop3:0x14
	s_delay_alu instid0(VALU_DEP_1) | instskip(NEXT) | instid1(VALU_DEP_2)
	v_dual_cndmask_b32 v17, v18, v17, s0 :: v_dual_mov_b32 v25, v24
	v_xor_b32_e32 v19, v3, v24
	s_delay_alu instid0(VALU_DEP_2) | instskip(NEXT) | instid1(VALU_DEP_1)
	v_xor_b32_e32 v18, v17, v24
	v_sub_nc_u64_e32 v[18:19], v[18:19], v[24:25]
.LBB51_49:                              ;   in Loop: Header=BB51_3 Depth=1
	s_and_not1_saveexec_b32 s0, s33
	s_cbranch_execz .LBB51_51
; %bb.50:                               ;   in Loop: Header=BB51_3 Depth=1
	v_rcp_iflag_f32_e32 v3, v5
	s_sub_co_i32 s2, 0, s36
	v_nop
	s_delay_alu instid0(TRANS32_DEP_1) | instskip(NEXT) | instid1(VALU_DEP_1)
	v_mul_f32_e32 v3, 0x4f7ffffe, v3
	v_cvt_u32_f32_e32 v3, v3
	s_delay_alu instid0(VALU_DEP_1) | instskip(NEXT) | instid1(VALU_DEP_1)
	v_mul_lo_u32 v17, s2, v3
	v_mul_hi_u32 v17, v3, v17
	s_delay_alu instid0(VALU_DEP_1) | instskip(NEXT) | instid1(VALU_DEP_1)
	v_add_nc_u32_e32 v3, v3, v17
	v_mul_hi_u32 v3, v30, v3
	s_delay_alu instid0(VALU_DEP_1) | instskip(NEXT) | instid1(VALU_DEP_1)
	v_mul_lo_u32 v17, v3, s36
	v_dual_add_nc_u32 v18, 1, v3 :: v_dual_sub_nc_u32 v17, v30, v17
	s_delay_alu instid0(VALU_DEP_1) | instskip(SKIP_1) | instid1(VALU_DEP_2)
	v_subrev_nc_u32_e32 v19, s36, v17
	v_cmp_le_u32_e32 vcc_lo, s36, v17
	v_dual_cndmask_b32 v17, v17, v19, vcc_lo :: v_dual_mov_b32 v19, v2
	s_delay_alu instid0(VALU_DEP_4) | instskip(NEXT) | instid1(VALU_DEP_2)
	v_cndmask_b32_e32 v3, v3, v18, vcc_lo
	v_cmp_le_u32_e32 vcc_lo, s36, v17
	s_delay_alu instid0(VALU_DEP_2) | instskip(NEXT) | instid1(VALU_DEP_1)
	v_add_nc_u32_e32 v18, 1, v3
	v_cndmask_b32_e32 v18, v3, v18, vcc_lo
.LBB51_51:                              ;   in Loop: Header=BB51_3 Depth=1
	s_or_b32 exec_lo, exec_lo, s0
	s_delay_alu instid0(VALU_DEP_1) | instskip(SKIP_3) | instid1(VALU_DEP_3)
	v_mul_u64_e32 v[24:25], s[36:37], v[18:19]
	v_mul_u64_e32 v[18:19], s[12:13], v[18:19]
	v_or_b32_e32 v3, s37, v21
	s_mov_b32 s0, exec_lo
	v_sub_nc_u64_e32 v[22:23], v[22:23], v[24:25]
	s_delay_alu instid0(VALU_DEP_3) | instskip(NEXT) | instid1(VALU_DEP_2)
	v_lshl_add_u64 v[18:19], v[18:19], 3, s[34:35]
	v_add_nc_u64_e32 v[22:23], v[0:1], v[22:23]
	s_delay_alu instid0(VALU_DEP_1) | instskip(NEXT) | instid1(VALU_DEP_1)
	v_mul_u64_e32 v[22:23], s[14:15], v[22:23]
	v_lshl_add_u64 v[18:19], v[22:23], 3, v[18:19]
	global_store_b64 v[18:19], v[34:35], off
                                        ; implicit-def: $vgpr18_vgpr19
	s_wait_xcnt 0x0
	v_cmpx_ne_u64_e32 0, v[2:3]
	s_xor_b32 s33, exec_lo, s0
	s_cbranch_execz .LBB51_53
; %bb.52:                               ;   in Loop: Header=BB51_3 Depth=1
	s_ashr_i32 s64, s37, 31
	v_mov_b32_e32 v17, v16
	s_mov_b32 s65, s64
	v_mov_b32_e32 v29, v2
	s_add_nc_u64 s[66:67], s[36:37], s[64:65]
	s_delay_alu instid0(VALU_DEP_2)
	v_add_nc_u64_e32 v[18:19], v[20:21], v[16:17]
	s_xor_b64 s[66:67], s[66:67], s[64:65]
	v_mov_b32_e32 v21, v2
	s_cvt_f32_u32 s0, s66
	s_cvt_f32_u32 s2, s67
	s_sub_nc_u64 s[70:71], 0, s[66:67]
	s_delay_alu instid0(VALU_DEP_2) | instskip(NEXT) | instid1(SALU_CYCLE_1)
	v_dual_mov_b32 v25, v2 :: v_dual_bitop2_b32 v24, v19, v16 bitop3:0x14
	s_fmamk_f32 s0, s2, 0x4f800000, s0
	v_xor_b32_e32 v20, v18, v16
	v_xor_b32_e32 v16, s64, v16
	s_delay_alu instid0(SALU_CYCLE_1) | instskip(NEXT) | instid1(TRANS32_DEP_1)
	v_s_rcp_f32 s0, s0
	s_mul_f32 s0, s0, 0x5f7ffffc
	s_delay_alu instid0(SALU_CYCLE_3) | instskip(NEXT) | instid1(SALU_CYCLE_3)
	s_mul_f32 s2, s0, 0x2f800000
	s_trunc_f32 s2, s2
	s_delay_alu instid0(SALU_CYCLE_3) | instskip(SKIP_1) | instid1(SALU_CYCLE_2)
	s_fmamk_f32 s0, s2, 0xcf800000, s0
	s_cvt_u32_f32 s69, s2
	s_cvt_u32_f32 s68, s0
	s_delay_alu instid0(SALU_CYCLE_3) | instskip(NEXT) | instid1(SALU_CYCLE_1)
	s_mul_u64 s[72:73], s[70:71], s[68:69]
	s_mul_hi_u32 s75, s68, s73
	s_mul_i32 s74, s68, s73
	s_mul_hi_u32 s2, s68, s72
	s_mul_i32 s63, s69, s72
	s_add_nc_u64 s[74:75], s[2:3], s[74:75]
	s_mul_hi_u32 s0, s69, s72
	s_mul_hi_u32 s65, s69, s73
	s_add_co_u32 s2, s74, s63
	s_add_co_ci_u32 s2, s75, s0
	s_mul_i32 s72, s69, s73
	s_add_co_ci_u32 s73, s65, 0
	s_delay_alu instid0(SALU_CYCLE_1) | instskip(NEXT) | instid1(SALU_CYCLE_1)
	s_add_nc_u64 s[72:73], s[2:3], s[72:73]
	s_add_co_u32 s68, s68, s72
	s_cselect_b32 s0, -1, 0
	s_delay_alu instid0(SALU_CYCLE_1) | instskip(SKIP_1) | instid1(SALU_CYCLE_1)
	s_cmp_lg_u32 s0, 0
	s_add_co_ci_u32 s69, s69, s73
	s_mul_u64 s[70:71], s[70:71], s[68:69]
	s_delay_alu instid0(SALU_CYCLE_1)
	s_mul_hi_u32 s73, s68, s71
	s_mul_i32 s72, s68, s71
	s_mul_hi_u32 s2, s68, s70
	s_mul_i32 s63, s69, s70
	s_add_nc_u64 s[72:73], s[2:3], s[72:73]
	s_mul_hi_u32 s0, s69, s70
	s_mul_hi_u32 s65, s69, s71
	s_add_co_u32 s2, s72, s63
	s_add_co_ci_u32 s2, s73, s0
	s_mul_i32 s70, s69, s71
	s_add_co_ci_u32 s71, s65, 0
	s_delay_alu instid0(SALU_CYCLE_1) | instskip(NEXT) | instid1(SALU_CYCLE_1)
	s_add_nc_u64 s[70:71], s[2:3], s[70:71]
	s_add_co_u32 s0, s68, s70
	s_cselect_b32 s2, -1, 0
	v_nop
	v_mul_hi_u32 v28, v20, s0
	s_cmp_lg_u32 s2, 0
	s_add_co_ci_u32 s2, s69, s71
	s_and_b64 s[68:69], s[0:1], s[56:57]
	v_mul_u64_e32 v[22:23], s[2:3], v[20:21]
	v_mul_u64_e32 v[18:19], s[68:69], v[24:25]
	;; [unrolled: 1-line block ×3, first 2 shown]
	s_delay_alu instid0(VALU_DEP_3) | instskip(NEXT) | instid1(VALU_DEP_1)
	v_add_nc_u64_e32 v[22:23], v[28:29], v[22:23]
	v_add_co_u32 v3, vcc_lo, v22, v18
	s_delay_alu instid0(VALU_DEP_2) | instskip(NEXT) | instid1(VALU_DEP_4)
	v_add_co_ci_u32_e32 v28, vcc_lo, v23, v19, vcc_lo
	v_add_co_ci_u32_e32 v27, vcc_lo, 0, v27, vcc_lo
	s_delay_alu instid0(VALU_DEP_1) | instskip(NEXT) | instid1(VALU_DEP_1)
	v_add_nc_u64_e32 v[18:19], v[28:29], v[26:27]
	v_mul_u64_e32 v[22:23], s[66:67], v[18:19]
	s_delay_alu instid0(VALU_DEP_1) | instskip(NEXT) | instid1(VALU_DEP_2)
	v_sub_nc_u32_e32 v3, v24, v23
	v_sub_co_u32 v5, vcc_lo, v20, v22
	s_delay_alu instid0(VALU_DEP_1) | instskip(NEXT) | instid1(VALU_DEP_3)
	v_sub_co_ci_u32_e64 v24, null, v24, v23, vcc_lo
	v_subrev_co_ci_u32_e64 v3, null, s67, v3, vcc_lo
	s_delay_alu instid0(VALU_DEP_3) | instskip(SKIP_1) | instid1(VALU_DEP_3)
	v_sub_co_u32 v17, s0, v5, s66
	v_add_nc_u64_e32 v[22:23], 1, v[18:19]
	v_subrev_co_ci_u32_e64 v3, null, 0, v3, s0
	s_delay_alu instid0(VALU_DEP_3) | instskip(SKIP_1) | instid1(VALU_DEP_3)
	v_cmp_le_u32_e32 vcc_lo, s66, v17
	v_cndmask_b32_e64 v17, 0, -1, vcc_lo
	v_cmp_le_u32_e32 vcc_lo, s67, v3
	v_cndmask_b32_e64 v20, 0, -1, vcc_lo
	;; [unrolled: 2-line block ×4, first 2 shown]
	v_cmp_eq_u32_e32 vcc_lo, s67, v3
	v_cndmask_b32_e32 v3, v20, v17, vcc_lo
	v_cmp_eq_u32_e32 vcc_lo, s67, v24
	v_add_nc_u64_e32 v[20:21], 2, v[18:19]
	v_cndmask_b32_e32 v5, v25, v5, vcc_lo
	s_delay_alu instid0(VALU_DEP_4) | instskip(NEXT) | instid1(VALU_DEP_2)
	v_cmp_ne_u32_e32 vcc_lo, 0, v3
	v_cmp_ne_u32_e64 s0, 0, v5
	s_delay_alu instid0(VALU_DEP_4) | instskip(NEXT) | instid1(VALU_DEP_1)
	v_dual_cndmask_b32 v3, v23, v21, vcc_lo :: v_dual_cndmask_b32 v5, v22, v20, vcc_lo
                                        ; implicit-def: $vgpr20_vgpr21
	v_dual_cndmask_b32 v3, v19, v3, s0 :: v_dual_cndmask_b32 v5, v18, v5, s0
	s_delay_alu instid0(VALU_DEP_1) | instskip(NEXT) | instid1(VALU_DEP_2)
	v_dual_mov_b32 v17, v16 :: v_dual_bitop2_b32 v19, v3, v16 bitop3:0x14
	v_xor_b32_e32 v18, v5, v16
                                        ; implicit-def: $vgpr5
	s_delay_alu instid0(VALU_DEP_1)
	v_sub_nc_u64_e32 v[18:19], v[18:19], v[16:17]
.LBB51_53:                              ;   in Loop: Header=BB51_3 Depth=1
	s_and_not1_saveexec_b32 s0, s33
	s_cbranch_execz .LBB51_55
; %bb.54:                               ;   in Loop: Header=BB51_3 Depth=1
	v_rcp_iflag_f32_e32 v3, v5
	s_sub_co_i32 s2, 0, s36
	v_mov_b32_e32 v19, v2
	s_delay_alu instid0(TRANS32_DEP_1) | instskip(NEXT) | instid1(VALU_DEP_1)
	v_mul_f32_e32 v3, 0x4f7ffffe, v3
	v_cvt_u32_f32_e32 v3, v3
	s_delay_alu instid0(VALU_DEP_1) | instskip(NEXT) | instid1(VALU_DEP_1)
	v_mul_lo_u32 v5, s2, v3
	v_mul_hi_u32 v5, v3, v5
	s_delay_alu instid0(VALU_DEP_1) | instskip(NEXT) | instid1(VALU_DEP_1)
	v_add_nc_u32_e32 v3, v3, v5
	v_mul_hi_u32 v3, v20, v3
	s_delay_alu instid0(VALU_DEP_1) | instskip(NEXT) | instid1(VALU_DEP_1)
	v_mul_lo_u32 v5, v3, s36
	v_sub_nc_u32_e32 v5, v20, v5
	s_delay_alu instid0(VALU_DEP_1) | instskip(SKIP_1) | instid1(VALU_DEP_2)
	v_subrev_nc_u32_e32 v17, s36, v5
	v_cmp_le_u32_e32 vcc_lo, s36, v5
	v_dual_cndmask_b32 v5, v5, v17 :: v_dual_add_nc_u32 v16, 1, v3
	s_delay_alu instid0(VALU_DEP_1) | instskip(NEXT) | instid1(VALU_DEP_2)
	v_cndmask_b32_e32 v3, v3, v16, vcc_lo
	v_cmp_le_u32_e32 vcc_lo, s36, v5
	s_delay_alu instid0(VALU_DEP_2) | instskip(NEXT) | instid1(VALU_DEP_1)
	v_add_nc_u32_e32 v16, 1, v3
	v_cndmask_b32_e32 v18, v3, v16, vcc_lo
.LBB51_55:                              ;   in Loop: Header=BB51_3 Depth=1
	s_or_b32 exec_lo, exec_lo, s0
	s_delay_alu instid0(VALU_DEP_1) | instskip(SKIP_2) | instid1(VALU_DEP_2)
	v_mul_u64_e32 v[16:17], s[36:37], v[18:19]
	v_dual_mul_f64 v[6:7], v[6:7], v[14:15] :: v_dual_bitop2_b32 v3, s45, v1 bitop3:0x54
	s_mov_b32 s0, exec_lo
	v_sub_nc_u64_e32 v[10:11], v[10:11], v[16:17]
	v_mul_u64_e32 v[16:17], s[12:13], v[18:19]
	s_delay_alu instid0(VALU_DEP_2) | instskip(NEXT) | instid1(VALU_DEP_1)
	v_add_nc_u64_e32 v[10:11], v[0:1], v[10:11]
	v_mul_u64_e32 v[10:11], s[14:15], v[10:11]
	s_delay_alu instid0(VALU_DEP_3) | instskip(NEXT) | instid1(VALU_DEP_1)
	v_lshl_add_u64 v[14:15], v[16:17], 3, s[34:35]
	v_lshl_add_u64 v[10:11], v[10:11], 3, v[14:15]
	global_store_b64 v[10:11], v[6:7], off
                                        ; implicit-def: $vgpr6_vgpr7
	s_wait_xcnt 0x0
	v_cmpx_ne_u64_e32 0, v[2:3]
	s_xor_b32 s33, exec_lo, s0
	s_cbranch_execz .LBB51_57
; %bb.56:                               ;   in Loop: Header=BB51_3 Depth=1
	s_ashr_i32 s64, s45, 31
	v_dual_mov_b32 v5, v4 :: v_dual_mov_b32 v11, v2
	s_mov_b32 s65, s64
	v_mov_b32_e32 v21, v2
	s_add_nc_u64 s[66:67], s[44:45], s[64:65]
	s_delay_alu instid0(VALU_DEP_2)
	v_add_nc_u64_e32 v[6:7], v[0:1], v[4:5]
	s_xor_b64 s[66:67], s[66:67], s[64:65]
	v_mov_b32_e32 v17, v2
	s_cvt_f32_u32 s0, s66
	s_cvt_f32_u32 s2, s67
	s_sub_nc_u64 s[70:71], 0, s[66:67]
	s_delay_alu instid0(VALU_DEP_2) | instskip(NEXT) | instid1(SALU_CYCLE_1)
	v_xor_b32_e32 v16, v7, v4
	s_fmamk_f32 s0, s2, 0x4f800000, s0
	v_xor_b32_e32 v10, v6, v4
	v_xor_b32_e32 v4, s64, v4
	s_delay_alu instid0(SALU_CYCLE_1) | instskip(NEXT) | instid1(TRANS32_DEP_1)
	v_s_rcp_f32 s0, s0
	s_mul_f32 s0, s0, 0x5f7ffffc
	s_delay_alu instid0(SALU_CYCLE_3) | instskip(NEXT) | instid1(SALU_CYCLE_3)
	s_mul_f32 s2, s0, 0x2f800000
	s_trunc_f32 s2, s2
	s_delay_alu instid0(SALU_CYCLE_3) | instskip(SKIP_1) | instid1(SALU_CYCLE_2)
	s_fmamk_f32 s0, s2, 0xcf800000, s0
	s_cvt_u32_f32 s69, s2
	s_cvt_u32_f32 s68, s0
	s_delay_alu instid0(SALU_CYCLE_3) | instskip(NEXT) | instid1(SALU_CYCLE_1)
	s_mul_u64 s[72:73], s[70:71], s[68:69]
	s_mul_hi_u32 s75, s68, s73
	s_mul_i32 s74, s68, s73
	s_mul_hi_u32 s2, s68, s72
	s_mul_i32 s63, s69, s72
	s_add_nc_u64 s[74:75], s[2:3], s[74:75]
	s_mul_hi_u32 s0, s69, s72
	s_mul_hi_u32 s65, s69, s73
	s_add_co_u32 s2, s74, s63
	s_add_co_ci_u32 s2, s75, s0
	s_mul_i32 s72, s69, s73
	s_add_co_ci_u32 s73, s65, 0
	s_delay_alu instid0(SALU_CYCLE_1) | instskip(NEXT) | instid1(SALU_CYCLE_1)
	s_add_nc_u64 s[72:73], s[2:3], s[72:73]
	s_add_co_u32 s68, s68, s72
	s_cselect_b32 s0, -1, 0
	s_delay_alu instid0(SALU_CYCLE_1) | instskip(SKIP_1) | instid1(SALU_CYCLE_1)
	s_cmp_lg_u32 s0, 0
	s_add_co_ci_u32 s69, s69, s73
	s_mul_u64 s[70:71], s[70:71], s[68:69]
	s_delay_alu instid0(SALU_CYCLE_1)
	s_mul_hi_u32 s73, s68, s71
	s_mul_i32 s72, s68, s71
	s_mul_hi_u32 s2, s68, s70
	s_mul_i32 s63, s69, s70
	s_add_nc_u64 s[72:73], s[2:3], s[72:73]
	s_mul_hi_u32 s0, s69, s70
	s_mul_hi_u32 s65, s69, s71
	s_add_co_u32 s2, s72, s63
	s_add_co_ci_u32 s2, s73, s0
	s_mul_i32 s70, s69, s71
	s_add_co_ci_u32 s71, s65, 0
	s_delay_alu instid0(SALU_CYCLE_1) | instskip(NEXT) | instid1(SALU_CYCLE_1)
	s_add_nc_u64 s[70:71], s[2:3], s[70:71]
	s_add_co_u32 s0, s68, s70
	s_cselect_b32 s2, -1, 0
	v_nop
	v_mul_hi_u32 v20, v10, s0
	s_cmp_lg_u32 s2, 0
	s_add_co_ci_u32 s2, s69, s71
	s_and_b64 s[68:69], s[0:1], s[56:57]
	v_mul_u64_e32 v[14:15], s[2:3], v[10:11]
	v_mul_u64_e32 v[6:7], s[68:69], v[16:17]
	;; [unrolled: 1-line block ×3, first 2 shown]
	s_delay_alu instid0(VALU_DEP_3) | instskip(NEXT) | instid1(VALU_DEP_1)
	v_add_nc_u64_e32 v[14:15], v[20:21], v[14:15]
	v_add_co_u32 v3, vcc_lo, v14, v6
	s_delay_alu instid0(VALU_DEP_2) | instskip(NEXT) | instid1(VALU_DEP_4)
	v_add_co_ci_u32_e32 v20, vcc_lo, v15, v7, vcc_lo
	v_add_co_ci_u32_e32 v19, vcc_lo, 0, v19, vcc_lo
	s_delay_alu instid0(VALU_DEP_1) | instskip(NEXT) | instid1(VALU_DEP_1)
	v_add_nc_u64_e32 v[6:7], v[20:21], v[18:19]
	v_mul_u64_e32 v[14:15], s[66:67], v[6:7]
	s_delay_alu instid0(VALU_DEP_1) | instskip(NEXT) | instid1(VALU_DEP_2)
	v_sub_nc_u32_e32 v3, v16, v15
	v_sub_co_u32 v5, vcc_lo, v10, v14
	s_delay_alu instid0(VALU_DEP_1) | instskip(NEXT) | instid1(VALU_DEP_3)
	v_sub_co_ci_u32_e64 v16, null, v16, v15, vcc_lo
	v_subrev_co_ci_u32_e64 v3, null, s67, v3, vcc_lo
	s_delay_alu instid0(VALU_DEP_3) | instskip(SKIP_1) | instid1(VALU_DEP_3)
	v_sub_co_u32 v10, s0, v5, s66
	v_add_nc_u64_e32 v[14:15], 1, v[6:7]
	v_subrev_co_ci_u32_e64 v3, null, 0, v3, s0
	s_delay_alu instid0(VALU_DEP_3) | instskip(SKIP_1) | instid1(VALU_DEP_3)
	v_cmp_le_u32_e32 vcc_lo, s66, v10
	v_cndmask_b32_e64 v10, 0, -1, vcc_lo
	v_cmp_le_u32_e32 vcc_lo, s67, v3
	v_cndmask_b32_e64 v11, 0, -1, vcc_lo
	;; [unrolled: 2-line block ×4, first 2 shown]
	v_cmp_eq_u32_e32 vcc_lo, s67, v3
	v_cndmask_b32_e32 v3, v11, v10, vcc_lo
	v_cmp_eq_u32_e32 vcc_lo, s67, v16
	v_add_nc_u64_e32 v[10:11], 2, v[6:7]
	v_cndmask_b32_e32 v5, v17, v5, vcc_lo
	s_delay_alu instid0(VALU_DEP_4) | instskip(NEXT) | instid1(VALU_DEP_3)
	v_cmp_ne_u32_e32 vcc_lo, 0, v3
	v_cndmask_b32_e32 v3, v15, v11, vcc_lo
	s_delay_alu instid0(VALU_DEP_3) | instskip(NEXT) | instid1(VALU_DEP_1)
	v_cmp_ne_u32_e64 s0, 0, v5
	v_dual_cndmask_b32 v5, v14, v10, vcc_lo :: v_dual_cndmask_b32 v3, v7, v3, s0
	s_delay_alu instid0(VALU_DEP_1) | instskip(NEXT) | instid1(VALU_DEP_2)
	v_dual_cndmask_b32 v6, v6, v5, s0 :: v_dual_mov_b32 v5, v4
	v_xor_b32_e32 v7, v3, v4
	s_delay_alu instid0(VALU_DEP_2) | instskip(NEXT) | instid1(VALU_DEP_1)
	v_xor_b32_e32 v6, v6, v4
	v_sub_nc_u64_e32 v[6:7], v[6:7], v[4:5]
.LBB51_57:                              ;   in Loop: Header=BB51_3 Depth=1
	s_and_not1_saveexec_b32 s0, s33
	s_cbranch_execz .LBB51_2
; %bb.58:                               ;   in Loop: Header=BB51_3 Depth=1
	v_cvt_f32_u32_e32 v3, s44
	s_sub_co_i32 s2, 0, s44
	v_mov_b32_e32 v7, v2
	s_delay_alu instid0(VALU_DEP_2) | instskip(SKIP_1) | instid1(TRANS32_DEP_1)
	v_rcp_iflag_f32_e32 v3, v3
	v_nop
	v_mul_f32_e32 v3, 0x4f7ffffe, v3
	s_delay_alu instid0(VALU_DEP_1) | instskip(NEXT) | instid1(VALU_DEP_1)
	v_cvt_u32_f32_e32 v3, v3
	v_mul_lo_u32 v4, s2, v3
	s_delay_alu instid0(VALU_DEP_1) | instskip(NEXT) | instid1(VALU_DEP_1)
	v_mul_hi_u32 v4, v3, v4
	v_add_nc_u32_e32 v3, v3, v4
	s_delay_alu instid0(VALU_DEP_1) | instskip(NEXT) | instid1(VALU_DEP_1)
	v_mul_hi_u32 v3, v0, v3
	v_mul_lo_u32 v4, v3, s44
	s_delay_alu instid0(VALU_DEP_1) | instskip(NEXT) | instid1(VALU_DEP_1)
	v_dual_add_nc_u32 v5, 1, v3 :: v_dual_sub_nc_u32 v4, v0, v4
	v_subrev_nc_u32_e32 v6, s44, v4
	v_cmp_le_u32_e32 vcc_lo, s44, v4
	s_delay_alu instid0(VALU_DEP_2) | instskip(NEXT) | instid1(VALU_DEP_1)
	v_dual_cndmask_b32 v4, v4, v6 :: v_dual_cndmask_b32 v3, v3, v5
	v_cmp_le_u32_e32 vcc_lo, s44, v4
	s_delay_alu instid0(VALU_DEP_2) | instskip(NEXT) | instid1(VALU_DEP_1)
	v_add_nc_u32_e32 v5, 1, v3
	v_cndmask_b32_e32 v6, v3, v5, vcc_lo
	s_branch .LBB51_2
.LBB51_59:
	s_endpgm
	.section	.rodata,"a",@progbits
	.p2align	6, 0x0
	.amdhsa_kernel _ZN2at6native12_GLOBAL__N_16kernel17gru_cell_backwardIddlLi2EEEvNS_4cuda6detail10TensorInfoIT_T1_EES9_S9_S9_S9_S8_S8_
		.amdhsa_group_segment_fixed_size 0
		.amdhsa_private_segment_fixed_size 0
		.amdhsa_kernarg_size 2352
		.amdhsa_user_sgpr_count 2
		.amdhsa_user_sgpr_dispatch_ptr 0
		.amdhsa_user_sgpr_queue_ptr 0
		.amdhsa_user_sgpr_kernarg_segment_ptr 1
		.amdhsa_user_sgpr_dispatch_id 0
		.amdhsa_user_sgpr_kernarg_preload_length 0
		.amdhsa_user_sgpr_kernarg_preload_offset 0
		.amdhsa_user_sgpr_private_segment_size 0
		.amdhsa_wavefront_size32 1
		.amdhsa_uses_dynamic_stack 0
		.amdhsa_enable_private_segment 0
		.amdhsa_system_sgpr_workgroup_id_x 1
		.amdhsa_system_sgpr_workgroup_id_y 0
		.amdhsa_system_sgpr_workgroup_id_z 0
		.amdhsa_system_sgpr_workgroup_info 0
		.amdhsa_system_vgpr_workitem_id 0
		.amdhsa_next_free_vgpr 50
		.amdhsa_next_free_sgpr 76
		.amdhsa_named_barrier_count 0
		.amdhsa_reserve_vcc 1
		.amdhsa_float_round_mode_32 0
		.amdhsa_float_round_mode_16_64 0
		.amdhsa_float_denorm_mode_32 3
		.amdhsa_float_denorm_mode_16_64 3
		.amdhsa_fp16_overflow 0
		.amdhsa_memory_ordered 1
		.amdhsa_forward_progress 1
		.amdhsa_inst_pref_size 92
		.amdhsa_round_robin_scheduling 0
		.amdhsa_exception_fp_ieee_invalid_op 0
		.amdhsa_exception_fp_denorm_src 0
		.amdhsa_exception_fp_ieee_div_zero 0
		.amdhsa_exception_fp_ieee_overflow 0
		.amdhsa_exception_fp_ieee_underflow 0
		.amdhsa_exception_fp_ieee_inexact 0
		.amdhsa_exception_int_div_zero 0
	.end_amdhsa_kernel
	.section	.text._ZN2at6native12_GLOBAL__N_16kernel17gru_cell_backwardIddlLi2EEEvNS_4cuda6detail10TensorInfoIT_T1_EES9_S9_S9_S9_S8_S8_,"axG",@progbits,_ZN2at6native12_GLOBAL__N_16kernel17gru_cell_backwardIddlLi2EEEvNS_4cuda6detail10TensorInfoIT_T1_EES9_S9_S9_S9_S8_S8_,comdat
.Lfunc_end51:
	.size	_ZN2at6native12_GLOBAL__N_16kernel17gru_cell_backwardIddlLi2EEEvNS_4cuda6detail10TensorInfoIT_T1_EES9_S9_S9_S9_S8_S8_, .Lfunc_end51-_ZN2at6native12_GLOBAL__N_16kernel17gru_cell_backwardIddlLi2EEEvNS_4cuda6detail10TensorInfoIT_T1_EES9_S9_S9_S9_S8_S8_
                                        ; -- End function
	.set _ZN2at6native12_GLOBAL__N_16kernel17gru_cell_backwardIddlLi2EEEvNS_4cuda6detail10TensorInfoIT_T1_EES9_S9_S9_S9_S8_S8_.num_vgpr, 50
	.set _ZN2at6native12_GLOBAL__N_16kernel17gru_cell_backwardIddlLi2EEEvNS_4cuda6detail10TensorInfoIT_T1_EES9_S9_S9_S9_S8_S8_.num_agpr, 0
	.set _ZN2at6native12_GLOBAL__N_16kernel17gru_cell_backwardIddlLi2EEEvNS_4cuda6detail10TensorInfoIT_T1_EES9_S9_S9_S9_S8_S8_.numbered_sgpr, 76
	.set _ZN2at6native12_GLOBAL__N_16kernel17gru_cell_backwardIddlLi2EEEvNS_4cuda6detail10TensorInfoIT_T1_EES9_S9_S9_S9_S8_S8_.num_named_barrier, 0
	.set _ZN2at6native12_GLOBAL__N_16kernel17gru_cell_backwardIddlLi2EEEvNS_4cuda6detail10TensorInfoIT_T1_EES9_S9_S9_S9_S8_S8_.private_seg_size, 0
	.set _ZN2at6native12_GLOBAL__N_16kernel17gru_cell_backwardIddlLi2EEEvNS_4cuda6detail10TensorInfoIT_T1_EES9_S9_S9_S9_S8_S8_.uses_vcc, 1
	.set _ZN2at6native12_GLOBAL__N_16kernel17gru_cell_backwardIddlLi2EEEvNS_4cuda6detail10TensorInfoIT_T1_EES9_S9_S9_S9_S8_S8_.uses_flat_scratch, 0
	.set _ZN2at6native12_GLOBAL__N_16kernel17gru_cell_backwardIddlLi2EEEvNS_4cuda6detail10TensorInfoIT_T1_EES9_S9_S9_S9_S8_S8_.has_dyn_sized_stack, 0
	.set _ZN2at6native12_GLOBAL__N_16kernel17gru_cell_backwardIddlLi2EEEvNS_4cuda6detail10TensorInfoIT_T1_EES9_S9_S9_S9_S8_S8_.has_recursion, 0
	.set _ZN2at6native12_GLOBAL__N_16kernel17gru_cell_backwardIddlLi2EEEvNS_4cuda6detail10TensorInfoIT_T1_EES9_S9_S9_S9_S8_S8_.has_indirect_call, 0
	.section	.AMDGPU.csdata,"",@progbits
; Kernel info:
; codeLenInByte = 11716
; TotalNumSgprs: 78
; NumVgprs: 50
; ScratchSize: 0
; MemoryBound: 0
; FloatMode: 240
; IeeeMode: 1
; LDSByteSize: 0 bytes/workgroup (compile time only)
; SGPRBlocks: 0
; VGPRBlocks: 3
; NumSGPRsForWavesPerEU: 78
; NumVGPRsForWavesPerEU: 50
; NamedBarCnt: 0
; Occupancy: 16
; WaveLimiterHint : 1
; COMPUTE_PGM_RSRC2:SCRATCH_EN: 0
; COMPUTE_PGM_RSRC2:USER_SGPR: 2
; COMPUTE_PGM_RSRC2:TRAP_HANDLER: 0
; COMPUTE_PGM_RSRC2:TGID_X_EN: 1
; COMPUTE_PGM_RSRC2:TGID_Y_EN: 0
; COMPUTE_PGM_RSRC2:TGID_Z_EN: 0
; COMPUTE_PGM_RSRC2:TIDIG_COMP_CNT: 0
	.section	.text._ZN2at6native12_GLOBAL__N_16kernel17gru_cell_backwardIffiLi1EEEvNS_4cuda6detail10TensorInfoIT_T1_EES9_S9_S9_S9_S8_S8_,"axG",@progbits,_ZN2at6native12_GLOBAL__N_16kernel17gru_cell_backwardIffiLi1EEEvNS_4cuda6detail10TensorInfoIT_T1_EES9_S9_S9_S9_S8_S8_,comdat
	.globl	_ZN2at6native12_GLOBAL__N_16kernel17gru_cell_backwardIffiLi1EEEvNS_4cuda6detail10TensorInfoIT_T1_EES9_S9_S9_S9_S8_S8_ ; -- Begin function _ZN2at6native12_GLOBAL__N_16kernel17gru_cell_backwardIffiLi1EEEvNS_4cuda6detail10TensorInfoIT_T1_EES9_S9_S9_S9_S8_S8_
	.p2align	8
	.type	_ZN2at6native12_GLOBAL__N_16kernel17gru_cell_backwardIffiLi1EEEvNS_4cuda6detail10TensorInfoIT_T1_EES9_S9_S9_S9_S8_S8_,@function
_ZN2at6native12_GLOBAL__N_16kernel17gru_cell_backwardIffiLi1EEEvNS_4cuda6detail10TensorInfoIT_T1_EES9_S9_S9_S9_S8_S8_: ; @_ZN2at6native12_GLOBAL__N_16kernel17gru_cell_backwardIffiLi1EEEvNS_4cuda6detail10TensorInfoIT_T1_EES9_S9_S9_S9_S8_S8_
; %bb.0:
	s_clause 0x1
	s_load_b32 s4, s[0:1], 0x44c
	s_load_b64 s[2:3], s[0:1], 0x438
	s_bfe_u32 s5, ttmp6, 0x4000c
	s_and_b32 s6, ttmp6, 15
	s_add_co_i32 s5, s5, 1
	s_getreg_b32 s7, hwreg(HW_REG_IB_STS2, 6, 4)
	s_mul_i32 s5, ttmp9, s5
	s_delay_alu instid0(SALU_CYCLE_1)
	s_add_co_i32 s6, s6, s5
	s_wait_kmcnt 0x0
	s_and_b32 s4, s4, 0xffff
	s_cmp_eq_u32 s7, 0
	s_cselect_b32 s5, ttmp9, s6
	s_mov_b32 s6, exec_lo
	v_mad_u32 v2, s5, s4, v0
	s_mov_b32 s5, 0
	s_delay_alu instid0(VALU_DEP_1)
	v_cmpx_gt_i32_e64 s3, v2
	s_cbranch_execz .LBB52_3
; %bb.1:
	s_abs_i32 s16, s2
	s_clause 0x1
	s_load_b32 s22, s[0:1], 0x21c
	s_load_b32 s23, s[0:1], 0x2f4
	s_cvt_f32_u32 s12, s16
	s_add_nc_u64 s[10:11], s[0:1], 0x440
	s_clause 0x1
	s_load_b64 s[6:7], s[0:1], 0x1b0
	s_load_b64 s[8:9], s[0:1], 0x288
	s_load_b32 s21, s[10:11], 0x0
	s_sub_co_i32 s25, 0, s16
	v_rcp_iflag_f32_e32 v0, s12
	s_wait_xcnt 0x0
	s_clause 0x5
	s_load_b64 s[10:11], s[0:1], 0x0
	s_load_b32 s17, s[0:1], 0x6c
	s_load_b64 s[12:13], s[0:1], 0xd8
	s_load_b32 s18, s[0:1], 0x144
	;; [unrolled: 2-line block ×3, first 2 shown]
	v_mov_b32_e32 v1, 0
	s_wait_xcnt 0x0
	s_ashr_i32 s0, s2, 31
	s_lshl_b32 s1, s2, 2
	v_readfirstlane_b32 s20, v0
	s_mul_f32 s24, s20, 0x4f7ffffe
	s_lshl_b32 s20, s2, 1
	s_wait_kmcnt 0x0
	v_mul_lo_u32 v3, v2, s22
	v_mul_lo_u32 v4, v2, s23
	s_cvt_u32_f32 s24, s24
	s_mul_i32 s21, s21, s4
	s_delay_alu instid0(SALU_CYCLE_1) | instskip(NEXT) | instid1(SALU_CYCLE_1)
	s_mul_i32 s22, s21, s22
	s_mul_i32 s25, s25, s24
	;; [unrolled: 1-line block ×3, first 2 shown]
	s_mul_hi_u32 s4, s24, s25
	s_delay_alu instid0(SALU_CYCLE_1)
	s_add_co_i32 s4, s24, s4
	s_mov_b32 s24, s5
.LBB52_2:                               ; =>This Inner Loop Header: Depth=1
	v_dual_sub_nc_u32 v0, 0, v2 :: v_dual_ashrrev_i32 v5, 31, v2
	s_delay_alu instid0(VALU_DEP_1) | instskip(NEXT) | instid1(VALU_DEP_1)
	v_xor_b32_e32 v5, s0, v5
	v_dual_lshlrev_b32 v8, 2, v5 :: v_dual_max_i32 v0, v2, v0
	s_delay_alu instid0(VALU_DEP_1) | instskip(SKIP_2) | instid1(VALU_DEP_1)
	v_mul_u64_e32 v[6:7], s[4:5], v[0:1]
	global_load_b32 v6, v3, s[6:7] scale_offset
	v_mul_lo_u32 v9, v7, s16
	v_dual_add_nc_u32 v10, 1, v7 :: v_dual_sub_nc_u32 v0, v0, v9
	s_delay_alu instid0(VALU_DEP_1) | instskip(NEXT) | instid1(VALU_DEP_2)
	v_cmp_le_u32_e32 vcc_lo, s16, v0
	v_cndmask_b32_e32 v7, v7, v10, vcc_lo
	v_subrev_nc_u32_e32 v9, s16, v0
	s_delay_alu instid0(VALU_DEP_1) | instskip(NEXT) | instid1(VALU_DEP_1)
	v_dual_cndmask_b32 v0, v0, v9 :: v_dual_add_nc_u32 v9, 1, v7
	v_cmp_le_u32_e32 vcc_lo, s16, v0
	s_delay_alu instid0(VALU_DEP_2) | instskip(NEXT) | instid1(VALU_DEP_1)
	v_cndmask_b32_e32 v0, v7, v9, vcc_lo
	v_xor_b32_e32 v0, v0, v5
	s_delay_alu instid0(VALU_DEP_1) | instskip(NEXT) | instid1(VALU_DEP_1)
	v_lshlrev_b32_e32 v7, 2, v0
	v_sub_nc_u32_e32 v7, v7, v8
	s_delay_alu instid0(VALU_DEP_1)
	v_or_b32_e32 v10, 1, v7
	v_or_b32_e32 v11, 2, v7
	v_dual_add_nc_u32 v7, 4, v7 :: v_dual_bitop2_b32 v12, 3, v7 bitop3:0x54
	v_dual_sub_nc_u32 v9, v0, v5 :: v_dual_lshlrev_b32 v5, 1, v5
	v_lshlrev_b32_e32 v0, 1, v0
	v_mad_u32 v10, s2, v10, v2
	v_mad_u32 v11, s2, v11, v2
	s_delay_alu instid0(VALU_DEP_4)
	v_mad_u32 v8, s1, v9, v2
	v_mad_u32 v7, s2, v7, v2
	v_sub_nc_u32_e32 v0, v0, v5
	v_mad_u32 v12, s2, v12, v2
	s_wait_xcnt 0x0
	v_add_nc_u32_e32 v3, s22, v3
	v_mad_u32 v5, s20, v9, v2
	v_mul_lo_u32 v10, v10, s19
	v_mul_lo_u32 v11, v11, s19
	;; [unrolled: 1-line block ×5, first 2 shown]
	s_clause 0x4
	global_load_b32 v13, v8, s[14:15] scale_offset
	global_load_b32 v14, v10, s[14:15] scale_offset
	;; [unrolled: 1-line block ×5, first 2 shown]
	s_wait_xcnt 0x0
	v_dual_add_nc_u32 v0, 2, v0 :: v_dual_bitop2_b32 v7, 1, v0 bitop3:0x54
	v_mul_lo_u32 v8, v5, s17
	v_mul_lo_u32 v5, v5, s18
	s_delay_alu instid0(VALU_DEP_3) | instskip(NEXT) | instid1(VALU_DEP_4)
	v_mad_u32 v7, s2, v7, v2
	v_mad_u32 v0, s2, v0, v2
	v_add_nc_u32_e32 v2, s21, v2
	s_delay_alu instid0(VALU_DEP_1) | instskip(NEXT) | instid1(VALU_DEP_4)
	v_cmp_le_i32_e32 vcc_lo, s3, v2
	v_mul_lo_u32 v9, v7, s17
	s_delay_alu instid0(VALU_DEP_4)
	v_mul_lo_u32 v10, v0, s17
	v_mul_lo_u32 v7, v7, s18
	;; [unrolled: 1-line block ×3, first 2 shown]
	s_or_b32 s24, vcc_lo, s24
	s_wait_loadcnt 0x3
	v_dual_sub_f32 v11, 1.0, v13 :: v_dual_sub_f32 v12, 1.0, v14
	s_wait_loadcnt 0x1
	v_dual_mul_f32 v18, v14, v6 :: v_dual_sub_f32 v16, v16, v15
	v_fma_f32 v15, -v15, v15, 1.0
	s_delay_alu instid0(VALU_DEP_3) | instskip(NEXT) | instid1(VALU_DEP_3)
	v_mul_f32_e32 v19, v12, v6
	v_mul_f32_e32 v6, v16, v6
	s_delay_alu instid0(VALU_DEP_1) | instskip(SKIP_1) | instid1(VALU_DEP_1)
	v_dual_mul_f32 v6, v12, v6 :: v_dual_mul_f32 v15, v15, v19
	s_wait_loadcnt 0x0
	v_dual_mul_f32 v6, v14, v6 :: v_dual_mul_f32 v12, v17, v15
	s_delay_alu instid0(VALU_DEP_1) | instskip(NEXT) | instid1(VALU_DEP_1)
	v_dual_mul_f32 v14, v13, v15 :: v_dual_mul_f32 v11, v11, v12
	v_mul_f32_e32 v11, v13, v11
	s_clause 0x2
	global_store_b32 v8, v11, s[10:11] scale_offset
	global_store_b32 v9, v6, s[10:11] scale_offset
	;; [unrolled: 1-line block ×3, first 2 shown]
	s_clause 0x2
	global_store_b32 v5, v11, s[12:13] scale_offset
	global_store_b32 v7, v6, s[12:13] scale_offset
	;; [unrolled: 1-line block ×4, first 2 shown]
	s_wait_xcnt 0x0
	v_add_nc_u32_e32 v4, s23, v4
	s_and_not1_b32 exec_lo, exec_lo, s24
	s_cbranch_execnz .LBB52_2
.LBB52_3:
	s_endpgm
	.section	.rodata,"a",@progbits
	.p2align	6, 0x0
	.amdhsa_kernel _ZN2at6native12_GLOBAL__N_16kernel17gru_cell_backwardIffiLi1EEEvNS_4cuda6detail10TensorInfoIT_T1_EES9_S9_S9_S9_S8_S8_
		.amdhsa_group_segment_fixed_size 0
		.amdhsa_private_segment_fixed_size 0
		.amdhsa_kernarg_size 1344
		.amdhsa_user_sgpr_count 2
		.amdhsa_user_sgpr_dispatch_ptr 0
		.amdhsa_user_sgpr_queue_ptr 0
		.amdhsa_user_sgpr_kernarg_segment_ptr 1
		.amdhsa_user_sgpr_dispatch_id 0
		.amdhsa_user_sgpr_kernarg_preload_length 0
		.amdhsa_user_sgpr_kernarg_preload_offset 0
		.amdhsa_user_sgpr_private_segment_size 0
		.amdhsa_wavefront_size32 1
		.amdhsa_uses_dynamic_stack 0
		.amdhsa_enable_private_segment 0
		.amdhsa_system_sgpr_workgroup_id_x 1
		.amdhsa_system_sgpr_workgroup_id_y 0
		.amdhsa_system_sgpr_workgroup_id_z 0
		.amdhsa_system_sgpr_workgroup_info 0
		.amdhsa_system_vgpr_workitem_id 0
		.amdhsa_next_free_vgpr 20
		.amdhsa_next_free_sgpr 26
		.amdhsa_named_barrier_count 0
		.amdhsa_reserve_vcc 1
		.amdhsa_float_round_mode_32 0
		.amdhsa_float_round_mode_16_64 0
		.amdhsa_float_denorm_mode_32 3
		.amdhsa_float_denorm_mode_16_64 3
		.amdhsa_fp16_overflow 0
		.amdhsa_memory_ordered 1
		.amdhsa_forward_progress 1
		.amdhsa_inst_pref_size 8
		.amdhsa_round_robin_scheduling 0
		.amdhsa_exception_fp_ieee_invalid_op 0
		.amdhsa_exception_fp_denorm_src 0
		.amdhsa_exception_fp_ieee_div_zero 0
		.amdhsa_exception_fp_ieee_overflow 0
		.amdhsa_exception_fp_ieee_underflow 0
		.amdhsa_exception_fp_ieee_inexact 0
		.amdhsa_exception_int_div_zero 0
	.end_amdhsa_kernel
	.section	.text._ZN2at6native12_GLOBAL__N_16kernel17gru_cell_backwardIffiLi1EEEvNS_4cuda6detail10TensorInfoIT_T1_EES9_S9_S9_S9_S8_S8_,"axG",@progbits,_ZN2at6native12_GLOBAL__N_16kernel17gru_cell_backwardIffiLi1EEEvNS_4cuda6detail10TensorInfoIT_T1_EES9_S9_S9_S9_S8_S8_,comdat
.Lfunc_end52:
	.size	_ZN2at6native12_GLOBAL__N_16kernel17gru_cell_backwardIffiLi1EEEvNS_4cuda6detail10TensorInfoIT_T1_EES9_S9_S9_S9_S8_S8_, .Lfunc_end52-_ZN2at6native12_GLOBAL__N_16kernel17gru_cell_backwardIffiLi1EEEvNS_4cuda6detail10TensorInfoIT_T1_EES9_S9_S9_S9_S8_S8_
                                        ; -- End function
	.set _ZN2at6native12_GLOBAL__N_16kernel17gru_cell_backwardIffiLi1EEEvNS_4cuda6detail10TensorInfoIT_T1_EES9_S9_S9_S9_S8_S8_.num_vgpr, 20
	.set _ZN2at6native12_GLOBAL__N_16kernel17gru_cell_backwardIffiLi1EEEvNS_4cuda6detail10TensorInfoIT_T1_EES9_S9_S9_S9_S8_S8_.num_agpr, 0
	.set _ZN2at6native12_GLOBAL__N_16kernel17gru_cell_backwardIffiLi1EEEvNS_4cuda6detail10TensorInfoIT_T1_EES9_S9_S9_S9_S8_S8_.numbered_sgpr, 26
	.set _ZN2at6native12_GLOBAL__N_16kernel17gru_cell_backwardIffiLi1EEEvNS_4cuda6detail10TensorInfoIT_T1_EES9_S9_S9_S9_S8_S8_.num_named_barrier, 0
	.set _ZN2at6native12_GLOBAL__N_16kernel17gru_cell_backwardIffiLi1EEEvNS_4cuda6detail10TensorInfoIT_T1_EES9_S9_S9_S9_S8_S8_.private_seg_size, 0
	.set _ZN2at6native12_GLOBAL__N_16kernel17gru_cell_backwardIffiLi1EEEvNS_4cuda6detail10TensorInfoIT_T1_EES9_S9_S9_S9_S8_S8_.uses_vcc, 1
	.set _ZN2at6native12_GLOBAL__N_16kernel17gru_cell_backwardIffiLi1EEEvNS_4cuda6detail10TensorInfoIT_T1_EES9_S9_S9_S9_S8_S8_.uses_flat_scratch, 0
	.set _ZN2at6native12_GLOBAL__N_16kernel17gru_cell_backwardIffiLi1EEEvNS_4cuda6detail10TensorInfoIT_T1_EES9_S9_S9_S9_S8_S8_.has_dyn_sized_stack, 0
	.set _ZN2at6native12_GLOBAL__N_16kernel17gru_cell_backwardIffiLi1EEEvNS_4cuda6detail10TensorInfoIT_T1_EES9_S9_S9_S9_S8_S8_.has_recursion, 0
	.set _ZN2at6native12_GLOBAL__N_16kernel17gru_cell_backwardIffiLi1EEEvNS_4cuda6detail10TensorInfoIT_T1_EES9_S9_S9_S9_S8_S8_.has_indirect_call, 0
	.section	.AMDGPU.csdata,"",@progbits
; Kernel info:
; codeLenInByte = 968
; TotalNumSgprs: 28
; NumVgprs: 20
; ScratchSize: 0
; MemoryBound: 0
; FloatMode: 240
; IeeeMode: 1
; LDSByteSize: 0 bytes/workgroup (compile time only)
; SGPRBlocks: 0
; VGPRBlocks: 1
; NumSGPRsForWavesPerEU: 28
; NumVGPRsForWavesPerEU: 20
; NamedBarCnt: 0
; Occupancy: 16
; WaveLimiterHint : 1
; COMPUTE_PGM_RSRC2:SCRATCH_EN: 0
; COMPUTE_PGM_RSRC2:USER_SGPR: 2
; COMPUTE_PGM_RSRC2:TRAP_HANDLER: 0
; COMPUTE_PGM_RSRC2:TGID_X_EN: 1
; COMPUTE_PGM_RSRC2:TGID_Y_EN: 0
; COMPUTE_PGM_RSRC2:TGID_Z_EN: 0
; COMPUTE_PGM_RSRC2:TIDIG_COMP_CNT: 0
	.section	.text._ZN2at6native12_GLOBAL__N_16kernel17gru_cell_backwardIffiLi2EEEvNS_4cuda6detail10TensorInfoIT_T1_EES9_S9_S9_S9_S8_S8_,"axG",@progbits,_ZN2at6native12_GLOBAL__N_16kernel17gru_cell_backwardIffiLi2EEEvNS_4cuda6detail10TensorInfoIT_T1_EES9_S9_S9_S9_S8_S8_,comdat
	.globl	_ZN2at6native12_GLOBAL__N_16kernel17gru_cell_backwardIffiLi2EEEvNS_4cuda6detail10TensorInfoIT_T1_EES9_S9_S9_S9_S8_S8_ ; -- Begin function _ZN2at6native12_GLOBAL__N_16kernel17gru_cell_backwardIffiLi2EEEvNS_4cuda6detail10TensorInfoIT_T1_EES9_S9_S9_S9_S8_S8_
	.p2align	8
	.type	_ZN2at6native12_GLOBAL__N_16kernel17gru_cell_backwardIffiLi2EEEvNS_4cuda6detail10TensorInfoIT_T1_EES9_S9_S9_S9_S8_S8_,@function
_ZN2at6native12_GLOBAL__N_16kernel17gru_cell_backwardIffiLi2EEEvNS_4cuda6detail10TensorInfoIT_T1_EES9_S9_S9_S9_S8_S8_: ; @_ZN2at6native12_GLOBAL__N_16kernel17gru_cell_backwardIffiLi2EEEvNS_4cuda6detail10TensorInfoIT_T1_EES9_S9_S9_S9_S8_S8_
; %bb.0:
	s_clause 0x1
	s_load_b32 s2, s[0:1], 0x44c
	s_load_b64 s[4:5], s[0:1], 0x438
	s_bfe_u32 s3, ttmp6, 0x4000c
	s_and_b32 s6, ttmp6, 15
	s_add_co_i32 s3, s3, 1
	s_getreg_b32 s7, hwreg(HW_REG_IB_STS2, 6, 4)
	s_mul_i32 s3, ttmp9, s3
	s_delay_alu instid0(SALU_CYCLE_1)
	s_add_co_i32 s6, s6, s3
	s_wait_kmcnt 0x0
	s_and_b32 s2, s2, 0xffff
	s_cmp_eq_u32 s7, 0
	s_mov_b32 s7, 0
	s_cselect_b32 s3, ttmp9, s6
	s_delay_alu instid0(SALU_CYCLE_1) | instskip(SKIP_1) | instid1(VALU_DEP_1)
	v_mad_u32 v2, s3, s2, v0
	s_mov_b32 s3, exec_lo
	v_cmpx_gt_i32_e64 s5, v2
	s_cbranch_execz .LBB53_3
; %bb.1:
	s_clause 0x4
	s_load_b32 s3, s[0:1], 0x36c
	s_load_b32 s40, s[0:1], 0xe4
	s_load_b64 s[8:9], s[0:1], 0x144
	s_load_b64 s[10:11], s[0:1], 0x1b0
	s_load_b32 s56, s[0:1], 0x1bc
	s_abs_i32 s33, s4
	s_add_nc_u64 s[18:19], s[0:1], 0x440
	s_cvt_f32_u32 s6, s33
	s_clause 0x3
	s_load_b64 s[12:13], s[0:1], 0x0
	s_load_b32 s41, s[0:1], 0xc
	s_load_b64 s[14:15], s[0:1], 0x6c
	s_load_b64 s[16:17], s[0:1], 0xd8
	s_load_b32 s48, s[18:19], 0x0
	s_wait_xcnt 0x0
	s_clause 0x5
	s_load_b64 s[18:19], s[0:1], 0x21c
	s_load_b64 s[20:21], s[0:1], 0x288
	s_load_b32 s57, s[0:1], 0x294
	s_load_b64 s[22:23], s[0:1], 0x2f4
	s_load_b64 s[24:25], s[0:1], 0x360
	;; [unrolled: 1-line block ×3, first 2 shown]
	s_ashr_i32 s43, s4, 31
	v_rcp_iflag_f32_e32 v0, s6
	s_sub_co_i32 s6, 0, s33
	s_mov_b32 s29, s7
	s_mov_b32 s35, s7
	;; [unrolled: 1-line block ×3, first 2 shown]
	s_lshl_b32 s54, s4, 2
	s_lshl_b32 s55, s4, 1
	s_wait_xcnt 0x0
	v_nop
	v_readfirstlane_b32 s0, v0
	s_mov_b32 s58, s7
	s_wait_kmcnt 0x0
	s_abs_i32 s47, s40
	s_ashr_i32 s52, s40, 31
	s_abs_i32 s42, s3
	s_abs_i32 s45, s56
	s_cvt_f32_u32 s1, s42
	s_mul_f32 s0, s0, 0x4f7ffffe
	s_abs_i32 s46, s41
	s_mul_i32 s48, s48, s2
	v_rcp_iflag_f32_e32 v0, s1
	s_cvt_f32_u32 s1, s45
	s_cvt_u32_f32 s0, s0
	s_cvt_f32_u32 s2, s46
	s_abs_i32 s50, s57
	s_sub_co_i32 s31, 0, s46
	s_mul_i32 s6, s6, s0
	v_nop
	v_readfirstlane_b32 s28, v0
	v_rcp_iflag_f32_e32 v0, s1
	v_rcp_iflag_f32_e32 v1, s2
	s_mul_hi_u32 s2, s0, s6
	s_sub_co_i32 s37, 0, s50
	s_mul_f32 s1, s28, 0x4f7ffffe
	s_sub_co_i32 s28, 0, s42
	s_add_co_i32 s6, s0, s2
	v_readfirstlane_b32 s30, v0
	s_cvt_u32_f32 s1, s1
	v_readfirstlane_b32 s0, v1
	s_ashr_i32 s44, s3, 31
	s_ashr_i32 s49, s56, 31
	s_mul_i32 s28, s28, s1
	s_mul_f32 s30, s30, 0x4f7ffffe
	s_mul_hi_u32 s2, s1, s28
	s_mul_f32 s0, s0, 0x4f7ffffe
	s_add_co_i32 s28, s1, s2
	s_cvt_f32_u32 s1, s47
	s_cvt_u32_f32 s2, s30
	s_sub_co_i32 s30, 0, s45
	s_cvt_u32_f32 s0, s0
	v_rcp_iflag_f32_e32 v0, s1
	s_cvt_f32_u32 s1, s50
	s_mul_i32 s30, s30, s2
	s_ashr_i32 s51, s41, 31
	s_mul_hi_u32 s30, s2, s30
	v_rcp_iflag_f32_e32 v1, s1
	s_add_co_i32 s30, s2, s30
	v_nop
	v_readfirstlane_b32 s1, v0
	s_mul_i32 s2, s31, s0
	s_mov_b32 s31, s7
	s_mul_hi_u32 s2, s0, s2
	s_ashr_i32 s53, s57, 31
	v_readfirstlane_b32 s36, v1
	s_mul_f32 s1, s1, 0x4f7ffffe
	s_add_co_i32 s34, s0, s2
	s_sub_co_i32 s2, 0, s47
	v_mov_b32_e32 v1, 0
	s_cvt_u32_f32 s0, s1
	s_mul_f32 s1, s36, 0x4f7ffffe
	s_sub_co_i32 s56, 0, s56
	s_sub_co_i32 s57, 0, s57
	s_mul_i32 s2, s2, s0
	s_cvt_u32_f32 s1, s1
	s_mul_hi_u32 s2, s0, s2
	s_delay_alu instid0(SALU_CYCLE_1) | instskip(NEXT) | instid1(SALU_CYCLE_1)
	s_add_co_i32 s36, s0, s2
	s_mul_i32 s0, s37, s1
	s_mov_b32 s37, s7
	s_mul_hi_u32 s0, s1, s0
	s_delay_alu instid0(SALU_CYCLE_1)
	s_add_co_i32 s38, s1, s0
.LBB53_2:                               ; =>This Inner Loop Header: Depth=1
	v_dual_ashrrev_i32 v3, 31, v2 :: v_dual_sub_nc_u32 v0, 0, v2
	v_dual_mov_b32 v13, v1 :: v_dual_mov_b32 v5, v1
	v_dual_mov_b32 v7, v1 :: v_dual_mov_b32 v9, v1
	s_delay_alu instid0(VALU_DEP_3) | instskip(NEXT) | instid1(VALU_DEP_1)
	v_dual_mov_b32 v11, v1 :: v_dual_max_i32 v0, v2, v0
	v_mul_u64_e32 v[14:15], s[6:7], v[0:1]
	v_mul_u64_e32 v[16:17], s[30:31], v[0:1]
	v_xor_b32_e32 v24, s43, v3
	s_delay_alu instid0(VALU_DEP_3) | instskip(NEXT) | instid1(VALU_DEP_3)
	v_mul_lo_u32 v8, v15, s33
	v_mul_lo_u32 v10, v17, s45
	v_dual_add_nc_u32 v12, 1, v15 :: v_dual_add_nc_u32 v14, 1, v17
	s_delay_alu instid0(VALU_DEP_4) | instskip(NEXT) | instid1(VALU_DEP_4)
	v_dual_lshlrev_b32 v6, 2, v24 :: v_dual_bitop2_b32 v4, s49, v3 bitop3:0x14
	v_dual_sub_nc_u32 v8, v0, v8 :: v_dual_bitop2_b32 v3, s53, v3 bitop3:0x14
	s_delay_alu instid0(VALU_DEP_1) | instskip(SKIP_3) | instid1(VALU_DEP_3)
	v_cmp_le_u32_e32 vcc_lo, s33, v8
	v_sub_nc_u32_e32 v10, v0, v10
	v_subrev_nc_u32_e32 v16, s33, v8
	v_cndmask_b32_e32 v12, v15, v12, vcc_lo
	v_cmp_le_u32_e64 s0, s45, v10
	v_subrev_nc_u32_e32 v15, s45, v10
	s_delay_alu instid0(VALU_DEP_4) | instskip(NEXT) | instid1(VALU_DEP_3)
	v_cndmask_b32_e32 v8, v8, v16, vcc_lo
	v_dual_add_nc_u32 v16, 1, v12 :: v_dual_cndmask_b32 v14, v17, v14, s0
	s_delay_alu instid0(VALU_DEP_3) | instskip(NEXT) | instid1(VALU_DEP_3)
	v_cndmask_b32_e64 v10, v10, v15, s0
	v_cmp_le_u32_e32 vcc_lo, s33, v8
	s_delay_alu instid0(VALU_DEP_3) | instskip(NEXT) | instid1(VALU_DEP_3)
	v_dual_cndmask_b32 v8, v12, v16 :: v_dual_add_nc_u32 v15, 1, v14
	v_cmp_le_u32_e32 vcc_lo, s45, v10
	s_delay_alu instid0(VALU_DEP_2) | instskip(NEXT) | instid1(VALU_DEP_1)
	v_dual_cndmask_b32 v10, v14, v15, vcc_lo :: v_dual_bitop2_b32 v25, v8, v24 bitop3:0x14
	v_dual_lshlrev_b32 v10, 2, v25 :: v_dual_bitop2_b32 v8, v10, v4 bitop3:0x14
	s_delay_alu instid0(VALU_DEP_1) | instskip(NEXT) | instid1(VALU_DEP_2)
	v_dual_sub_nc_u32 v26, v25, v24 :: v_dual_sub_nc_u32 v6, v10, v6
	v_sub_nc_u32_e32 v4, v8, v4
	s_delay_alu instid0(VALU_DEP_2) | instskip(NEXT) | instid1(VALU_DEP_3)
	v_mul_lo_u32 v27, s54, v26
	v_or_b32_e32 v10, 1, v6
	s_delay_alu instid0(VALU_DEP_3) | instskip(SKIP_2) | instid1(VALU_DEP_4)
	v_mad_u32 v8, s56, v4, v2
	v_or_b32_e32 v12, 2, v6
	v_dual_add_nc_u32 v6, 4, v6 :: v_dual_bitop2_b32 v14, 3, v6 bitop3:0x54
	v_mul_lo_u32 v28, s4, v10
	s_delay_alu instid0(VALU_DEP_3) | instskip(NEXT) | instid1(VALU_DEP_3)
	v_mul_lo_u32 v29, s4, v12
	v_mul_lo_u32 v31, s4, v6
	v_add_nc_u32_e32 v6, v2, v27
	v_mul_lo_u32 v30, s4, v14
	v_mul_lo_u32 v8, v8, s19
	s_delay_alu instid0(VALU_DEP_3) | instskip(NEXT) | instid1(VALU_DEP_1)
	v_dual_ashrrev_i32 v6, 31, v6 :: v_dual_add_nc_u32 v12, v2, v28
	v_dual_add_nc_u32 v14, v2, v29 :: v_dual_bitop2_b32 v32, s44, v6 bitop3:0x14
	v_add3_u32 v10, v6, v27, v2
	v_dual_add_nc_u32 v15, v2, v30 :: v_dual_add_nc_u32 v16, v2, v31
	v_mad_u32 v8, v4, s18, v8
	s_delay_alu instid0(VALU_DEP_3) | instskip(NEXT) | instid1(VALU_DEP_3)
	v_dual_ashrrev_i32 v6, 31, v12 :: v_dual_bitop2_b32 v4, v10, v6 bitop3:0x14
	v_dual_ashrrev_i32 v10, 31, v14 :: v_dual_ashrrev_i32 v12, 31, v15
	s_delay_alu instid0(VALU_DEP_4) | instskip(NEXT) | instid1(VALU_DEP_3)
	v_ashrrev_i32_e32 v16, 31, v16
	v_mul_u64_e32 v[14:15], s[28:29], v[4:5]
	s_delay_alu instid0(VALU_DEP_4) | instskip(NEXT) | instid1(VALU_DEP_4)
	v_xor_b32_e32 v5, s44, v6
	v_add3_u32 v17, v10, v29, v2
	v_add3_u32 v18, v12, v30, v2
	;; [unrolled: 1-line block ×3, first 2 shown]
	v_xor_b32_e32 v33, s44, v10
	v_xor_b32_e32 v34, s44, v12
	global_load_b32 v36, v8, s[10:11] scale_offset
	s_wait_xcnt 0x0
	v_xor_b32_e32 v8, v17, v10
	v_xor_b32_e32 v10, v18, v12
	;; [unrolled: 1-line block ×3, first 2 shown]
	v_add3_u32 v14, v6, v28, v2
	s_delay_alu instid0(VALU_DEP_3) | instskip(NEXT) | instid1(VALU_DEP_3)
	v_mul_u64_e32 v[20:21], s[28:29], v[10:11]
	v_mul_u64_e32 v[22:23], s[28:29], v[12:13]
	s_delay_alu instid0(VALU_DEP_2) | instskip(NEXT) | instid1(VALU_DEP_2)
	v_dual_add_nc_u32 v20, 1, v21 :: v_dual_bitop2_b32 v6, v14, v6 bitop3:0x14
	v_add_nc_u32_e32 v37, 1, v23
	v_mul_u64_e32 v[18:19], s[28:29], v[8:9]
	v_xor_b32_e32 v35, s44, v16
	s_delay_alu instid0(VALU_DEP_4) | instskip(SKIP_4) | instid1(VALU_DEP_4)
	v_mul_u64_e32 v[16:17], s[28:29], v[6:7]
	v_mul_lo_u32 v7, v15, s42
	v_add_nc_u32_e32 v9, 1, v15
	v_mul_lo_u32 v18, v21, s42
	v_mul_lo_u32 v22, v23, s42
	v_sub_nc_u32_e32 v4, v4, v7
	s_delay_alu instid0(VALU_DEP_1) | instskip(SKIP_1) | instid1(VALU_DEP_2)
	v_subrev_nc_u32_e32 v7, s42, v4
	v_cmp_le_u32_e32 vcc_lo, s42, v4
	v_cndmask_b32_e32 v4, v4, v7, vcc_lo
	v_mul_lo_u32 v14, v19, s42
	v_add_nc_u32_e32 v16, 1, v19
	v_mul_lo_u32 v11, v17, s42
	v_cndmask_b32_e32 v9, v15, v9, vcc_lo
	v_cmp_le_u32_e32 vcc_lo, s42, v4
	v_dual_add_nc_u32 v13, 1, v17 :: v_dual_sub_nc_u32 v8, v8, v14
	s_delay_alu instid0(VALU_DEP_3) | instskip(SKIP_1) | instid1(VALU_DEP_3)
	v_dual_sub_nc_u32 v6, v6, v11 :: v_dual_add_nc_u32 v7, 1, v9
	v_sub_nc_u32_e32 v10, v10, v18
	v_cmp_le_u32_e64 s0, s42, v8
	s_delay_alu instid0(VALU_DEP_3) | instskip(NEXT) | instid1(VALU_DEP_4)
	v_cndmask_b32_e32 v4, v9, v7, vcc_lo
	v_cmp_le_u32_e32 vcc_lo, s42, v6
	v_subrev_nc_u32_e32 v9, s42, v6
	s_delay_alu instid0(VALU_DEP_4)
	v_dual_sub_nc_u32 v11, v12, v22 :: v_dual_cndmask_b32 v12, v19, v16, s0
	v_cmp_le_u32_e64 s1, s42, v10
	v_cndmask_b32_e32 v7, v17, v13, vcc_lo
	v_subrev_nc_u32_e32 v13, s42, v8
	v_cndmask_b32_e32 v6, v6, v9, vcc_lo
	v_subrev_nc_u32_e32 v15, s42, v10
	v_cmp_le_u32_e64 s2, s42, v11
	v_dual_add_nc_u32 v9, 1, v7 :: v_dual_bitop2_b32 v4, v4, v32 bitop3:0x14
	v_dual_cndmask_b32 v8, v8, v13, s0 :: v_dual_add_nc_u32 v13, 1, v12
	v_cmp_le_u32_e32 vcc_lo, s42, v6
	s_delay_alu instid0(VALU_DEP_4) | instskip(SKIP_4) | instid1(VALU_DEP_4)
	v_dual_cndmask_b32 v14, v21, v20, s1 :: v_dual_cndmask_b32 v16, v23, v37, s2
	v_subrev_nc_u32_e32 v17, s42, v11
	v_dual_cndmask_b32 v10, v10, v15, s1 :: v_dual_sub_nc_u32 v4, v4, v32
	v_cndmask_b32_e32 v6, v7, v9, vcc_lo
	v_cmp_le_u32_e32 vcc_lo, s42, v8
	v_dual_add_nc_u32 v15, 1, v14 :: v_dual_cndmask_b32 v11, v11, v17, s2
	v_dual_add_nc_u32 v17, 1, v16 :: v_dual_cndmask_b32 v7, v12, v13, vcc_lo
	v_cmp_le_u32_e32 vcc_lo, s42, v10
	v_mul_lo_u32 v10, v4, s3
	s_delay_alu instid0(VALU_DEP_4) | instskip(SKIP_1) | instid1(VALU_DEP_2)
	v_cndmask_b32_e32 v8, v14, v15, vcc_lo
	v_cmp_le_u32_e32 vcc_lo, s42, v11
	v_xor_b32_e32 v8, v8, v34
	s_delay_alu instid0(VALU_DEP_4) | instskip(SKIP_1) | instid1(VALU_DEP_2)
	v_dual_cndmask_b32 v9, v16, v17 :: v_dual_sub_nc_u32 v10, v27, v10
	v_xor_b32_e32 v6, v6, v5
	v_xor_b32_e32 v9, v9, v35
	;; [unrolled: 1-line block ×3, first 2 shown]
	s_delay_alu instid0(VALU_DEP_3) | instskip(NEXT) | instid1(VALU_DEP_2)
	v_sub_nc_u32_e32 v5, v6, v5
	v_dual_sub_nc_u32 v6, v7, v33 :: v_dual_sub_nc_u32 v7, v8, v34
	s_delay_alu instid0(VALU_DEP_4) | instskip(NEXT) | instid1(VALU_DEP_3)
	v_sub_nc_u32_e32 v8, v9, v35
	v_mul_lo_u32 v9, v5, s3
	v_add_nc_u32_e32 v10, v2, v10
	s_delay_alu instid0(VALU_DEP_4) | instskip(SKIP_4) | instid1(VALU_DEP_4)
	v_mul_lo_u32 v11, v6, s3
	v_mul_lo_u32 v12, v7, s3
	v_mul_lo_u32 v13, v8, s3
	v_sub_nc_u32_e32 v9, v28, v9
	v_mul_lo_u32 v10, v10, s27
	v_dual_sub_nc_u32 v11, v29, v11 :: v_dual_sub_nc_u32 v12, v30, v12
	s_delay_alu instid0(VALU_DEP_4) | instskip(NEXT) | instid1(VALU_DEP_2)
	v_sub_nc_u32_e32 v13, v31, v13
	v_dual_add_nc_u32 v9, v2, v9 :: v_dual_add_nc_u32 v11, v2, v11
	s_delay_alu instid0(VALU_DEP_2) | instskip(NEXT) | instid1(VALU_DEP_2)
	v_dual_add_nc_u32 v12, v2, v12 :: v_dual_add_nc_u32 v13, v2, v13
	v_mul_lo_u32 v9, v9, s27
	s_delay_alu instid0(VALU_DEP_3) | instskip(NEXT) | instid1(VALU_DEP_3)
	v_mul_lo_u32 v11, v11, s27
	v_mul_lo_u32 v12, v12, s27
	s_delay_alu instid0(VALU_DEP_4)
	v_mul_lo_u32 v13, v13, s27
	v_mad_u32 v4, v4, s26, v10
	v_mad_u32 v5, v5, s26, v9
	v_mov_b32_e32 v9, v1
	v_mad_u32 v6, v6, s26, v11
	v_mad_u32 v7, v7, s26, v12
	;; [unrolled: 1-line block ×3, first 2 shown]
	s_clause 0x4
	global_load_b32 v22, v4, s[24:25] scale_offset
	global_load_b32 v23, v5, s[24:25] scale_offset
	;; [unrolled: 1-line block ×5, first 2 shown]
	v_mul_u64_e32 v[10:11], s[38:39], v[0:1]
	s_wait_xcnt 0x4
	v_lshlrev_b32_e32 v4, 1, v24
	v_mul_lo_u32 v24, s55, v26
	s_wait_xcnt 0x1
	v_dual_mov_b32 v5, v1 :: v_dual_mov_b32 v7, v1
	s_delay_alu instid0(VALU_DEP_4) | instskip(SKIP_1) | instid1(VALU_DEP_1)
	v_mul_lo_u32 v6, v11, s50
	s_wait_xcnt 0x0
	v_dual_add_nc_u32 v8, 1, v11 :: v_dual_sub_nc_u32 v0, v0, v6
	s_delay_alu instid0(VALU_DEP_1) | instskip(SKIP_1) | instid1(VALU_DEP_2)
	v_subrev_nc_u32_e32 v6, s50, v0
	v_cmp_le_u32_e32 vcc_lo, s50, v0
	v_dual_cndmask_b32 v8, v11, v8, vcc_lo :: v_dual_cndmask_b32 v0, v0, v6, vcc_lo
	s_delay_alu instid0(VALU_DEP_1) | instskip(NEXT) | instid1(VALU_DEP_2)
	v_add_nc_u32_e32 v6, 1, v8
	v_cmp_le_u32_e32 vcc_lo, s50, v0
	s_delay_alu instid0(VALU_DEP_2) | instskip(NEXT) | instid1(VALU_DEP_1)
	v_dual_cndmask_b32 v0, v8, v6, vcc_lo :: v_dual_lshlrev_b32 v6, 1, v25
	v_xor_b32_e32 v0, v0, v3
	s_delay_alu instid0(VALU_DEP_1) | instskip(NEXT) | instid1(VALU_DEP_1)
	v_dual_sub_nc_u32 v0, v0, v3 :: v_dual_sub_nc_u32 v3, v6, v4
	v_mad_u32 v4, s57, v0, v2
	s_delay_alu instid0(VALU_DEP_2) | instskip(NEXT) | instid1(VALU_DEP_1)
	v_dual_add_nc_u32 v3, 2, v3 :: v_dual_bitop2_b32 v6, 1, v3 bitop3:0x54
	v_mul_lo_u32 v25, s4, v6
	s_delay_alu instid0(VALU_DEP_2) | instskip(SKIP_2) | instid1(VALU_DEP_2)
	v_mul_lo_u32 v3, s4, v3
	v_add_nc_u32_e32 v6, v2, v24
	v_mul_lo_u32 v4, v4, s23
	v_dual_add_nc_u32 v10, v2, v25 :: v_dual_ashrrev_i32 v6, 31, v6
	s_delay_alu instid0(VALU_DEP_4) | instskip(NEXT) | instid1(VALU_DEP_3)
	v_add_nc_u32_e32 v11, v2, v3
	v_mad_u32 v0, v0, s22, v4
	s_delay_alu instid0(VALU_DEP_3) | instskip(SKIP_2) | instid1(VALU_DEP_3)
	v_add3_u32 v8, v6, v24, v2
	v_xor_b32_e32 v26, s51, v6
	v_xor_b32_e32 v30, s52, v6
	v_dual_ashrrev_i32 v8, 31, v11 :: v_dual_bitop2_b32 v4, v8, v6 bitop3:0x14
	v_ashrrev_i32_e32 v6, 31, v10
	s_delay_alu instid0(VALU_DEP_2) | instskip(NEXT) | instid1(VALU_DEP_3)
	v_mul_u64_e32 v[12:13], s[36:37], v[4:5]
	v_add3_u32 v15, v8, v3, v2
	v_xor_b32_e32 v31, s51, v8
	v_xor_b32_e32 v12, s52, v8
	v_add3_u32 v14, v6, v25, v2
	s_delay_alu instid0(VALU_DEP_4) | instskip(NEXT) | instid1(VALU_DEP_1)
	v_xor_b32_e32 v8, v15, v8
	v_mul_u64_e32 v[20:21], s[36:37], v[8:9]
	v_mul_u64_e32 v[16:17], s[34:35], v[8:9]
	v_add_nc_u32_e32 v16, 1, v13
	v_mul_u64_e32 v[10:11], s[34:35], v[4:5]
	v_xor_b32_e32 v10, s51, v6
	v_xor_b32_e32 v5, s52, v6
	v_dual_add_nc_u32 v38, 1, v21 :: v_dual_bitop2_b32 v6, v14, v6 bitop3:0x14
	s_delay_alu instid0(VALU_DEP_1)
	v_mul_u64_e32 v[14:15], s[34:35], v[6:7]
	v_mul_u64_e32 v[18:19], s[36:37], v[6:7]
	v_mul_lo_u32 v14, v13, s47
	v_mul_lo_u32 v32, v17, s46
	;; [unrolled: 1-line block ×3, first 2 shown]
	v_add_nc_u32_e32 v33, 1, v17
	v_mul_lo_u32 v7, v11, s46
	v_add_nc_u32_e32 v9, 1, v11
	s_delay_alu instid0(VALU_DEP_2)
	v_sub_nc_u32_e32 v7, v4, v7
	v_mul_lo_u32 v18, v15, s46
	v_mul_lo_u32 v34, v19, s47
	v_add_nc_u32_e32 v20, 1, v15
	v_add_nc_u32_e32 v35, 1, v19
	v_cmp_le_u32_e32 vcc_lo, s46, v7
	v_sub_nc_u32_e32 v4, v4, v14
	v_subrev_nc_u32_e32 v14, s46, v7
	v_cndmask_b32_e32 v9, v11, v9, vcc_lo
	s_delay_alu instid0(VALU_DEP_3) | instskip(NEXT) | instid1(VALU_DEP_2)
	v_cmp_le_u32_e64 s0, s47, v4
	v_dual_cndmask_b32 v7, v7, v14 :: v_dual_add_nc_u32 v14, 1, v9
	s_delay_alu instid0(VALU_DEP_2) | instskip(SKIP_4) | instid1(VALU_DEP_4)
	v_cndmask_b32_e64 v11, v13, v16, s0
	v_subrev_nc_u32_e32 v13, s47, v4
	v_dual_sub_nc_u32 v16, v6, v18 :: v_dual_sub_nc_u32 v18, v8, v32
	v_sub_nc_u32_e32 v6, v6, v34
	v_cmp_le_u32_e32 vcc_lo, s46, v7
	v_dual_cndmask_b32 v4, v4, v13, s0 :: v_dual_add_nc_u32 v13, 1, v11
	v_sub_nc_u32_e32 v8, v8, v37
	v_cmp_le_u32_e64 s0, s46, v18
	v_cndmask_b32_e32 v7, v9, v14, vcc_lo
	s_delay_alu instid0(VALU_DEP_4) | instskip(SKIP_3) | instid1(VALU_DEP_4)
	v_cmp_le_u32_e64 s1, s47, v4
	v_cmp_le_u32_e32 vcc_lo, s46, v16
	v_subrev_nc_u32_e32 v14, s46, v16
	v_cmp_le_u32_e64 s2, s47, v8
	v_cndmask_b32_e64 v4, v11, v13, s1
	v_cmp_le_u32_e64 s1, s47, v6
	v_dual_cndmask_b32 v9, v15, v20, vcc_lo :: v_dual_cndmask_b32 v15, v17, v33, s0
	v_subrev_nc_u32_e32 v17, s46, v18
	s_delay_alu instid0(VALU_DEP_3) | instskip(SKIP_1) | instid1(VALU_DEP_4)
	v_dual_cndmask_b32 v14, v16, v14, vcc_lo :: v_dual_cndmask_b32 v11, v19, v35, s1
	v_subrev_nc_u32_e32 v13, s47, v6
	v_dual_add_nc_u32 v16, 1, v9 :: v_dual_bitop2_b32 v7, v7, v26 bitop3:0x14
	s_delay_alu instid0(VALU_DEP_4) | instskip(NEXT) | instid1(VALU_DEP_4)
	v_dual_cndmask_b32 v17, v18, v17, s0 :: v_dual_add_nc_u32 v18, 1, v15
	v_cmp_le_u32_e32 vcc_lo, s46, v14
	v_cndmask_b32_e64 v19, v21, v38, s2
	v_subrev_nc_u32_e32 v20, s47, v8
	v_dual_cndmask_b32 v6, v6, v13, s1 :: v_dual_bitop2_b32 v4, v4, v30 bitop3:0x14
	v_cndmask_b32_e32 v9, v9, v16, vcc_lo
	v_cmp_le_u32_e32 vcc_lo, s46, v17
	s_delay_alu instid0(VALU_DEP_4)
	v_dual_add_nc_u32 v13, 1, v11 :: v_dual_cndmask_b32 v8, v8, v20, s2
	v_dual_add_nc_u32 v20, 1, v19 :: v_dual_sub_nc_u32 v7, v7, v26
	v_cndmask_b32_e32 v14, v15, v18, vcc_lo
	v_cmp_le_u32_e32 vcc_lo, s47, v6
	v_sub_nc_u32_e32 v4, v4, v30
	v_dual_cndmask_b32 v6, v11, v13, vcc_lo :: v_dual_bitop2_b32 v9, v9, v10 bitop3:0x14
	v_cmp_le_u32_e32 vcc_lo, s47, v8
	v_mul_lo_u32 v11, v7, s41
	s_delay_alu instid0(VALU_DEP_3) | instskip(SKIP_2) | instid1(VALU_DEP_1)
	v_dual_sub_nc_u32 v9, v9, v10 :: v_dual_bitop2_b32 v13, v14, v31 bitop3:0x14
	v_mul_lo_u32 v14, v4, s40
	v_dual_cndmask_b32 v8, v19, v20, vcc_lo :: v_dual_bitop2_b32 v6, v6, v5 bitop3:0x14
	v_dual_sub_nc_u32 v10, v13, v31 :: v_dual_bitop2_b32 v8, v8, v12 bitop3:0x14
	s_delay_alu instid0(VALU_DEP_2) | instskip(NEXT) | instid1(VALU_DEP_4)
	v_dual_sub_nc_u32 v5, v6, v5 :: v_dual_sub_nc_u32 v11, v24, v11
	v_sub_nc_u32_e32 v14, v24, v14
	s_delay_alu instid0(VALU_DEP_2) | instskip(SKIP_3) | instid1(VALU_DEP_4)
	v_dual_sub_nc_u32 v6, v8, v12 :: v_dual_add_nc_u32 v11, v2, v11
	v_mul_lo_u32 v8, v9, s41
	v_mul_lo_u32 v12, v10, s41
	;; [unrolled: 1-line block ×4, first 2 shown]
	v_add_nc_u32_e32 v14, v2, v14
	v_mul_lo_u32 v11, v11, s15
	v_sub_nc_u32_e32 v8, v25, v8
	v_dual_sub_nc_u32 v12, v3, v12 :: v_dual_sub_nc_u32 v13, v25, v13
	v_sub_nc_u32_e32 v3, v3, v15
	v_mul_lo_u32 v14, v14, s9
	s_delay_alu instid0(VALU_DEP_4) | instskip(NEXT) | instid1(VALU_DEP_4)
	v_add_nc_u32_e32 v8, v2, v8
	v_dual_add_nc_u32 v12, v2, v12 :: v_dual_add_nc_u32 v13, v2, v13
	s_delay_alu instid0(VALU_DEP_4) | instskip(NEXT) | instid1(VALU_DEP_3)
	v_dual_add_nc_u32 v3, v2, v3 :: v_dual_add_nc_u32 v2, s48, v2
	v_mul_lo_u32 v8, v8, s15
	s_delay_alu instid0(VALU_DEP_3) | instskip(NEXT) | instid1(VALU_DEP_4)
	v_mul_lo_u32 v12, v12, s15
	v_mul_lo_u32 v13, v13, s9
	s_delay_alu instid0(VALU_DEP_4)
	v_mul_lo_u32 v3, v3, s9
	v_mad_u32 v7, v7, s14, v11
	v_mad_u32 v4, v4, s8, v14
	v_cmp_le_i32_e32 vcc_lo, s5, v2
	v_mad_u32 v8, v9, s14, v8
	v_mad_u32 v9, v10, s14, v12
	;; [unrolled: 1-line block ×4, first 2 shown]
	s_or_b32 s58, vcc_lo, s58
	s_wait_loadcnt 0x3
	v_dual_sub_f32 v6, 1.0, v22 :: v_dual_sub_f32 v10, 1.0, v23
	s_wait_loadcnt 0x1
	v_dual_mul_f32 v12, v23, v36 :: v_dual_sub_f32 v11, v28, v27
	v_fma_f32 v13, -v27, v27, 1.0
	s_delay_alu instid0(VALU_DEP_2) | instskip(NEXT) | instid1(VALU_DEP_1)
	v_dual_mul_f32 v14, v10, v36 :: v_dual_mul_f32 v11, v11, v36
	v_dual_mul_f32 v13, v13, v14 :: v_dual_mul_f32 v10, v10, v11
	s_wait_loadcnt 0x0
	s_delay_alu instid0(VALU_DEP_1) | instskip(NEXT) | instid1(VALU_DEP_1)
	v_dual_mul_f32 v11, v29, v13 :: v_dual_mul_f32 v10, v23, v10
	v_mul_f32_e32 v6, v6, v11
	s_delay_alu instid0(VALU_DEP_1)
	v_dual_mul_f32 v14, v22, v13 :: v_dual_mul_f32 v6, v22, v6
	s_clause 0x2
	global_store_b32 v7, v6, s[12:13] scale_offset
	global_store_b32 v8, v10, s[12:13] scale_offset
	;; [unrolled: 1-line block ×3, first 2 shown]
	s_clause 0x2
	global_store_b32 v4, v6, s[16:17] scale_offset
	global_store_b32 v5, v10, s[16:17] scale_offset
	;; [unrolled: 1-line block ×4, first 2 shown]
	s_wait_xcnt 0x0
	s_and_not1_b32 exec_lo, exec_lo, s58
	s_cbranch_execnz .LBB53_2
.LBB53_3:
	s_endpgm
	.section	.rodata,"a",@progbits
	.p2align	6, 0x0
	.amdhsa_kernel _ZN2at6native12_GLOBAL__N_16kernel17gru_cell_backwardIffiLi2EEEvNS_4cuda6detail10TensorInfoIT_T1_EES9_S9_S9_S9_S8_S8_
		.amdhsa_group_segment_fixed_size 0
		.amdhsa_private_segment_fixed_size 0
		.amdhsa_kernarg_size 1344
		.amdhsa_user_sgpr_count 2
		.amdhsa_user_sgpr_dispatch_ptr 0
		.amdhsa_user_sgpr_queue_ptr 0
		.amdhsa_user_sgpr_kernarg_segment_ptr 1
		.amdhsa_user_sgpr_dispatch_id 0
		.amdhsa_user_sgpr_kernarg_preload_length 0
		.amdhsa_user_sgpr_kernarg_preload_offset 0
		.amdhsa_user_sgpr_private_segment_size 0
		.amdhsa_wavefront_size32 1
		.amdhsa_uses_dynamic_stack 0
		.amdhsa_enable_private_segment 0
		.amdhsa_system_sgpr_workgroup_id_x 1
		.amdhsa_system_sgpr_workgroup_id_y 0
		.amdhsa_system_sgpr_workgroup_id_z 0
		.amdhsa_system_sgpr_workgroup_info 0
		.amdhsa_system_vgpr_workitem_id 0
		.amdhsa_next_free_vgpr 39
		.amdhsa_next_free_sgpr 59
		.amdhsa_named_barrier_count 0
		.amdhsa_reserve_vcc 1
		.amdhsa_float_round_mode_32 0
		.amdhsa_float_round_mode_16_64 0
		.amdhsa_float_denorm_mode_32 3
		.amdhsa_float_denorm_mode_16_64 3
		.amdhsa_fp16_overflow 0
		.amdhsa_memory_ordered 1
		.amdhsa_forward_progress 1
		.amdhsa_inst_pref_size 24
		.amdhsa_round_robin_scheduling 0
		.amdhsa_exception_fp_ieee_invalid_op 0
		.amdhsa_exception_fp_denorm_src 0
		.amdhsa_exception_fp_ieee_div_zero 0
		.amdhsa_exception_fp_ieee_overflow 0
		.amdhsa_exception_fp_ieee_underflow 0
		.amdhsa_exception_fp_ieee_inexact 0
		.amdhsa_exception_int_div_zero 0
	.end_amdhsa_kernel
	.section	.text._ZN2at6native12_GLOBAL__N_16kernel17gru_cell_backwardIffiLi2EEEvNS_4cuda6detail10TensorInfoIT_T1_EES9_S9_S9_S9_S8_S8_,"axG",@progbits,_ZN2at6native12_GLOBAL__N_16kernel17gru_cell_backwardIffiLi2EEEvNS_4cuda6detail10TensorInfoIT_T1_EES9_S9_S9_S9_S8_S8_,comdat
.Lfunc_end53:
	.size	_ZN2at6native12_GLOBAL__N_16kernel17gru_cell_backwardIffiLi2EEEvNS_4cuda6detail10TensorInfoIT_T1_EES9_S9_S9_S9_S8_S8_, .Lfunc_end53-_ZN2at6native12_GLOBAL__N_16kernel17gru_cell_backwardIffiLi2EEEvNS_4cuda6detail10TensorInfoIT_T1_EES9_S9_S9_S9_S8_S8_
                                        ; -- End function
	.set _ZN2at6native12_GLOBAL__N_16kernel17gru_cell_backwardIffiLi2EEEvNS_4cuda6detail10TensorInfoIT_T1_EES9_S9_S9_S9_S8_S8_.num_vgpr, 39
	.set _ZN2at6native12_GLOBAL__N_16kernel17gru_cell_backwardIffiLi2EEEvNS_4cuda6detail10TensorInfoIT_T1_EES9_S9_S9_S9_S8_S8_.num_agpr, 0
	.set _ZN2at6native12_GLOBAL__N_16kernel17gru_cell_backwardIffiLi2EEEvNS_4cuda6detail10TensorInfoIT_T1_EES9_S9_S9_S9_S8_S8_.numbered_sgpr, 59
	.set _ZN2at6native12_GLOBAL__N_16kernel17gru_cell_backwardIffiLi2EEEvNS_4cuda6detail10TensorInfoIT_T1_EES9_S9_S9_S9_S8_S8_.num_named_barrier, 0
	.set _ZN2at6native12_GLOBAL__N_16kernel17gru_cell_backwardIffiLi2EEEvNS_4cuda6detail10TensorInfoIT_T1_EES9_S9_S9_S9_S8_S8_.private_seg_size, 0
	.set _ZN2at6native12_GLOBAL__N_16kernel17gru_cell_backwardIffiLi2EEEvNS_4cuda6detail10TensorInfoIT_T1_EES9_S9_S9_S9_S8_S8_.uses_vcc, 1
	.set _ZN2at6native12_GLOBAL__N_16kernel17gru_cell_backwardIffiLi2EEEvNS_4cuda6detail10TensorInfoIT_T1_EES9_S9_S9_S9_S8_S8_.uses_flat_scratch, 0
	.set _ZN2at6native12_GLOBAL__N_16kernel17gru_cell_backwardIffiLi2EEEvNS_4cuda6detail10TensorInfoIT_T1_EES9_S9_S9_S9_S8_S8_.has_dyn_sized_stack, 0
	.set _ZN2at6native12_GLOBAL__N_16kernel17gru_cell_backwardIffiLi2EEEvNS_4cuda6detail10TensorInfoIT_T1_EES9_S9_S9_S9_S8_S8_.has_recursion, 0
	.set _ZN2at6native12_GLOBAL__N_16kernel17gru_cell_backwardIffiLi2EEEvNS_4cuda6detail10TensorInfoIT_T1_EES9_S9_S9_S9_S8_S8_.has_indirect_call, 0
	.section	.AMDGPU.csdata,"",@progbits
; Kernel info:
; codeLenInByte = 2996
; TotalNumSgprs: 61
; NumVgprs: 39
; ScratchSize: 0
; MemoryBound: 0
; FloatMode: 240
; IeeeMode: 1
; LDSByteSize: 0 bytes/workgroup (compile time only)
; SGPRBlocks: 0
; VGPRBlocks: 2
; NumSGPRsForWavesPerEU: 61
; NumVGPRsForWavesPerEU: 39
; NamedBarCnt: 0
; Occupancy: 16
; WaveLimiterHint : 1
; COMPUTE_PGM_RSRC2:SCRATCH_EN: 0
; COMPUTE_PGM_RSRC2:USER_SGPR: 2
; COMPUTE_PGM_RSRC2:TRAP_HANDLER: 0
; COMPUTE_PGM_RSRC2:TGID_X_EN: 1
; COMPUTE_PGM_RSRC2:TGID_Y_EN: 0
; COMPUTE_PGM_RSRC2:TGID_Z_EN: 0
; COMPUTE_PGM_RSRC2:TIDIG_COMP_CNT: 0
	.section	.text._ZN2at6native12_GLOBAL__N_16kernel17gru_cell_backwardIfflLi1EEEvNS_4cuda6detail10TensorInfoIT_T1_EES9_S9_S9_S9_S8_S8_,"axG",@progbits,_ZN2at6native12_GLOBAL__N_16kernel17gru_cell_backwardIfflLi1EEEvNS_4cuda6detail10TensorInfoIT_T1_EES9_S9_S9_S9_S8_S8_,comdat
	.globl	_ZN2at6native12_GLOBAL__N_16kernel17gru_cell_backwardIfflLi1EEEvNS_4cuda6detail10TensorInfoIT_T1_EES9_S9_S9_S9_S8_S8_ ; -- Begin function _ZN2at6native12_GLOBAL__N_16kernel17gru_cell_backwardIfflLi1EEEvNS_4cuda6detail10TensorInfoIT_T1_EES9_S9_S9_S9_S8_S8_
	.p2align	8
	.type	_ZN2at6native12_GLOBAL__N_16kernel17gru_cell_backwardIfflLi1EEEvNS_4cuda6detail10TensorInfoIT_T1_EES9_S9_S9_S9_S8_S8_,@function
_ZN2at6native12_GLOBAL__N_16kernel17gru_cell_backwardIfflLi1EEEvNS_4cuda6detail10TensorInfoIT_T1_EES9_S9_S9_S9_S8_S8_: ; @_ZN2at6native12_GLOBAL__N_16kernel17gru_cell_backwardIfflLi1EEEvNS_4cuda6detail10TensorInfoIT_T1_EES9_S9_S9_S9_S8_S8_
; %bb.0:
	s_clause 0x1
	s_load_b32 s2, s[0:1], 0x83c
	s_load_b128 s[4:7], s[0:1], 0x820
	s_bfe_u32 s3, ttmp6, 0x4000c
	s_and_b32 s8, ttmp6, 15
	s_add_co_i32 s3, s3, 1
	s_getreg_b32 s9, hwreg(HW_REG_IB_STS2, 6, 4)
	s_mul_i32 s3, ttmp9, s3
	v_mov_b32_e32 v2, 0
	s_add_co_i32 s8, s8, s3
	s_delay_alu instid0(VALU_DEP_1)
	v_mov_b32_e32 v1, v2
	s_wait_kmcnt 0x0
	s_and_b32 s2, s2, 0xffff
	s_cmp_eq_u32 s9, 0
	s_cselect_b32 s3, ttmp9, s8
	s_mov_b32 s8, exec_lo
	v_mad_u32 v0, s3, s2, v0
	s_mov_b32 s3, 0
	s_delay_alu instid0(VALU_DEP_1)
	v_cmpx_gt_i64_e64 s[6:7], v[0:1]
	s_cbranch_execz .LBB54_7
; %bb.1:
	s_clause 0x1
	s_load_b64 s[28:29], s[0:1], 0x410
	s_load_b64 s[30:31], s[0:1], 0x5b0
	v_cvt_f32_u32_e32 v3, s4
	s_add_nc_u64 s[8:9], s[0:1], 0x830
	s_clause 0x1
	s_load_b64 s[34:35], s[0:1], 0x4e0
	s_load_b64 s[36:37], s[0:1], 0x340
	s_load_b32 s20, s[8:9], 0x0
	v_rcp_iflag_f32_e32 v3, v3
	s_wait_xcnt 0x0
	s_sub_co_i32 s8, 0, s4
	s_mov_b32 s21, s3
	s_lshl_b64 s[22:23], s[4:5], 2
	s_lshl_b64 s[24:25], s[4:5], 1
	s_mov_b64 s[26:27], 0xffffffff
	v_nop
	v_mul_f32_e32 v3, 0x4f7ffffe, v3
	s_delay_alu instid0(VALU_DEP_1) | instskip(SKIP_3) | instid1(VALU_DEP_3)
	v_cvt_u32_f32_e32 v3, v3
	s_wait_kmcnt 0x0
	v_mul_u64_e32 v[4:5], s[28:29], v[0:1]
	v_mul_u64_e32 v[6:7], s[30:31], v[0:1]
	v_mul_lo_u32 v8, s8, v3
	s_clause 0x5
	s_load_b64 s[8:9], s[0:1], 0x0
	s_load_b64 s[10:11], s[0:1], 0xd0
	;; [unrolled: 1-line block ×6, first 2 shown]
	s_mul_i32 s20, s20, s2
	s_wait_xcnt 0x0
	s_mul_u64 s[0:1], s[20:21], s[28:29]
	s_mul_u64 s[30:31], s[20:21], s[30:31]
	s_lshl_b64 s[28:29], s[0:1], 2
	s_lshl_b64 s[30:31], s[30:31], 2
	s_mov_b32 s1, 0
	v_mul_hi_u32 v8, v3, v8
	s_delay_alu instid0(VALU_DEP_1)
	v_add_nc_u32_e32 v10, v3, v8
	v_lshl_add_u64 v[4:5], v[4:5], 2, s[36:37]
	v_lshl_add_u64 v[6:7], v[6:7], 2, s[34:35]
	s_ashr_i32 s34, s5, 31
	s_branch .LBB54_3
.LBB54_2:                               ;   in Loop: Header=BB54_3 Depth=1
	s_or_b32 exec_lo, exec_lo, s0
	s_delay_alu instid0(VALU_DEP_1) | instskip(SKIP_1) | instid1(VALU_DEP_2)
	v_lshlrev_b64_e32 v[12:13], 2, v[8:9]
	v_mad_nc_u64_u32 v[16:17], s22, v8, v[0:1]
	v_add_nc_u64_e32 v[14:15], 4, v[12:13]
	v_or_b32_e32 v3, 1, v12
	v_mul_lo_u32 v11, s4, v13
	v_or_b32_e32 v13, 2, v12
	v_mad_u32 v17, s23, v8, v17
	s_delay_alu instid0(VALU_DEP_4)
	v_mul_lo_u32 v24, s5, v3
	v_mad_nc_u64_u32 v[18:19], s4, v14, v[0:1]
	v_mad_nc_u64_u32 v[20:21], s4, v3, v[0:1]
	v_or_b32_e32 v3, 3, v12
	v_mul_lo_u32 v25, s5, v13
	v_mad_nc_u64_u32 v[12:13], s4, v13, v[0:1]
	s_delay_alu instid0(VALU_DEP_3)
	v_mul_lo_u32 v26, s5, v3
	v_mad_nc_u64_u32 v[22:23], s4, v3, v[0:1]
	v_mad_u32 v17, s22, v9, v17
	v_mad_u32 v14, s5, v14, v19
	v_add3_u32 v21, v24, v21, v11
	v_add3_u32 v13, v25, v13, v11
	s_wait_kmcnt 0x0
	s_delay_alu instid0(VALU_DEP_2) | instskip(SKIP_1) | instid1(VALU_DEP_3)
	v_mul_u64_e32 v[20:21], s[18:19], v[20:21]
	v_add3_u32 v23, v26, v23, v11
	v_mul_u64_e32 v[12:13], s[18:19], v[12:13]
	v_mul_u64_e32 v[16:17], s[18:19], v[16:17]
	v_mad_u32 v19, s4, v15, v14
	s_delay_alu instid0(VALU_DEP_4) | instskip(NEXT) | instid1(VALU_DEP_2)
	v_mul_u64_e32 v[14:15], s[18:19], v[22:23]
	v_mul_u64_e32 v[18:19], s[18:19], v[18:19]
	v_lshl_add_u64 v[20:21], v[20:21], 2, s[16:17]
	v_lshl_add_u64 v[12:13], v[12:13], 2, s[16:17]
	s_clause 0x1
	global_load_b32 v3, v[20:21], off
	global_load_b32 v11, v[12:13], off
	;; [unrolled: 1-line block ×3, first 2 shown]
	s_wait_xcnt 0x1
	v_lshl_add_u64 v[12:13], v[14:15], 2, s[16:17]
	v_lshl_add_u64 v[14:15], v[16:17], 2, s[16:17]
	s_wait_xcnt 0x0
	v_add_nc_u64_e32 v[4:5], s[28:29], v[4:5]
	v_lshl_add_u64 v[16:17], v[18:19], 2, s[16:17]
	s_clause 0x2
	global_load_b32 v23, v[12:13], off
	global_load_b32 v24, v[14:15], off
	;; [unrolled: 1-line block ×3, first 2 shown]
	s_wait_xcnt 0x2
	v_lshlrev_b64_e32 v[12:13], 1, v[8:9]
	s_wait_xcnt 0x0
	v_mad_nc_u64_u32 v[16:17], s24, v8, v[0:1]
	s_delay_alu instid0(VALU_DEP_2) | instskip(SKIP_1) | instid1(VALU_DEP_3)
	v_add_nc_u64_e32 v[14:15], 2, v[12:13]
	v_or_b32_e32 v26, 1, v12
	v_mad_u32 v8, s25, v8, v17
	s_delay_alu instid0(VALU_DEP_2) | instskip(NEXT) | instid1(VALU_DEP_4)
	v_mad_nc_u64_u32 v[18:19], s4, v26, v[0:1]
	v_mad_nc_u64_u32 v[20:21], s4, v14, v[0:1]
	v_add_nc_u64_e32 v[0:1], s[20:21], v[0:1]
	s_delay_alu instid0(VALU_DEP_1) | instskip(SKIP_4) | instid1(VALU_DEP_3)
	v_cmp_le_i64_e32 vcc_lo, s[6:7], v[0:1]
	v_mad_u32 v17, s24, v9, v8
	v_mad_u32 v12, s5, v26, v19
	;; [unrolled: 1-line block ×3, first 2 shown]
	s_or_b32 s1, vcc_lo, s1
	v_mul_u64_e32 v[8:9], s[10:11], v[16:17]
	s_delay_alu instid0(VALU_DEP_3) | instskip(NEXT) | instid1(VALU_DEP_3)
	v_mad_u32 v19, s4, v13, v12
	v_mad_u32 v21, s4, v15, v14
	v_mul_u64_e32 v[12:13], s[14:15], v[16:17]
	s_delay_alu instid0(VALU_DEP_3) | instskip(SKIP_1) | instid1(VALU_DEP_4)
	v_mul_u64_e32 v[14:15], s[10:11], v[18:19]
	v_mul_u64_e32 v[16:17], s[14:15], v[18:19]
	;; [unrolled: 1-line block ×4, first 2 shown]
	v_lshl_add_u64 v[8:9], v[8:9], 2, s[8:9]
	v_lshl_add_u64 v[12:13], v[12:13], 2, s[12:13]
	;; [unrolled: 1-line block ×6, first 2 shown]
	s_wait_loadcnt 0x5
	v_sub_f32_e32 v26, 1.0, v3
	s_wait_loadcnt 0x4
	v_fma_f32 v27, -v11, v11, 1.0
	s_wait_loadcnt 0x2
	s_delay_alu instid0(VALU_DEP_2) | instskip(SKIP_1) | instid1(VALU_DEP_1)
	v_dual_mul_f32 v28, v26, v22 :: v_dual_sub_f32 v11, v23, v11
	s_wait_loadcnt 0x1
	v_dual_sub_f32 v23, 1.0, v24 :: v_dual_mul_f32 v11, v11, v22
	s_delay_alu instid0(VALU_DEP_1) | instskip(SKIP_1) | instid1(VALU_DEP_1)
	v_dual_mul_f32 v27, v27, v28 :: v_dual_mul_f32 v11, v26, v11
	s_wait_loadcnt 0x0
	v_mul_f32_e32 v25, v25, v27
	s_delay_alu instid0(VALU_DEP_2) | instskip(NEXT) | instid1(VALU_DEP_2)
	v_dual_mul_f32 v11, v3, v11 :: v_dual_mul_f32 v3, v3, v22
	v_dual_mul_f32 v23, v23, v25 :: v_dual_mul_f32 v22, v24, v27
	s_delay_alu instid0(VALU_DEP_1)
	v_mul_f32_e32 v23, v24, v23
	s_clause 0x2
	global_store_b32 v[8:9], v23, off
	global_store_b32 v[14:15], v11, off
	;; [unrolled: 1-line block ×3, first 2 shown]
	s_clause 0x2
	global_store_b32 v[12:13], v23, off
	global_store_b32 v[16:17], v11, off
	global_store_b32 v[20:21], v22, off
	global_store_b32 v[6:7], v3, off
	s_wait_xcnt 0x0
	v_add_nc_u64_e32 v[6:7], s[30:31], v[6:7]
	s_and_not1_b32 exec_lo, exec_lo, s1
	s_cbranch_execz .LBB54_7
.LBB54_3:                               ; =>This Inner Loop Header: Depth=1
	v_or_b32_e32 v3, s5, v1
                                        ; implicit-def: $vgpr8_vgpr9
	s_mov_b32 s0, exec_lo
	s_delay_alu instid0(VALU_DEP_1)
	v_cmpx_ne_u64_e32 0, v[2:3]
	s_xor_b32 s33, exec_lo, s0
	s_cbranch_execz .LBB54_5
; %bb.4:                                ;   in Loop: Header=BB54_3 Depth=1
	s_mov_b32 s35, s34
	v_dual_mov_b32 v15, v2 :: v_dual_ashrrev_i32 v8, 31, v1
	s_add_nc_u64 s[36:37], s[4:5], s[34:35]
	v_mov_b32_e32 v19, v2
	s_xor_b64 s[36:37], s[36:37], s[34:35]
	s_delay_alu instid0(VALU_DEP_2)
	v_mov_b32_e32 v9, v8
	s_cvt_f32_u32 s0, s36
	s_cvt_f32_u32 s2, s37
	s_sub_nc_u64 s[40:41], 0, s[36:37]
	v_mov_b32_e32 v23, v2
	v_add_nc_u64_e32 v[12:13], v[0:1], v[8:9]
	s_fmamk_f32 s0, s2, 0x4f800000, s0
	s_delay_alu instid0(SALU_CYCLE_3) | instskip(NEXT) | instid1(VALU_DEP_1)
	v_s_rcp_f32 s0, s0
	v_xor_b32_e32 v14, v12, v8
	s_delay_alu instid0(VALU_DEP_2) | instskip(NEXT) | instid1(TRANS32_DEP_1)
	v_xor_b32_e32 v18, v13, v8
	s_mul_f32 s0, s0, 0x5f7ffffc
	s_delay_alu instid0(SALU_CYCLE_3) | instskip(NEXT) | instid1(SALU_CYCLE_3)
	s_mul_f32 s2, s0, 0x2f800000
	s_trunc_f32 s2, s2
	s_delay_alu instid0(SALU_CYCLE_3) | instskip(SKIP_1) | instid1(SALU_CYCLE_2)
	s_fmamk_f32 s0, s2, 0xcf800000, s0
	s_cvt_u32_f32 s39, s2
	s_cvt_u32_f32 s38, s0
	s_delay_alu instid0(SALU_CYCLE_3) | instskip(NEXT) | instid1(SALU_CYCLE_1)
	s_mul_u64 s[42:43], s[40:41], s[38:39]
	s_mul_hi_u32 s45, s38, s43
	s_mul_i32 s44, s38, s43
	s_mul_hi_u32 s2, s38, s42
	s_mul_i32 s35, s39, s42
	s_add_nc_u64 s[44:45], s[2:3], s[44:45]
	s_mul_hi_u32 s0, s39, s42
	s_mul_hi_u32 s46, s39, s43
	s_add_co_u32 s2, s44, s35
	s_add_co_ci_u32 s2, s45, s0
	s_mul_i32 s42, s39, s43
	s_add_co_ci_u32 s43, s46, 0
	s_delay_alu instid0(SALU_CYCLE_1) | instskip(NEXT) | instid1(SALU_CYCLE_1)
	s_add_nc_u64 s[42:43], s[2:3], s[42:43]
	s_add_co_u32 s38, s38, s42
	s_cselect_b32 s0, -1, 0
	s_delay_alu instid0(SALU_CYCLE_1) | instskip(SKIP_1) | instid1(SALU_CYCLE_1)
	s_cmp_lg_u32 s0, 0
	s_add_co_ci_u32 s39, s39, s43
	s_mul_u64 s[40:41], s[40:41], s[38:39]
	s_delay_alu instid0(SALU_CYCLE_1)
	s_mul_hi_u32 s43, s38, s41
	s_mul_i32 s42, s38, s41
	s_mul_hi_u32 s2, s38, s40
	s_mul_i32 s35, s39, s40
	s_add_nc_u64 s[42:43], s[2:3], s[42:43]
	s_mul_hi_u32 s0, s39, s40
	s_mul_hi_u32 s44, s39, s41
	s_add_co_u32 s2, s42, s35
	s_add_co_ci_u32 s2, s43, s0
	s_mul_i32 s40, s39, s41
	s_add_co_ci_u32 s41, s44, 0
	s_delay_alu instid0(SALU_CYCLE_1) | instskip(NEXT) | instid1(SALU_CYCLE_1)
	s_add_nc_u64 s[40:41], s[2:3], s[40:41]
	s_add_co_u32 s0, s38, s40
	s_cselect_b32 s2, -1, 0
	v_mul_hi_u32 v22, v14, s0
	s_cmp_lg_u32 s2, 0
	s_add_co_ci_u32 s2, s39, s41
	s_and_b64 s[38:39], s[0:1], s[26:27]
	v_mul_u64_e32 v[16:17], s[2:3], v[14:15]
	v_mul_u64_e32 v[12:13], s[38:39], v[18:19]
	;; [unrolled: 1-line block ×3, first 2 shown]
	s_delay_alu instid0(VALU_DEP_3) | instskip(NEXT) | instid1(VALU_DEP_1)
	v_add_nc_u64_e32 v[16:17], v[22:23], v[16:17]
	v_add_co_u32 v3, vcc_lo, v16, v12
	s_delay_alu instid0(VALU_DEP_2) | instskip(NEXT) | instid1(VALU_DEP_4)
	v_add_co_ci_u32_e32 v22, vcc_lo, v17, v13, vcc_lo
	v_add_co_ci_u32_e32 v21, vcc_lo, 0, v21, vcc_lo
	s_delay_alu instid0(VALU_DEP_1) | instskip(NEXT) | instid1(VALU_DEP_1)
	v_add_nc_u64_e32 v[12:13], v[22:23], v[20:21]
	v_mul_u64_e32 v[16:17], s[36:37], v[12:13]
	s_delay_alu instid0(VALU_DEP_1) | instskip(NEXT) | instid1(VALU_DEP_2)
	v_sub_nc_u32_e32 v3, v18, v17
	v_sub_co_u32 v9, vcc_lo, v14, v16
	s_delay_alu instid0(VALU_DEP_1) | instskip(NEXT) | instid1(VALU_DEP_3)
	v_sub_co_ci_u32_e64 v18, null, v18, v17, vcc_lo
	v_subrev_co_ci_u32_e64 v3, null, s37, v3, vcc_lo
	s_delay_alu instid0(VALU_DEP_3) | instskip(SKIP_1) | instid1(VALU_DEP_3)
	v_sub_co_u32 v11, s0, v9, s36
	v_add_nc_u64_e32 v[16:17], 1, v[12:13]
	v_subrev_co_ci_u32_e64 v3, null, 0, v3, s0
	s_delay_alu instid0(VALU_DEP_3) | instskip(SKIP_1) | instid1(VALU_DEP_3)
	v_cmp_le_u32_e32 vcc_lo, s36, v11
	v_cndmask_b32_e64 v11, 0, -1, vcc_lo
	v_cmp_le_u32_e32 vcc_lo, s37, v3
	v_cndmask_b32_e64 v14, 0, -1, vcc_lo
	;; [unrolled: 2-line block ×4, first 2 shown]
	v_cmp_eq_u32_e32 vcc_lo, s37, v3
	v_cndmask_b32_e32 v3, v14, v11, vcc_lo
	v_cmp_eq_u32_e32 vcc_lo, s37, v18
	v_add_nc_u64_e32 v[14:15], 2, v[12:13]
	v_cndmask_b32_e32 v9, v19, v9, vcc_lo
	s_delay_alu instid0(VALU_DEP_4) | instskip(NEXT) | instid1(VALU_DEP_3)
	v_cmp_ne_u32_e32 vcc_lo, 0, v3
	v_cndmask_b32_e32 v3, v17, v15, vcc_lo
	s_delay_alu instid0(VALU_DEP_3) | instskip(SKIP_1) | instid1(VALU_DEP_1)
	v_cmp_ne_u32_e64 s0, 0, v9
	v_dual_cndmask_b32 v9, v16, v14, vcc_lo :: v_dual_bitop2_b32 v8, s34, v8 bitop3:0x14
	v_dual_cndmask_b32 v3, v13, v3, s0 :: v_dual_cndmask_b32 v11, v12, v9, s0
	s_delay_alu instid0(VALU_DEP_1) | instskip(NEXT) | instid1(VALU_DEP_2)
	v_dual_mov_b32 v9, v8 :: v_dual_bitop2_b32 v13, v3, v8 bitop3:0x14
	v_xor_b32_e32 v12, v11, v8
	s_delay_alu instid0(VALU_DEP_1)
	v_sub_nc_u64_e32 v[8:9], v[12:13], v[8:9]
.LBB54_5:                               ;   in Loop: Header=BB54_3 Depth=1
	s_and_not1_saveexec_b32 s0, s33
	s_cbranch_execz .LBB54_2
; %bb.6:                                ;   in Loop: Header=BB54_3 Depth=1
	v_mul_hi_u32 v3, v0, v10
	s_delay_alu instid0(VALU_DEP_1) | instskip(NEXT) | instid1(VALU_DEP_1)
	v_mul_lo_u32 v8, v3, s4
	v_dual_add_nc_u32 v9, 1, v3 :: v_dual_sub_nc_u32 v8, v0, v8
	s_delay_alu instid0(VALU_DEP_1) | instskip(SKIP_1) | instid1(VALU_DEP_2)
	v_subrev_nc_u32_e32 v11, s4, v8
	v_cmp_le_u32_e32 vcc_lo, s4, v8
	v_dual_cndmask_b32 v8, v8, v11 :: v_dual_cndmask_b32 v3, v3, v9
	s_delay_alu instid0(VALU_DEP_1) | instskip(NEXT) | instid1(VALU_DEP_2)
	v_cmp_le_u32_e32 vcc_lo, s4, v8
	v_add_nc_u32_e32 v9, 1, v3
	s_delay_alu instid0(VALU_DEP_1)
	v_dual_cndmask_b32 v8, v3, v9 :: v_dual_mov_b32 v9, v2
	s_branch .LBB54_2
.LBB54_7:
	s_endpgm
	.section	.rodata,"a",@progbits
	.p2align	6, 0x0
	.amdhsa_kernel _ZN2at6native12_GLOBAL__N_16kernel17gru_cell_backwardIfflLi1EEEvNS_4cuda6detail10TensorInfoIT_T1_EES9_S9_S9_S9_S8_S8_
		.amdhsa_group_segment_fixed_size 0
		.amdhsa_private_segment_fixed_size 0
		.amdhsa_kernarg_size 2352
		.amdhsa_user_sgpr_count 2
		.amdhsa_user_sgpr_dispatch_ptr 0
		.amdhsa_user_sgpr_queue_ptr 0
		.amdhsa_user_sgpr_kernarg_segment_ptr 1
		.amdhsa_user_sgpr_dispatch_id 0
		.amdhsa_user_sgpr_kernarg_preload_length 0
		.amdhsa_user_sgpr_kernarg_preload_offset 0
		.amdhsa_user_sgpr_private_segment_size 0
		.amdhsa_wavefront_size32 1
		.amdhsa_uses_dynamic_stack 0
		.amdhsa_enable_private_segment 0
		.amdhsa_system_sgpr_workgroup_id_x 1
		.amdhsa_system_sgpr_workgroup_id_y 0
		.amdhsa_system_sgpr_workgroup_id_z 0
		.amdhsa_system_sgpr_workgroup_info 0
		.amdhsa_system_vgpr_workitem_id 0
		.amdhsa_next_free_vgpr 29
		.amdhsa_next_free_sgpr 47
		.amdhsa_named_barrier_count 0
		.amdhsa_reserve_vcc 1
		.amdhsa_float_round_mode_32 0
		.amdhsa_float_round_mode_16_64 0
		.amdhsa_float_denorm_mode_32 3
		.amdhsa_float_denorm_mode_16_64 3
		.amdhsa_fp16_overflow 0
		.amdhsa_memory_ordered 1
		.amdhsa_forward_progress 1
		.amdhsa_inst_pref_size 14
		.amdhsa_round_robin_scheduling 0
		.amdhsa_exception_fp_ieee_invalid_op 0
		.amdhsa_exception_fp_denorm_src 0
		.amdhsa_exception_fp_ieee_div_zero 0
		.amdhsa_exception_fp_ieee_overflow 0
		.amdhsa_exception_fp_ieee_underflow 0
		.amdhsa_exception_fp_ieee_inexact 0
		.amdhsa_exception_int_div_zero 0
	.end_amdhsa_kernel
	.section	.text._ZN2at6native12_GLOBAL__N_16kernel17gru_cell_backwardIfflLi1EEEvNS_4cuda6detail10TensorInfoIT_T1_EES9_S9_S9_S9_S8_S8_,"axG",@progbits,_ZN2at6native12_GLOBAL__N_16kernel17gru_cell_backwardIfflLi1EEEvNS_4cuda6detail10TensorInfoIT_T1_EES9_S9_S9_S9_S8_S8_,comdat
.Lfunc_end54:
	.size	_ZN2at6native12_GLOBAL__N_16kernel17gru_cell_backwardIfflLi1EEEvNS_4cuda6detail10TensorInfoIT_T1_EES9_S9_S9_S9_S8_S8_, .Lfunc_end54-_ZN2at6native12_GLOBAL__N_16kernel17gru_cell_backwardIfflLi1EEEvNS_4cuda6detail10TensorInfoIT_T1_EES9_S9_S9_S9_S8_S8_
                                        ; -- End function
	.set _ZN2at6native12_GLOBAL__N_16kernel17gru_cell_backwardIfflLi1EEEvNS_4cuda6detail10TensorInfoIT_T1_EES9_S9_S9_S9_S8_S8_.num_vgpr, 29
	.set _ZN2at6native12_GLOBAL__N_16kernel17gru_cell_backwardIfflLi1EEEvNS_4cuda6detail10TensorInfoIT_T1_EES9_S9_S9_S9_S8_S8_.num_agpr, 0
	.set _ZN2at6native12_GLOBAL__N_16kernel17gru_cell_backwardIfflLi1EEEvNS_4cuda6detail10TensorInfoIT_T1_EES9_S9_S9_S9_S8_S8_.numbered_sgpr, 47
	.set _ZN2at6native12_GLOBAL__N_16kernel17gru_cell_backwardIfflLi1EEEvNS_4cuda6detail10TensorInfoIT_T1_EES9_S9_S9_S9_S8_S8_.num_named_barrier, 0
	.set _ZN2at6native12_GLOBAL__N_16kernel17gru_cell_backwardIfflLi1EEEvNS_4cuda6detail10TensorInfoIT_T1_EES9_S9_S9_S9_S8_S8_.private_seg_size, 0
	.set _ZN2at6native12_GLOBAL__N_16kernel17gru_cell_backwardIfflLi1EEEvNS_4cuda6detail10TensorInfoIT_T1_EES9_S9_S9_S9_S8_S8_.uses_vcc, 1
	.set _ZN2at6native12_GLOBAL__N_16kernel17gru_cell_backwardIfflLi1EEEvNS_4cuda6detail10TensorInfoIT_T1_EES9_S9_S9_S9_S8_S8_.uses_flat_scratch, 0
	.set _ZN2at6native12_GLOBAL__N_16kernel17gru_cell_backwardIfflLi1EEEvNS_4cuda6detail10TensorInfoIT_T1_EES9_S9_S9_S9_S8_S8_.has_dyn_sized_stack, 0
	.set _ZN2at6native12_GLOBAL__N_16kernel17gru_cell_backwardIfflLi1EEEvNS_4cuda6detail10TensorInfoIT_T1_EES9_S9_S9_S9_S8_S8_.has_recursion, 0
	.set _ZN2at6native12_GLOBAL__N_16kernel17gru_cell_backwardIfflLi1EEEvNS_4cuda6detail10TensorInfoIT_T1_EES9_S9_S9_S9_S8_S8_.has_indirect_call, 0
	.section	.AMDGPU.csdata,"",@progbits
; Kernel info:
; codeLenInByte = 1776
; TotalNumSgprs: 49
; NumVgprs: 29
; ScratchSize: 0
; MemoryBound: 0
; FloatMode: 240
; IeeeMode: 1
; LDSByteSize: 0 bytes/workgroup (compile time only)
; SGPRBlocks: 0
; VGPRBlocks: 1
; NumSGPRsForWavesPerEU: 49
; NumVGPRsForWavesPerEU: 29
; NamedBarCnt: 0
; Occupancy: 16
; WaveLimiterHint : 1
; COMPUTE_PGM_RSRC2:SCRATCH_EN: 0
; COMPUTE_PGM_RSRC2:USER_SGPR: 2
; COMPUTE_PGM_RSRC2:TRAP_HANDLER: 0
; COMPUTE_PGM_RSRC2:TGID_X_EN: 1
; COMPUTE_PGM_RSRC2:TGID_Y_EN: 0
; COMPUTE_PGM_RSRC2:TGID_Z_EN: 0
; COMPUTE_PGM_RSRC2:TIDIG_COMP_CNT: 0
	.section	.text._ZN2at6native12_GLOBAL__N_16kernel17gru_cell_backwardIfflLi2EEEvNS_4cuda6detail10TensorInfoIT_T1_EES9_S9_S9_S9_S8_S8_,"axG",@progbits,_ZN2at6native12_GLOBAL__N_16kernel17gru_cell_backwardIfflLi2EEEvNS_4cuda6detail10TensorInfoIT_T1_EES9_S9_S9_S9_S8_S8_,comdat
	.globl	_ZN2at6native12_GLOBAL__N_16kernel17gru_cell_backwardIfflLi2EEEvNS_4cuda6detail10TensorInfoIT_T1_EES9_S9_S9_S9_S8_S8_ ; -- Begin function _ZN2at6native12_GLOBAL__N_16kernel17gru_cell_backwardIfflLi2EEEvNS_4cuda6detail10TensorInfoIT_T1_EES9_S9_S9_S9_S8_S8_
	.p2align	8
	.type	_ZN2at6native12_GLOBAL__N_16kernel17gru_cell_backwardIfflLi2EEEvNS_4cuda6detail10TensorInfoIT_T1_EES9_S9_S9_S9_S8_S8_,@function
_ZN2at6native12_GLOBAL__N_16kernel17gru_cell_backwardIfflLi2EEEvNS_4cuda6detail10TensorInfoIT_T1_EES9_S9_S9_S9_S8_S8_: ; @_ZN2at6native12_GLOBAL__N_16kernel17gru_cell_backwardIfflLi2EEEvNS_4cuda6detail10TensorInfoIT_T1_EES9_S9_S9_S9_S8_S8_
; %bb.0:
	s_clause 0x1
	s_load_b32 s2, s[0:1], 0x83c
	s_load_b128 s[4:7], s[0:1], 0x820
	s_bfe_u32 s3, ttmp6, 0x4000c
	s_and_b32 s8, ttmp6, 15
	s_add_co_i32 s3, s3, 1
	s_getreg_b32 s9, hwreg(HW_REG_IB_STS2, 6, 4)
	s_mul_i32 s3, ttmp9, s3
	v_mov_b32_e32 v2, 0
	s_add_co_i32 s8, s8, s3
	s_delay_alu instid0(VALU_DEP_1)
	v_mov_b32_e32 v1, v2
	s_wait_kmcnt 0x0
	s_and_b32 s2, s2, 0xffff
	s_cmp_eq_u32 s9, 0
	s_cselect_b32 s3, ttmp9, s8
	s_mov_b32 s8, exec_lo
	v_mad_u32 v0, s3, s2, v0
	s_mov_b32 s3, 0
	s_delay_alu instid0(VALU_DEP_1)
	v_cmpx_gt_i64_e64 s[6:7], v[0:1]
	s_cbranch_execz .LBB55_59
; %bb.1:
	s_add_nc_u64 s[24:25], s[0:1], 0x830
	v_cvt_f32_u32_e32 v3, s4
	s_clause 0x5
	s_load_b64 s[28:29], s[0:1], 0x0
	s_load_b64 s[30:31], s[0:1], 0x10
	s_load_b128 s[8:11], s[0:1], 0xd0
	s_load_b64 s[34:35], s[0:1], 0x1a0
	s_load_b64 s[36:37], s[0:1], 0x1b0
	s_load_b128 s[12:15], s[0:1], 0x270
	s_load_b32 s33, s[24:25], 0x0
	s_clause 0x7
	s_load_b64 s[38:39], s[0:1], 0x340
	s_load_b64 s[40:41], s[0:1], 0x350
	s_load_b128 s[16:19], s[0:1], 0x410
	s_load_b64 s[42:43], s[0:1], 0x4e0
	s_load_b64 s[44:45], s[0:1], 0x4f0
	s_load_b128 s[20:23], s[0:1], 0x5b0
	s_load_b64 s[46:47], s[0:1], 0x680
	s_load_b64 s[48:49], s[0:1], 0x690
	s_wait_xcnt 0x0
	s_load_b128 s[24:27], s[0:1], 0x750
	s_mov_b32 s51, s3
	s_lshl_b64 s[52:53], s[4:5], 2
	v_rcp_iflag_f32_e32 v3, v3
	s_lshl_b64 s[54:55], s[4:5], 1
	s_mov_b64 s[56:57], 0xffffffff
	s_ashr_i32 s62, s5, 31
	s_wait_xcnt 0x0
	s_mov_b32 s1, 0
	v_nop
	v_mul_f32_e32 v3, 0x4f7ffffe, v3
	s_wait_kmcnt 0x0
	s_mul_i32 s50, s33, s2
	s_delay_alu instid0(VALU_DEP_1)
	v_cvt_u32_f32_e32 v26, v3
	s_sub_nc_u64 s[58:59], 0, s[40:41]
	s_sub_nc_u64 s[60:61], 0, s[44:45]
	s_branch .LBB55_3
.LBB55_2:                               ;   in Loop: Header=BB55_3 Depth=1
	s_or_b32 exec_lo, exec_lo, s0
	s_delay_alu instid0(VALU_DEP_1) | instskip(SKIP_1) | instid1(VALU_DEP_1)
	v_mad_nc_u64_u32 v[4:5], s60, v6, v[0:1]
	v_add_nc_u64_e32 v[0:1], s[50:51], v[0:1]
	v_cmp_le_i64_e32 vcc_lo, s[6:7], v[0:1]
	s_delay_alu instid0(VALU_DEP_3) | instskip(SKIP_1) | instid1(VALU_DEP_1)
	v_mad_u32 v3, s61, v6, v5
	s_or_b32 s1, vcc_lo, s1
	v_mad_u32 v5, s60, v7, v3
	v_mul_u64_e32 v[6:7], s[20:21], v[6:7]
	v_mul_f32_e32 v3, v28, v29
	s_delay_alu instid0(VALU_DEP_3) | instskip(NEXT) | instid1(VALU_DEP_3)
	v_mul_u64_e32 v[4:5], s[22:23], v[4:5]
	v_lshl_add_u64 v[6:7], v[6:7], 2, s[42:43]
	s_delay_alu instid0(VALU_DEP_1)
	v_lshl_add_u64 v[4:5], v[4:5], 2, v[6:7]
	global_store_b32 v[4:5], v3, off
	s_wait_xcnt 0x0
	s_and_not1_b32 exec_lo, exec_lo, s1
	s_cbranch_execz .LBB55_59
.LBB55_3:                               ; =>This Inner Loop Header: Depth=1
	v_dual_ashrrev_i32 v4, 31, v1 :: v_dual_bitop2_b32 v3, s5, v1 bitop3:0x54
                                        ; implicit-def: $vgpr6_vgpr7
	s_mov_b32 s0, exec_lo
	s_delay_alu instid0(VALU_DEP_1)
	v_cmpx_ne_u64_e32 0, v[2:3]
	s_xor_b32 s33, exec_lo, s0
	s_cbranch_execz .LBB55_5
; %bb.4:                                ;   in Loop: Header=BB55_3 Depth=1
	s_mov_b32 s63, s62
	v_dual_mov_b32 v5, v4 :: v_dual_mov_b32 v9, v2
	s_add_nc_u64 s[64:65], s[4:5], s[62:63]
	v_mov_b32_e32 v17, v2
	s_xor_b64 s[64:65], s[64:65], s[62:63]
	s_delay_alu instid0(VALU_DEP_2) | instskip(SKIP_4) | instid1(SALU_CYCLE_1)
	v_add_nc_u64_e32 v[6:7], v[0:1], v[4:5]
	s_cvt_f32_u32 s0, s64
	s_cvt_f32_u32 s2, s65
	s_sub_nc_u64 s[68:69], 0, s[64:65]
	v_mov_b32_e32 v13, v2
	s_fmamk_f32 s0, s2, 0x4f800000, s0
	s_delay_alu instid0(VALU_DEP_2) | instskip(SKIP_1) | instid1(SALU_CYCLE_1)
	v_xor_b32_e32 v12, v7, v4
	v_xor_b32_e32 v8, v6, v4
	v_s_rcp_f32 s0, s0
	s_delay_alu instid0(TRANS32_DEP_1) | instskip(NEXT) | instid1(SALU_CYCLE_3)
	s_mul_f32 s0, s0, 0x5f7ffffc
	s_mul_f32 s2, s0, 0x2f800000
	s_delay_alu instid0(SALU_CYCLE_3) | instskip(NEXT) | instid1(SALU_CYCLE_3)
	s_trunc_f32 s2, s2
	s_fmamk_f32 s0, s2, 0xcf800000, s0
	s_cvt_u32_f32 s67, s2
	s_delay_alu instid0(SALU_CYCLE_2) | instskip(NEXT) | instid1(SALU_CYCLE_3)
	s_cvt_u32_f32 s66, s0
	s_mul_u64 s[70:71], s[68:69], s[66:67]
	s_delay_alu instid0(SALU_CYCLE_1)
	s_mul_hi_u32 s73, s66, s71
	s_mul_i32 s72, s66, s71
	s_mul_hi_u32 s2, s66, s70
	s_mul_i32 s63, s67, s70
	s_add_nc_u64 s[72:73], s[2:3], s[72:73]
	s_mul_hi_u32 s0, s67, s70
	s_mul_hi_u32 s74, s67, s71
	s_add_co_u32 s2, s72, s63
	s_add_co_ci_u32 s2, s73, s0
	s_mul_i32 s70, s67, s71
	s_add_co_ci_u32 s71, s74, 0
	s_delay_alu instid0(SALU_CYCLE_1) | instskip(NEXT) | instid1(SALU_CYCLE_1)
	s_add_nc_u64 s[70:71], s[2:3], s[70:71]
	s_add_co_u32 s66, s66, s70
	s_cselect_b32 s0, -1, 0
	s_delay_alu instid0(SALU_CYCLE_1) | instskip(SKIP_1) | instid1(SALU_CYCLE_1)
	s_cmp_lg_u32 s0, 0
	s_add_co_ci_u32 s67, s67, s71
	s_mul_u64 s[68:69], s[68:69], s[66:67]
	s_delay_alu instid0(SALU_CYCLE_1)
	s_mul_hi_u32 s71, s66, s69
	s_mul_i32 s70, s66, s69
	s_mul_hi_u32 s2, s66, s68
	s_mul_i32 s63, s67, s68
	s_add_nc_u64 s[70:71], s[2:3], s[70:71]
	s_mul_hi_u32 s0, s67, s68
	s_mul_hi_u32 s72, s67, s69
	s_add_co_u32 s2, s70, s63
	s_add_co_ci_u32 s2, s71, s0
	s_mul_i32 s68, s67, s69
	s_add_co_ci_u32 s69, s72, 0
	s_delay_alu instid0(SALU_CYCLE_1) | instskip(NEXT) | instid1(SALU_CYCLE_1)
	s_add_nc_u64 s[68:69], s[2:3], s[68:69]
	s_add_co_u32 s0, s66, s68
	s_cselect_b32 s2, -1, 0
	v_nop
	v_mul_hi_u32 v16, v8, s0
	s_cmp_lg_u32 s2, 0
	s_add_co_ci_u32 s2, s67, s69
	s_and_b64 s[66:67], s[0:1], s[56:57]
	v_mul_u64_e32 v[10:11], s[2:3], v[8:9]
	v_mul_u64_e32 v[6:7], s[66:67], v[12:13]
	;; [unrolled: 1-line block ×3, first 2 shown]
	s_delay_alu instid0(VALU_DEP_3) | instskip(NEXT) | instid1(VALU_DEP_1)
	v_add_nc_u64_e32 v[10:11], v[16:17], v[10:11]
	v_add_co_u32 v3, vcc_lo, v10, v6
	s_delay_alu instid0(VALU_DEP_2) | instskip(NEXT) | instid1(VALU_DEP_4)
	v_add_co_ci_u32_e32 v16, vcc_lo, v11, v7, vcc_lo
	v_add_co_ci_u32_e32 v15, vcc_lo, 0, v15, vcc_lo
	s_delay_alu instid0(VALU_DEP_1) | instskip(NEXT) | instid1(VALU_DEP_1)
	v_add_nc_u64_e32 v[6:7], v[16:17], v[14:15]
	v_mul_u64_e32 v[10:11], s[64:65], v[6:7]
	s_delay_alu instid0(VALU_DEP_1) | instskip(NEXT) | instid1(VALU_DEP_2)
	v_sub_nc_u32_e32 v3, v12, v11
	v_sub_co_u32 v5, vcc_lo, v8, v10
	s_delay_alu instid0(VALU_DEP_1) | instskip(NEXT) | instid1(VALU_DEP_3)
	v_sub_co_ci_u32_e64 v12, null, v12, v11, vcc_lo
	v_subrev_co_ci_u32_e64 v3, null, s65, v3, vcc_lo
	s_delay_alu instid0(VALU_DEP_3) | instskip(SKIP_1) | instid1(VALU_DEP_3)
	v_sub_co_u32 v8, s0, v5, s64
	v_add_nc_u64_e32 v[10:11], 1, v[6:7]
	v_subrev_co_ci_u32_e64 v3, null, 0, v3, s0
	s_delay_alu instid0(VALU_DEP_3) | instskip(SKIP_1) | instid1(VALU_DEP_3)
	v_cmp_le_u32_e32 vcc_lo, s64, v8
	v_cndmask_b32_e64 v8, 0, -1, vcc_lo
	v_cmp_le_u32_e32 vcc_lo, s65, v3
	v_cndmask_b32_e64 v9, 0, -1, vcc_lo
	;; [unrolled: 2-line block ×4, first 2 shown]
	v_cmp_eq_u32_e32 vcc_lo, s65, v3
	v_cndmask_b32_e32 v3, v9, v8, vcc_lo
	v_cmp_eq_u32_e32 vcc_lo, s65, v12
	v_add_nc_u64_e32 v[8:9], 2, v[6:7]
	v_cndmask_b32_e32 v5, v13, v5, vcc_lo
	s_delay_alu instid0(VALU_DEP_4) | instskip(NEXT) | instid1(VALU_DEP_2)
	v_cmp_ne_u32_e32 vcc_lo, 0, v3
	v_cmp_ne_u32_e64 s0, 0, v5
	s_delay_alu instid0(VALU_DEP_4) | instskip(NEXT) | instid1(VALU_DEP_1)
	v_dual_cndmask_b32 v3, v11, v9, vcc_lo :: v_dual_cndmask_b32 v5, v10, v8, vcc_lo
	v_dual_cndmask_b32 v3, v7, v3, s0 :: v_dual_bitop2_b32 v8, s62, v4 bitop3:0x14
	s_delay_alu instid0(VALU_DEP_1) | instskip(NEXT) | instid1(VALU_DEP_2)
	v_dual_cndmask_b32 v5, v6, v5, s0 :: v_dual_mov_b32 v9, v8
	v_xor_b32_e32 v7, v3, v8
	s_delay_alu instid0(VALU_DEP_2) | instskip(NEXT) | instid1(VALU_DEP_1)
	v_xor_b32_e32 v6, v5, v8
	v_sub_nc_u64_e32 v[6:7], v[6:7], v[8:9]
.LBB55_5:                               ;   in Loop: Header=BB55_3 Depth=1
	s_and_not1_saveexec_b32 s0, s33
	s_cbranch_execz .LBB55_7
; %bb.6:                                ;   in Loop: Header=BB55_3 Depth=1
	s_sub_co_i32 s2, 0, s4
	s_delay_alu instid0(SALU_CYCLE_1) | instskip(NEXT) | instid1(VALU_DEP_1)
	v_mul_lo_u32 v3, s2, v26
	v_mul_hi_u32 v3, v26, v3
	s_delay_alu instid0(VALU_DEP_1) | instskip(NEXT) | instid1(VALU_DEP_1)
	v_add_nc_u32_e32 v3, v26, v3
	v_mul_hi_u32 v3, v0, v3
	s_delay_alu instid0(VALU_DEP_1) | instskip(NEXT) | instid1(VALU_DEP_1)
	v_mul_lo_u32 v5, v3, s4
	v_dual_add_nc_u32 v6, 1, v3 :: v_dual_sub_nc_u32 v5, v0, v5
	s_delay_alu instid0(VALU_DEP_1) | instskip(SKIP_1) | instid1(VALU_DEP_2)
	v_subrev_nc_u32_e32 v7, s4, v5
	v_cmp_le_u32_e32 vcc_lo, s4, v5
	v_dual_cndmask_b32 v5, v5, v7, vcc_lo :: v_dual_mov_b32 v7, v2
	s_delay_alu instid0(VALU_DEP_4) | instskip(NEXT) | instid1(VALU_DEP_2)
	v_cndmask_b32_e32 v3, v3, v6, vcc_lo
	v_cmp_le_u32_e32 vcc_lo, s4, v5
	s_delay_alu instid0(VALU_DEP_2) | instskip(NEXT) | instid1(VALU_DEP_1)
	v_add_nc_u32_e32 v6, 1, v3
	v_cndmask_b32_e32 v6, v3, v6, vcc_lo
.LBB55_7:                               ;   in Loop: Header=BB55_3 Depth=1
	s_or_b32 exec_lo, exec_lo, s0
	s_delay_alu instid0(VALU_DEP_1) | instskip(SKIP_1) | instid1(VALU_DEP_1)
	v_mul_u64_e32 v[8:9], s[52:53], v[6:7]
                                        ; implicit-def: $vgpr12_vgpr13
	s_mov_b32 s0, exec_lo
	v_add_nc_u64_e32 v[10:11], v[0:1], v[8:9]
	s_delay_alu instid0(VALU_DEP_1) | instskip(NEXT) | instid1(VALU_DEP_1)
	v_or_b32_e32 v3, s49, v11
	v_cmpx_ne_u64_e32 0, v[2:3]
	s_xor_b32 s33, exec_lo, s0
	s_cbranch_execz .LBB55_9
; %bb.8:                                ;   in Loop: Header=BB55_3 Depth=1
	s_ashr_i32 s64, s49, 31
	v_dual_mov_b32 v15, v2 :: v_dual_ashrrev_i32 v12, 31, v11
	s_mov_b32 s65, s64
	v_mov_b32_e32 v23, v2
	s_add_nc_u64 s[66:67], s[48:49], s[64:65]
	s_delay_alu instid0(VALU_DEP_2) | instskip(SKIP_1) | instid1(SALU_CYCLE_1)
	v_mov_b32_e32 v13, v12
	s_xor_b64 s[66:67], s[66:67], s[64:65]
	s_cvt_f32_u32 s0, s66
	s_cvt_f32_u32 s2, s67
	s_sub_nc_u64 s[70:71], 0, s[66:67]
	v_add_nc_u64_e32 v[10:11], v[10:11], v[12:13]
	v_mov_b32_e32 v19, v2
	s_fmamk_f32 s0, s2, 0x4f800000, s0
	s_delay_alu instid0(SALU_CYCLE_3) | instskip(NEXT) | instid1(VALU_DEP_2)
	v_s_rcp_f32 s0, s0
	v_xor_b32_e32 v14, v10, v12
	s_delay_alu instid0(VALU_DEP_3) | instskip(SKIP_1) | instid1(TRANS32_DEP_1)
	v_xor_b32_e32 v18, v11, v12
	v_xor_b32_e32 v12, s64, v12
	s_mul_f32 s0, s0, 0x5f7ffffc
	s_delay_alu instid0(SALU_CYCLE_3) | instskip(NEXT) | instid1(SALU_CYCLE_3)
	s_mul_f32 s2, s0, 0x2f800000
	s_trunc_f32 s2, s2
	s_delay_alu instid0(SALU_CYCLE_3) | instskip(SKIP_1) | instid1(SALU_CYCLE_2)
	s_fmamk_f32 s0, s2, 0xcf800000, s0
	s_cvt_u32_f32 s69, s2
	s_cvt_u32_f32 s68, s0
	s_delay_alu instid0(SALU_CYCLE_3) | instskip(NEXT) | instid1(SALU_CYCLE_1)
	s_mul_u64 s[72:73], s[70:71], s[68:69]
	s_mul_hi_u32 s75, s68, s73
	s_mul_i32 s74, s68, s73
	s_mul_hi_u32 s2, s68, s72
	s_mul_i32 s63, s69, s72
	s_add_nc_u64 s[74:75], s[2:3], s[74:75]
	s_mul_hi_u32 s0, s69, s72
	s_mul_hi_u32 s65, s69, s73
	s_add_co_u32 s2, s74, s63
	s_add_co_ci_u32 s2, s75, s0
	s_mul_i32 s72, s69, s73
	s_add_co_ci_u32 s73, s65, 0
	s_delay_alu instid0(SALU_CYCLE_1) | instskip(NEXT) | instid1(SALU_CYCLE_1)
	s_add_nc_u64 s[72:73], s[2:3], s[72:73]
	s_add_co_u32 s68, s68, s72
	s_cselect_b32 s0, -1, 0
	s_delay_alu instid0(SALU_CYCLE_1) | instskip(SKIP_1) | instid1(SALU_CYCLE_1)
	s_cmp_lg_u32 s0, 0
	s_add_co_ci_u32 s69, s69, s73
	s_mul_u64 s[70:71], s[70:71], s[68:69]
	s_delay_alu instid0(SALU_CYCLE_1)
	s_mul_hi_u32 s73, s68, s71
	s_mul_i32 s72, s68, s71
	s_mul_hi_u32 s2, s68, s70
	s_mul_i32 s63, s69, s70
	s_add_nc_u64 s[72:73], s[2:3], s[72:73]
	s_mul_hi_u32 s0, s69, s70
	s_mul_hi_u32 s65, s69, s71
	s_add_co_u32 s2, s72, s63
	s_add_co_ci_u32 s2, s73, s0
	s_mul_i32 s70, s69, s71
	s_add_co_ci_u32 s71, s65, 0
	s_delay_alu instid0(SALU_CYCLE_1) | instskip(NEXT) | instid1(SALU_CYCLE_1)
	s_add_nc_u64 s[70:71], s[2:3], s[70:71]
	s_add_co_u32 s0, s68, s70
	s_cselect_b32 s2, -1, 0
	v_mul_hi_u32 v22, v14, s0
	s_cmp_lg_u32 s2, 0
	s_add_co_ci_u32 s2, s69, s71
	s_and_b64 s[68:69], s[0:1], s[56:57]
	v_mul_u64_e32 v[16:17], s[2:3], v[14:15]
	v_mul_u64_e32 v[10:11], s[68:69], v[18:19]
	;; [unrolled: 1-line block ×3, first 2 shown]
	s_delay_alu instid0(VALU_DEP_3) | instskip(NEXT) | instid1(VALU_DEP_1)
	v_add_nc_u64_e32 v[16:17], v[22:23], v[16:17]
	v_add_co_u32 v3, vcc_lo, v16, v10
	s_delay_alu instid0(VALU_DEP_2) | instskip(NEXT) | instid1(VALU_DEP_4)
	v_add_co_ci_u32_e32 v22, vcc_lo, v17, v11, vcc_lo
	v_add_co_ci_u32_e32 v21, vcc_lo, 0, v21, vcc_lo
	s_delay_alu instid0(VALU_DEP_1) | instskip(NEXT) | instid1(VALU_DEP_1)
	v_add_nc_u64_e32 v[10:11], v[22:23], v[20:21]
	v_mul_u64_e32 v[16:17], s[66:67], v[10:11]
	s_delay_alu instid0(VALU_DEP_1) | instskip(NEXT) | instid1(VALU_DEP_2)
	v_sub_nc_u32_e32 v3, v18, v17
	v_sub_co_u32 v5, vcc_lo, v14, v16
	s_delay_alu instid0(VALU_DEP_1) | instskip(NEXT) | instid1(VALU_DEP_3)
	v_sub_co_ci_u32_e64 v18, null, v18, v17, vcc_lo
	v_subrev_co_ci_u32_e64 v3, null, s67, v3, vcc_lo
	s_delay_alu instid0(VALU_DEP_3) | instskip(SKIP_1) | instid1(VALU_DEP_3)
	v_sub_co_u32 v13, s0, v5, s66
	v_add_nc_u64_e32 v[16:17], 1, v[10:11]
	v_subrev_co_ci_u32_e64 v3, null, 0, v3, s0
	s_delay_alu instid0(VALU_DEP_3) | instskip(SKIP_1) | instid1(VALU_DEP_3)
	v_cmp_le_u32_e32 vcc_lo, s66, v13
	v_cndmask_b32_e64 v13, 0, -1, vcc_lo
	v_cmp_le_u32_e32 vcc_lo, s67, v3
	v_cndmask_b32_e64 v14, 0, -1, vcc_lo
	;; [unrolled: 2-line block ×4, first 2 shown]
	v_cmp_eq_u32_e32 vcc_lo, s67, v3
	v_cndmask_b32_e32 v3, v14, v13, vcc_lo
	v_cmp_eq_u32_e32 vcc_lo, s67, v18
	v_add_nc_u64_e32 v[14:15], 2, v[10:11]
	v_dual_mov_b32 v13, v12 :: v_dual_cndmask_b32 v5, v19, v5, vcc_lo
	s_delay_alu instid0(VALU_DEP_4) | instskip(NEXT) | instid1(VALU_DEP_2)
	v_cmp_ne_u32_e32 vcc_lo, 0, v3
	v_cmp_ne_u32_e64 s0, 0, v5
	s_delay_alu instid0(VALU_DEP_4) | instskip(NEXT) | instid1(VALU_DEP_1)
	v_dual_cndmask_b32 v5, v16, v14, vcc_lo :: v_dual_cndmask_b32 v3, v17, v15, vcc_lo
	v_dual_cndmask_b32 v5, v10, v5, s0 :: v_dual_cndmask_b32 v3, v11, v3, s0
	s_delay_alu instid0(VALU_DEP_1) | instskip(NEXT) | instid1(VALU_DEP_2)
	v_xor_b32_e32 v10, v5, v12
	v_xor_b32_e32 v11, v3, v12
	s_delay_alu instid0(VALU_DEP_1)
	v_sub_nc_u64_e32 v[12:13], v[10:11], v[12:13]
                                        ; implicit-def: $vgpr10_vgpr11
.LBB55_9:                               ;   in Loop: Header=BB55_3 Depth=1
	s_or_saveexec_b32 s0, s33
	v_cvt_f32_u32_e32 v5, s48
	s_xor_b32 exec_lo, exec_lo, s0
	s_cbranch_execz .LBB55_11
; %bb.10:                               ;   in Loop: Header=BB55_3 Depth=1
	s_delay_alu instid0(VALU_DEP_1) | instskip(SKIP_2) | instid1(TRANS32_DEP_1)
	v_rcp_iflag_f32_e32 v3, v5
	s_sub_co_i32 s2, 0, s48
	v_mov_b32_e32 v13, v2
	v_mul_f32_e32 v3, 0x4f7ffffe, v3
	s_delay_alu instid0(VALU_DEP_1) | instskip(NEXT) | instid1(VALU_DEP_1)
	v_cvt_u32_f32_e32 v3, v3
	v_mul_lo_u32 v11, s2, v3
	s_delay_alu instid0(VALU_DEP_1) | instskip(NEXT) | instid1(VALU_DEP_1)
	v_mul_hi_u32 v11, v3, v11
	v_add_nc_u32_e32 v3, v3, v11
	s_delay_alu instid0(VALU_DEP_1) | instskip(NEXT) | instid1(VALU_DEP_1)
	v_mul_hi_u32 v3, v10, v3
	v_mul_lo_u32 v11, v3, s48
	s_delay_alu instid0(VALU_DEP_1) | instskip(SKIP_1) | instid1(VALU_DEP_2)
	v_sub_nc_u32_e32 v10, v10, v11
	v_add_nc_u32_e32 v11, 1, v3
	v_subrev_nc_u32_e32 v12, s48, v10
	v_cmp_le_u32_e32 vcc_lo, s48, v10
	s_delay_alu instid0(VALU_DEP_2) | instskip(NEXT) | instid1(VALU_DEP_1)
	v_dual_cndmask_b32 v10, v10, v12 :: v_dual_cndmask_b32 v3, v3, v11
	v_cmp_le_u32_e32 vcc_lo, s48, v10
	s_delay_alu instid0(VALU_DEP_2) | instskip(NEXT) | instid1(VALU_DEP_1)
	v_add_nc_u32_e32 v11, 1, v3
	v_cndmask_b32_e32 v12, v3, v11, vcc_lo
.LBB55_11:                              ;   in Loop: Header=BB55_3 Depth=1
	s_or_b32 exec_lo, exec_lo, s0
	s_delay_alu instid0(VALU_DEP_1) | instskip(SKIP_1) | instid1(VALU_DEP_1)
	v_mul_u64_e32 v[10:11], s[48:49], v[12:13]
                                        ; implicit-def: $vgpr14_vgpr15
	s_mov_b32 s0, exec_lo
	v_sub_nc_u64_e32 v[8:9], v[8:9], v[10:11]
	v_mul_u64_e32 v[10:11], s[24:25], v[12:13]
	s_delay_alu instid0(VALU_DEP_2) | instskip(NEXT) | instid1(VALU_DEP_1)
	v_add_nc_u64_e32 v[8:9], v[0:1], v[8:9]
	v_mul_u64_e32 v[8:9], s[26:27], v[8:9]
	s_delay_alu instid0(VALU_DEP_3) | instskip(NEXT) | instid1(VALU_DEP_1)
	v_lshl_add_u64 v[10:11], v[10:11], 2, s[46:47]
	v_lshl_add_u64 v[8:9], v[8:9], 2, v[10:11]
	global_load_b32 v27, v[8:9], off
	s_wait_xcnt 0x0
	v_lshlrev_b64_e32 v[8:9], 2, v[6:7]
	s_delay_alu instid0(VALU_DEP_1) | instskip(NEXT) | instid1(VALU_DEP_1)
	v_mad_nc_u64_u32 v[10:11], s4, v8, s[4:5]
	v_mad_u32 v3, s5, v8, v11
	v_alignbit_b32 v11, v7, v6, 30
	s_delay_alu instid0(VALU_DEP_1) | instskip(NEXT) | instid1(VALU_DEP_1)
	v_mad_u32 v11, s4, v11, v3
	v_add_nc_u64_e32 v[12:13], v[0:1], v[10:11]
	s_delay_alu instid0(VALU_DEP_1) | instskip(NEXT) | instid1(VALU_DEP_1)
	v_or_b32_e32 v3, s49, v13
	v_cmpx_ne_u64_e32 0, v[2:3]
	s_xor_b32 s33, exec_lo, s0
	s_cbranch_execz .LBB55_13
; %bb.12:                               ;   in Loop: Header=BB55_3 Depth=1
	s_ashr_i32 s64, s49, 31
	v_dual_mov_b32 v17, v2 :: v_dual_ashrrev_i32 v14, 31, v13
	s_mov_b32 s65, s64
	s_delay_alu instid0(SALU_CYCLE_1) | instskip(NEXT) | instid1(VALU_DEP_1)
	s_add_nc_u64 s[66:67], s[48:49], s[64:65]
	v_mov_b32_e32 v15, v14
	s_xor_b64 s[66:67], s[66:67], s[64:65]
	s_delay_alu instid0(SALU_CYCLE_1)
	s_cvt_f32_u32 s0, s66
	s_cvt_f32_u32 s2, s67
	s_sub_nc_u64 s[70:71], 0, s[66:67]
	v_add_nc_u64_e32 v[12:13], v[12:13], v[14:15]
	v_mov_b32_e32 v21, v2
	s_fmamk_f32 s0, s2, 0x4f800000, s0
	s_delay_alu instid0(SALU_CYCLE_3) | instskip(NEXT) | instid1(VALU_DEP_2)
	v_s_rcp_f32 s0, s0
	v_xor_b32_e32 v16, v12, v14
	s_delay_alu instid0(VALU_DEP_3) | instskip(NEXT) | instid1(TRANS32_DEP_1)
	v_dual_mov_b32 v25, v2 :: v_dual_bitop2_b32 v20, v13, v14 bitop3:0x14
	s_mul_f32 s0, s0, 0x5f7ffffc
	s_delay_alu instid0(SALU_CYCLE_3) | instskip(NEXT) | instid1(SALU_CYCLE_3)
	s_mul_f32 s2, s0, 0x2f800000
	s_trunc_f32 s2, s2
	s_delay_alu instid0(SALU_CYCLE_3) | instskip(SKIP_1) | instid1(SALU_CYCLE_2)
	s_fmamk_f32 s0, s2, 0xcf800000, s0
	s_cvt_u32_f32 s69, s2
	s_cvt_u32_f32 s68, s0
	s_delay_alu instid0(SALU_CYCLE_3) | instskip(NEXT) | instid1(SALU_CYCLE_1)
	s_mul_u64 s[72:73], s[70:71], s[68:69]
	s_mul_hi_u32 s75, s68, s73
	s_mul_i32 s74, s68, s73
	s_mul_hi_u32 s2, s68, s72
	s_mul_i32 s63, s69, s72
	s_add_nc_u64 s[74:75], s[2:3], s[74:75]
	s_mul_hi_u32 s0, s69, s72
	s_mul_hi_u32 s65, s69, s73
	s_add_co_u32 s2, s74, s63
	s_add_co_ci_u32 s2, s75, s0
	s_mul_i32 s72, s69, s73
	s_add_co_ci_u32 s73, s65, 0
	s_delay_alu instid0(SALU_CYCLE_1) | instskip(NEXT) | instid1(SALU_CYCLE_1)
	s_add_nc_u64 s[72:73], s[2:3], s[72:73]
	s_add_co_u32 s68, s68, s72
	s_cselect_b32 s0, -1, 0
	s_delay_alu instid0(SALU_CYCLE_1) | instskip(SKIP_1) | instid1(SALU_CYCLE_1)
	s_cmp_lg_u32 s0, 0
	s_add_co_ci_u32 s69, s69, s73
	s_mul_u64 s[70:71], s[70:71], s[68:69]
	s_delay_alu instid0(SALU_CYCLE_1)
	s_mul_hi_u32 s73, s68, s71
	s_mul_i32 s72, s68, s71
	s_mul_hi_u32 s2, s68, s70
	s_mul_i32 s63, s69, s70
	s_add_nc_u64 s[72:73], s[2:3], s[72:73]
	s_mul_hi_u32 s0, s69, s70
	s_mul_hi_u32 s65, s69, s71
	s_add_co_u32 s2, s72, s63
	s_add_co_ci_u32 s2, s73, s0
	s_mul_i32 s70, s69, s71
	s_add_co_ci_u32 s71, s65, 0
	s_delay_alu instid0(SALU_CYCLE_1) | instskip(NEXT) | instid1(SALU_CYCLE_1)
	s_add_nc_u64 s[70:71], s[2:3], s[70:71]
	s_add_co_u32 s0, s68, s70
	s_cselect_b32 s2, -1, 0
	v_mul_hi_u32 v24, v16, s0
	s_cmp_lg_u32 s2, 0
	s_add_co_ci_u32 s2, s69, s71
	s_and_b64 s[68:69], s[0:1], s[56:57]
	v_mul_u64_e32 v[18:19], s[2:3], v[16:17]
	v_mul_u64_e32 v[12:13], s[68:69], v[20:21]
	;; [unrolled: 1-line block ×3, first 2 shown]
	s_delay_alu instid0(VALU_DEP_3) | instskip(NEXT) | instid1(VALU_DEP_1)
	v_add_nc_u64_e32 v[18:19], v[24:25], v[18:19]
	v_add_co_u32 v3, vcc_lo, v18, v12
	s_delay_alu instid0(VALU_DEP_2) | instskip(NEXT) | instid1(VALU_DEP_4)
	v_add_co_ci_u32_e32 v24, vcc_lo, v19, v13, vcc_lo
	v_add_co_ci_u32_e32 v23, vcc_lo, 0, v23, vcc_lo
	s_delay_alu instid0(VALU_DEP_1) | instskip(NEXT) | instid1(VALU_DEP_1)
	v_add_nc_u64_e32 v[12:13], v[24:25], v[22:23]
	v_mul_u64_e32 v[18:19], s[66:67], v[12:13]
	s_delay_alu instid0(VALU_DEP_1) | instskip(NEXT) | instid1(VALU_DEP_2)
	v_sub_nc_u32_e32 v3, v20, v19
	v_sub_co_u32 v15, vcc_lo, v16, v18
	s_delay_alu instid0(VALU_DEP_1) | instskip(NEXT) | instid1(VALU_DEP_3)
	v_sub_co_ci_u32_e64 v20, null, v20, v19, vcc_lo
	v_subrev_co_ci_u32_e64 v3, null, s67, v3, vcc_lo
	s_delay_alu instid0(VALU_DEP_3) | instskip(SKIP_1) | instid1(VALU_DEP_3)
	v_sub_co_u32 v16, s0, v15, s66
	v_add_nc_u64_e32 v[18:19], 1, v[12:13]
	v_subrev_co_ci_u32_e64 v3, null, 0, v3, s0
	s_delay_alu instid0(VALU_DEP_3) | instskip(SKIP_1) | instid1(VALU_DEP_3)
	v_cmp_le_u32_e32 vcc_lo, s66, v16
	v_cndmask_b32_e64 v16, 0, -1, vcc_lo
	v_cmp_le_u32_e32 vcc_lo, s67, v3
	v_cndmask_b32_e64 v17, 0, -1, vcc_lo
	;; [unrolled: 2-line block ×4, first 2 shown]
	v_cmp_eq_u32_e32 vcc_lo, s67, v3
	v_cndmask_b32_e32 v3, v17, v16, vcc_lo
	v_cmp_eq_u32_e32 vcc_lo, s67, v20
	v_add_nc_u64_e32 v[16:17], 2, v[12:13]
	v_cndmask_b32_e32 v15, v21, v15, vcc_lo
	s_delay_alu instid0(VALU_DEP_4) | instskip(NEXT) | instid1(VALU_DEP_3)
	v_cmp_ne_u32_e32 vcc_lo, 0, v3
	v_cndmask_b32_e32 v3, v19, v17, vcc_lo
	s_delay_alu instid0(VALU_DEP_3) | instskip(SKIP_1) | instid1(VALU_DEP_2)
	v_cmp_ne_u32_e64 s0, 0, v15
	v_dual_cndmask_b32 v15, v18, v16, vcc_lo :: v_dual_bitop2_b32 v14, s64, v14 bitop3:0x14
	v_cndmask_b32_e64 v3, v13, v3, s0
	s_delay_alu instid0(VALU_DEP_2) | instskip(NEXT) | instid1(VALU_DEP_2)
	v_dual_cndmask_b32 v12, v12, v15, s0 :: v_dual_mov_b32 v15, v14
	v_xor_b32_e32 v13, v3, v14
	s_delay_alu instid0(VALU_DEP_2) | instskip(NEXT) | instid1(VALU_DEP_1)
	v_xor_b32_e32 v12, v12, v14
	v_sub_nc_u64_e32 v[14:15], v[12:13], v[14:15]
                                        ; implicit-def: $vgpr12_vgpr13
.LBB55_13:                              ;   in Loop: Header=BB55_3 Depth=1
	s_and_not1_saveexec_b32 s0, s33
	s_cbranch_execz .LBB55_15
; %bb.14:                               ;   in Loop: Header=BB55_3 Depth=1
	v_rcp_iflag_f32_e32 v3, v5
	s_sub_co_i32 s2, 0, s48
	v_mov_b32_e32 v15, v2
	s_delay_alu instid0(TRANS32_DEP_1) | instskip(NEXT) | instid1(VALU_DEP_1)
	v_mul_f32_e32 v3, 0x4f7ffffe, v3
	v_cvt_u32_f32_e32 v3, v3
	s_delay_alu instid0(VALU_DEP_1) | instskip(NEXT) | instid1(VALU_DEP_1)
	v_mul_lo_u32 v13, s2, v3
	v_mul_hi_u32 v13, v3, v13
	s_delay_alu instid0(VALU_DEP_1) | instskip(NEXT) | instid1(VALU_DEP_1)
	v_add_nc_u32_e32 v3, v3, v13
	v_mul_hi_u32 v3, v12, v3
	s_delay_alu instid0(VALU_DEP_1) | instskip(NEXT) | instid1(VALU_DEP_1)
	v_mul_lo_u32 v13, v3, s48
	v_dual_sub_nc_u32 v12, v12, v13 :: v_dual_add_nc_u32 v13, 1, v3
	s_delay_alu instid0(VALU_DEP_1) | instskip(SKIP_1) | instid1(VALU_DEP_2)
	v_subrev_nc_u32_e32 v14, s48, v12
	v_cmp_le_u32_e32 vcc_lo, s48, v12
	v_dual_cndmask_b32 v12, v12, v14 :: v_dual_cndmask_b32 v3, v3, v13
	s_delay_alu instid0(VALU_DEP_1) | instskip(NEXT) | instid1(VALU_DEP_2)
	v_cmp_le_u32_e32 vcc_lo, s48, v12
	v_add_nc_u32_e32 v13, 1, v3
	s_delay_alu instid0(VALU_DEP_1)
	v_cndmask_b32_e32 v14, v3, v13, vcc_lo
.LBB55_15:                              ;   in Loop: Header=BB55_3 Depth=1
	s_or_b32 exec_lo, exec_lo, s0
	s_delay_alu instid0(VALU_DEP_1) | instskip(SKIP_1) | instid1(VALU_DEP_1)
	v_mul_u64_e32 v[12:13], s[48:49], v[14:15]
	s_mov_b32 s0, exec_lo
	v_sub_nc_u64_e32 v[10:11], v[10:11], v[12:13]
	v_mul_u64_e32 v[12:13], s[24:25], v[14:15]
                                        ; implicit-def: $vgpr14_vgpr15
	s_delay_alu instid0(VALU_DEP_2) | instskip(NEXT) | instid1(VALU_DEP_1)
	v_add_nc_u64_e32 v[10:11], v[0:1], v[10:11]
	v_mul_u64_e32 v[10:11], s[26:27], v[10:11]
	s_delay_alu instid0(VALU_DEP_3) | instskip(NEXT) | instid1(VALU_DEP_1)
	v_lshl_add_u64 v[12:13], v[12:13], 2, s[46:47]
	v_lshl_add_u64 v[10:11], v[10:11], 2, v[12:13]
	global_load_b32 v28, v[10:11], off
	s_wait_xcnt 0x0
	v_add_nc_u64_e32 v[10:11], 2, v[8:9]
	s_delay_alu instid0(VALU_DEP_1) | instskip(NEXT) | instid1(VALU_DEP_1)
	v_mul_u64_e32 v[10:11], s[4:5], v[10:11]
	v_add_nc_u64_e32 v[12:13], v[0:1], v[10:11]
	s_delay_alu instid0(VALU_DEP_1) | instskip(NEXT) | instid1(VALU_DEP_1)
	v_or_b32_e32 v3, s49, v13
	v_cmpx_ne_u64_e32 0, v[2:3]
	s_xor_b32 s33, exec_lo, s0
	s_cbranch_execz .LBB55_17
; %bb.16:                               ;   in Loop: Header=BB55_3 Depth=1
	s_ashr_i32 s64, s49, 31
	v_dual_mov_b32 v17, v2 :: v_dual_ashrrev_i32 v14, 31, v13
	s_mov_b32 s65, s64
	s_delay_alu instid0(SALU_CYCLE_1) | instskip(NEXT) | instid1(VALU_DEP_1)
	s_add_nc_u64 s[66:67], s[48:49], s[64:65]
	v_mov_b32_e32 v15, v14
	s_xor_b64 s[66:67], s[66:67], s[64:65]
	s_delay_alu instid0(SALU_CYCLE_1)
	s_cvt_f32_u32 s0, s66
	s_cvt_f32_u32 s2, s67
	s_sub_nc_u64 s[70:71], 0, s[66:67]
	v_add_nc_u64_e32 v[12:13], v[12:13], v[14:15]
	v_mov_b32_e32 v21, v2
	s_fmamk_f32 s0, s2, 0x4f800000, s0
	s_delay_alu instid0(SALU_CYCLE_3) | instskip(NEXT) | instid1(VALU_DEP_2)
	v_s_rcp_f32 s0, s0
	v_xor_b32_e32 v16, v12, v14
	s_delay_alu instid0(VALU_DEP_3) | instskip(NEXT) | instid1(TRANS32_DEP_1)
	v_dual_mov_b32 v25, v2 :: v_dual_bitop2_b32 v20, v13, v14 bitop3:0x14
	s_mul_f32 s0, s0, 0x5f7ffffc
	s_delay_alu instid0(SALU_CYCLE_3) | instskip(NEXT) | instid1(SALU_CYCLE_3)
	s_mul_f32 s2, s0, 0x2f800000
	s_trunc_f32 s2, s2
	s_delay_alu instid0(SALU_CYCLE_3) | instskip(SKIP_1) | instid1(SALU_CYCLE_2)
	s_fmamk_f32 s0, s2, 0xcf800000, s0
	s_cvt_u32_f32 s69, s2
	s_cvt_u32_f32 s68, s0
	s_delay_alu instid0(SALU_CYCLE_3) | instskip(NEXT) | instid1(SALU_CYCLE_1)
	s_mul_u64 s[72:73], s[70:71], s[68:69]
	s_mul_hi_u32 s75, s68, s73
	s_mul_i32 s74, s68, s73
	s_mul_hi_u32 s2, s68, s72
	s_mul_i32 s63, s69, s72
	s_add_nc_u64 s[74:75], s[2:3], s[74:75]
	s_mul_hi_u32 s0, s69, s72
	s_mul_hi_u32 s65, s69, s73
	s_add_co_u32 s2, s74, s63
	s_add_co_ci_u32 s2, s75, s0
	s_mul_i32 s72, s69, s73
	s_add_co_ci_u32 s73, s65, 0
	s_delay_alu instid0(SALU_CYCLE_1) | instskip(NEXT) | instid1(SALU_CYCLE_1)
	s_add_nc_u64 s[72:73], s[2:3], s[72:73]
	s_add_co_u32 s68, s68, s72
	s_cselect_b32 s0, -1, 0
	s_delay_alu instid0(SALU_CYCLE_1) | instskip(SKIP_1) | instid1(SALU_CYCLE_1)
	s_cmp_lg_u32 s0, 0
	s_add_co_ci_u32 s69, s69, s73
	s_mul_u64 s[70:71], s[70:71], s[68:69]
	s_delay_alu instid0(SALU_CYCLE_1)
	s_mul_hi_u32 s73, s68, s71
	s_mul_i32 s72, s68, s71
	s_mul_hi_u32 s2, s68, s70
	s_mul_i32 s63, s69, s70
	s_add_nc_u64 s[72:73], s[2:3], s[72:73]
	s_mul_hi_u32 s0, s69, s70
	s_mul_hi_u32 s65, s69, s71
	s_add_co_u32 s2, s72, s63
	s_add_co_ci_u32 s2, s73, s0
	s_mul_i32 s70, s69, s71
	s_add_co_ci_u32 s71, s65, 0
	s_delay_alu instid0(SALU_CYCLE_1) | instskip(NEXT) | instid1(SALU_CYCLE_1)
	s_add_nc_u64 s[70:71], s[2:3], s[70:71]
	s_add_co_u32 s0, s68, s70
	s_cselect_b32 s2, -1, 0
	v_mul_hi_u32 v24, v16, s0
	s_cmp_lg_u32 s2, 0
	s_add_co_ci_u32 s2, s69, s71
	s_and_b64 s[68:69], s[0:1], s[56:57]
	v_mul_u64_e32 v[18:19], s[2:3], v[16:17]
	v_mul_u64_e32 v[12:13], s[68:69], v[20:21]
	;; [unrolled: 1-line block ×3, first 2 shown]
	s_delay_alu instid0(VALU_DEP_3) | instskip(NEXT) | instid1(VALU_DEP_1)
	v_add_nc_u64_e32 v[18:19], v[24:25], v[18:19]
	v_add_co_u32 v3, vcc_lo, v18, v12
	s_delay_alu instid0(VALU_DEP_2) | instskip(NEXT) | instid1(VALU_DEP_4)
	v_add_co_ci_u32_e32 v24, vcc_lo, v19, v13, vcc_lo
	v_add_co_ci_u32_e32 v23, vcc_lo, 0, v23, vcc_lo
	s_delay_alu instid0(VALU_DEP_1) | instskip(NEXT) | instid1(VALU_DEP_1)
	v_add_nc_u64_e32 v[12:13], v[24:25], v[22:23]
	v_mul_u64_e32 v[18:19], s[66:67], v[12:13]
	s_delay_alu instid0(VALU_DEP_1) | instskip(NEXT) | instid1(VALU_DEP_2)
	v_sub_nc_u32_e32 v3, v20, v19
	v_sub_co_u32 v15, vcc_lo, v16, v18
	s_delay_alu instid0(VALU_DEP_1) | instskip(NEXT) | instid1(VALU_DEP_3)
	v_sub_co_ci_u32_e64 v20, null, v20, v19, vcc_lo
	v_subrev_co_ci_u32_e64 v3, null, s67, v3, vcc_lo
	s_delay_alu instid0(VALU_DEP_3) | instskip(SKIP_1) | instid1(VALU_DEP_3)
	v_sub_co_u32 v16, s0, v15, s66
	v_add_nc_u64_e32 v[18:19], 1, v[12:13]
	v_subrev_co_ci_u32_e64 v3, null, 0, v3, s0
	s_delay_alu instid0(VALU_DEP_3) | instskip(SKIP_1) | instid1(VALU_DEP_3)
	v_cmp_le_u32_e32 vcc_lo, s66, v16
	v_cndmask_b32_e64 v16, 0, -1, vcc_lo
	v_cmp_le_u32_e32 vcc_lo, s67, v3
	v_cndmask_b32_e64 v17, 0, -1, vcc_lo
	;; [unrolled: 2-line block ×4, first 2 shown]
	v_cmp_eq_u32_e32 vcc_lo, s67, v3
	v_cndmask_b32_e32 v3, v17, v16, vcc_lo
	v_cmp_eq_u32_e32 vcc_lo, s67, v20
	v_add_nc_u64_e32 v[16:17], 2, v[12:13]
	v_cndmask_b32_e32 v15, v21, v15, vcc_lo
	s_delay_alu instid0(VALU_DEP_4) | instskip(NEXT) | instid1(VALU_DEP_3)
	v_cmp_ne_u32_e32 vcc_lo, 0, v3
	v_cndmask_b32_e32 v3, v19, v17, vcc_lo
	s_delay_alu instid0(VALU_DEP_3) | instskip(SKIP_1) | instid1(VALU_DEP_2)
	v_cmp_ne_u32_e64 s0, 0, v15
	v_dual_cndmask_b32 v15, v18, v16, vcc_lo :: v_dual_bitop2_b32 v14, s64, v14 bitop3:0x14
	v_cndmask_b32_e64 v3, v13, v3, s0
	s_delay_alu instid0(VALU_DEP_2) | instskip(NEXT) | instid1(VALU_DEP_2)
	v_dual_cndmask_b32 v12, v12, v15, s0 :: v_dual_mov_b32 v15, v14
	v_xor_b32_e32 v13, v3, v14
	s_delay_alu instid0(VALU_DEP_2) | instskip(NEXT) | instid1(VALU_DEP_1)
	v_xor_b32_e32 v12, v12, v14
	v_sub_nc_u64_e32 v[14:15], v[12:13], v[14:15]
                                        ; implicit-def: $vgpr12_vgpr13
.LBB55_17:                              ;   in Loop: Header=BB55_3 Depth=1
	s_and_not1_saveexec_b32 s0, s33
	s_cbranch_execz .LBB55_19
; %bb.18:                               ;   in Loop: Header=BB55_3 Depth=1
	v_rcp_iflag_f32_e32 v3, v5
	s_sub_co_i32 s2, 0, s48
	v_mov_b32_e32 v15, v2
	s_delay_alu instid0(TRANS32_DEP_1) | instskip(NEXT) | instid1(VALU_DEP_1)
	v_mul_f32_e32 v3, 0x4f7ffffe, v3
	v_cvt_u32_f32_e32 v3, v3
	s_delay_alu instid0(VALU_DEP_1) | instskip(NEXT) | instid1(VALU_DEP_1)
	v_mul_lo_u32 v13, s2, v3
	v_mul_hi_u32 v13, v3, v13
	s_delay_alu instid0(VALU_DEP_1) | instskip(NEXT) | instid1(VALU_DEP_1)
	v_add_nc_u32_e32 v3, v3, v13
	v_mul_hi_u32 v3, v12, v3
	s_delay_alu instid0(VALU_DEP_1) | instskip(NEXT) | instid1(VALU_DEP_1)
	v_mul_lo_u32 v13, v3, s48
	v_dual_sub_nc_u32 v12, v12, v13 :: v_dual_add_nc_u32 v13, 1, v3
	s_delay_alu instid0(VALU_DEP_1) | instskip(SKIP_1) | instid1(VALU_DEP_2)
	v_subrev_nc_u32_e32 v14, s48, v12
	v_cmp_le_u32_e32 vcc_lo, s48, v12
	v_dual_cndmask_b32 v12, v12, v14 :: v_dual_cndmask_b32 v3, v3, v13
	s_delay_alu instid0(VALU_DEP_1) | instskip(NEXT) | instid1(VALU_DEP_2)
	v_cmp_le_u32_e32 vcc_lo, s48, v12
	v_add_nc_u32_e32 v13, 1, v3
	s_delay_alu instid0(VALU_DEP_1)
	v_cndmask_b32_e32 v14, v3, v13, vcc_lo
.LBB55_19:                              ;   in Loop: Header=BB55_3 Depth=1
	s_or_b32 exec_lo, exec_lo, s0
	s_delay_alu instid0(VALU_DEP_1) | instskip(SKIP_1) | instid1(VALU_DEP_1)
	v_mul_u64_e32 v[12:13], s[48:49], v[14:15]
	s_mov_b32 s0, exec_lo
	v_sub_nc_u64_e32 v[10:11], v[10:11], v[12:13]
	v_mul_u64_e32 v[12:13], s[24:25], v[14:15]
                                        ; implicit-def: $vgpr14_vgpr15
	s_delay_alu instid0(VALU_DEP_2) | instskip(NEXT) | instid1(VALU_DEP_1)
	v_add_nc_u64_e32 v[10:11], v[0:1], v[10:11]
	v_mul_u64_e32 v[10:11], s[26:27], v[10:11]
	s_delay_alu instid0(VALU_DEP_3) | instskip(NEXT) | instid1(VALU_DEP_1)
	v_lshl_add_u64 v[12:13], v[12:13], 2, s[46:47]
	v_lshl_add_u64 v[10:11], v[10:11], 2, v[12:13]
	global_load_b32 v24, v[10:11], off
	s_wait_xcnt 0x0
	v_add_nc_u64_e32 v[10:11], 3, v[8:9]
	s_delay_alu instid0(VALU_DEP_1) | instskip(NEXT) | instid1(VALU_DEP_1)
	v_mul_u64_e32 v[10:11], s[4:5], v[10:11]
	v_add_nc_u64_e32 v[12:13], v[0:1], v[10:11]
	s_delay_alu instid0(VALU_DEP_1) | instskip(NEXT) | instid1(VALU_DEP_1)
	v_or_b32_e32 v3, s49, v13
	v_cmpx_ne_u64_e32 0, v[2:3]
	s_xor_b32 s33, exec_lo, s0
	s_cbranch_execz .LBB55_21
; %bb.20:                               ;   in Loop: Header=BB55_3 Depth=1
	s_ashr_i32 s64, s49, 31
	v_dual_mov_b32 v17, v2 :: v_dual_ashrrev_i32 v14, 31, v13
	s_mov_b32 s65, s64
	s_delay_alu instid0(SALU_CYCLE_1) | instskip(NEXT) | instid1(VALU_DEP_1)
	s_add_nc_u64 s[66:67], s[48:49], s[64:65]
	v_mov_b32_e32 v15, v14
	s_xor_b64 s[66:67], s[66:67], s[64:65]
	s_delay_alu instid0(SALU_CYCLE_1)
	s_cvt_f32_u32 s0, s66
	s_cvt_f32_u32 s2, s67
	s_sub_nc_u64 s[70:71], 0, s[66:67]
	v_add_nc_u64_e32 v[12:13], v[12:13], v[14:15]
	v_mov_b32_e32 v21, v2
	s_fmamk_f32 s0, s2, 0x4f800000, s0
	s_delay_alu instid0(SALU_CYCLE_3) | instskip(NEXT) | instid1(VALU_DEP_2)
	v_s_rcp_f32 s0, s0
	v_xor_b32_e32 v16, v12, v14
	s_delay_alu instid0(VALU_DEP_3) | instskip(NEXT) | instid1(TRANS32_DEP_1)
	v_dual_mov_b32 v31, v2 :: v_dual_bitop2_b32 v20, v13, v14 bitop3:0x14
	s_mul_f32 s0, s0, 0x5f7ffffc
	s_delay_alu instid0(SALU_CYCLE_3) | instskip(NEXT) | instid1(SALU_CYCLE_3)
	s_mul_f32 s2, s0, 0x2f800000
	s_trunc_f32 s2, s2
	s_delay_alu instid0(SALU_CYCLE_3) | instskip(SKIP_1) | instid1(SALU_CYCLE_2)
	s_fmamk_f32 s0, s2, 0xcf800000, s0
	s_cvt_u32_f32 s69, s2
	s_cvt_u32_f32 s68, s0
	s_delay_alu instid0(SALU_CYCLE_3) | instskip(NEXT) | instid1(SALU_CYCLE_1)
	s_mul_u64 s[72:73], s[70:71], s[68:69]
	s_mul_hi_u32 s75, s68, s73
	s_mul_i32 s74, s68, s73
	s_mul_hi_u32 s2, s68, s72
	s_mul_i32 s63, s69, s72
	s_add_nc_u64 s[74:75], s[2:3], s[74:75]
	s_mul_hi_u32 s0, s69, s72
	s_mul_hi_u32 s65, s69, s73
	s_add_co_u32 s2, s74, s63
	s_add_co_ci_u32 s2, s75, s0
	s_mul_i32 s72, s69, s73
	s_add_co_ci_u32 s73, s65, 0
	s_delay_alu instid0(SALU_CYCLE_1) | instskip(NEXT) | instid1(SALU_CYCLE_1)
	s_add_nc_u64 s[72:73], s[2:3], s[72:73]
	s_add_co_u32 s68, s68, s72
	s_cselect_b32 s0, -1, 0
	s_delay_alu instid0(SALU_CYCLE_1) | instskip(SKIP_1) | instid1(SALU_CYCLE_1)
	s_cmp_lg_u32 s0, 0
	s_add_co_ci_u32 s69, s69, s73
	s_mul_u64 s[70:71], s[70:71], s[68:69]
	s_delay_alu instid0(SALU_CYCLE_1)
	s_mul_hi_u32 s73, s68, s71
	s_mul_i32 s72, s68, s71
	s_mul_hi_u32 s2, s68, s70
	s_mul_i32 s63, s69, s70
	s_add_nc_u64 s[72:73], s[2:3], s[72:73]
	s_mul_hi_u32 s0, s69, s70
	s_mul_hi_u32 s65, s69, s71
	s_add_co_u32 s2, s72, s63
	s_add_co_ci_u32 s2, s73, s0
	s_mul_i32 s70, s69, s71
	s_add_co_ci_u32 s71, s65, 0
	s_delay_alu instid0(SALU_CYCLE_1) | instskip(NEXT) | instid1(SALU_CYCLE_1)
	s_add_nc_u64 s[70:71], s[2:3], s[70:71]
	s_add_co_u32 s0, s68, s70
	s_cselect_b32 s2, -1, 0
	v_mul_hi_u32 v30, v16, s0
	s_cmp_lg_u32 s2, 0
	s_add_co_ci_u32 s2, s69, s71
	s_and_b64 s[68:69], s[0:1], s[56:57]
	v_mul_u64_e32 v[18:19], s[2:3], v[16:17]
	v_mul_u64_e32 v[12:13], s[68:69], v[20:21]
	;; [unrolled: 1-line block ×3, first 2 shown]
	s_delay_alu instid0(VALU_DEP_3) | instskip(NEXT) | instid1(VALU_DEP_1)
	v_add_nc_u64_e32 v[18:19], v[30:31], v[18:19]
	v_add_co_u32 v3, vcc_lo, v18, v12
	s_delay_alu instid0(VALU_DEP_2) | instskip(NEXT) | instid1(VALU_DEP_4)
	v_add_co_ci_u32_e32 v30, vcc_lo, v19, v13, vcc_lo
	v_add_co_ci_u32_e32 v23, vcc_lo, 0, v23, vcc_lo
	s_delay_alu instid0(VALU_DEP_1) | instskip(NEXT) | instid1(VALU_DEP_1)
	v_add_nc_u64_e32 v[12:13], v[30:31], v[22:23]
	v_mul_u64_e32 v[18:19], s[66:67], v[12:13]
	s_delay_alu instid0(VALU_DEP_1) | instskip(NEXT) | instid1(VALU_DEP_2)
	v_sub_nc_u32_e32 v3, v20, v19
	v_sub_co_u32 v15, vcc_lo, v16, v18
	s_delay_alu instid0(VALU_DEP_1) | instskip(NEXT) | instid1(VALU_DEP_3)
	v_sub_co_ci_u32_e64 v20, null, v20, v19, vcc_lo
	v_subrev_co_ci_u32_e64 v3, null, s67, v3, vcc_lo
	s_delay_alu instid0(VALU_DEP_3) | instskip(SKIP_1) | instid1(VALU_DEP_3)
	v_sub_co_u32 v16, s0, v15, s66
	v_add_nc_u64_e32 v[18:19], 1, v[12:13]
	v_subrev_co_ci_u32_e64 v3, null, 0, v3, s0
	s_delay_alu instid0(VALU_DEP_3) | instskip(SKIP_1) | instid1(VALU_DEP_3)
	v_cmp_le_u32_e32 vcc_lo, s66, v16
	v_cndmask_b32_e64 v16, 0, -1, vcc_lo
	v_cmp_le_u32_e32 vcc_lo, s67, v3
	v_cndmask_b32_e64 v17, 0, -1, vcc_lo
	;; [unrolled: 2-line block ×4, first 2 shown]
	v_cmp_eq_u32_e32 vcc_lo, s67, v3
	v_cndmask_b32_e32 v3, v17, v16, vcc_lo
	v_cmp_eq_u32_e32 vcc_lo, s67, v20
	v_add_nc_u64_e32 v[16:17], 2, v[12:13]
	v_cndmask_b32_e32 v15, v21, v15, vcc_lo
	s_delay_alu instid0(VALU_DEP_4) | instskip(NEXT) | instid1(VALU_DEP_3)
	v_cmp_ne_u32_e32 vcc_lo, 0, v3
	v_cndmask_b32_e32 v3, v19, v17, vcc_lo
	s_delay_alu instid0(VALU_DEP_3) | instskip(SKIP_1) | instid1(VALU_DEP_2)
	v_cmp_ne_u32_e64 s0, 0, v15
	v_dual_cndmask_b32 v15, v18, v16, vcc_lo :: v_dual_bitop2_b32 v14, s64, v14 bitop3:0x14
	v_cndmask_b32_e64 v3, v13, v3, s0
	s_delay_alu instid0(VALU_DEP_2) | instskip(NEXT) | instid1(VALU_DEP_2)
	v_dual_cndmask_b32 v12, v12, v15, s0 :: v_dual_mov_b32 v15, v14
	v_xor_b32_e32 v13, v3, v14
	s_delay_alu instid0(VALU_DEP_2) | instskip(NEXT) | instid1(VALU_DEP_1)
	v_xor_b32_e32 v12, v12, v14
	v_sub_nc_u64_e32 v[14:15], v[12:13], v[14:15]
                                        ; implicit-def: $vgpr12_vgpr13
.LBB55_21:                              ;   in Loop: Header=BB55_3 Depth=1
	s_and_not1_saveexec_b32 s0, s33
	s_cbranch_execz .LBB55_23
; %bb.22:                               ;   in Loop: Header=BB55_3 Depth=1
	v_rcp_iflag_f32_e32 v3, v5
	s_sub_co_i32 s2, 0, s48
	v_mov_b32_e32 v15, v2
	s_delay_alu instid0(TRANS32_DEP_1) | instskip(NEXT) | instid1(VALU_DEP_1)
	v_mul_f32_e32 v3, 0x4f7ffffe, v3
	v_cvt_u32_f32_e32 v3, v3
	s_delay_alu instid0(VALU_DEP_1) | instskip(NEXT) | instid1(VALU_DEP_1)
	v_mul_lo_u32 v13, s2, v3
	v_mul_hi_u32 v13, v3, v13
	s_delay_alu instid0(VALU_DEP_1) | instskip(NEXT) | instid1(VALU_DEP_1)
	v_add_nc_u32_e32 v3, v3, v13
	v_mul_hi_u32 v3, v12, v3
	s_delay_alu instid0(VALU_DEP_1) | instskip(NEXT) | instid1(VALU_DEP_1)
	v_mul_lo_u32 v13, v3, s48
	v_dual_sub_nc_u32 v12, v12, v13 :: v_dual_add_nc_u32 v13, 1, v3
	s_delay_alu instid0(VALU_DEP_1) | instskip(SKIP_1) | instid1(VALU_DEP_2)
	v_subrev_nc_u32_e32 v14, s48, v12
	v_cmp_le_u32_e32 vcc_lo, s48, v12
	v_dual_cndmask_b32 v12, v12, v14 :: v_dual_cndmask_b32 v3, v3, v13
	s_delay_alu instid0(VALU_DEP_1) | instskip(NEXT) | instid1(VALU_DEP_2)
	v_cmp_le_u32_e32 vcc_lo, s48, v12
	v_add_nc_u32_e32 v13, 1, v3
	s_delay_alu instid0(VALU_DEP_1)
	v_cndmask_b32_e32 v14, v3, v13, vcc_lo
.LBB55_23:                              ;   in Loop: Header=BB55_3 Depth=1
	s_or_b32 exec_lo, exec_lo, s0
	s_delay_alu instid0(VALU_DEP_1) | instskip(SKIP_2) | instid1(VALU_DEP_1)
	v_mul_u64_e32 v[12:13], s[48:49], v[14:15]
	v_add_nc_u64_e32 v[8:9], 4, v[8:9]
	s_mov_b32 s0, exec_lo
	v_mul_u64_e32 v[8:9], s[4:5], v[8:9]
	s_delay_alu instid0(VALU_DEP_3) | instskip(SKIP_1) | instid1(VALU_DEP_2)
	v_sub_nc_u64_e32 v[10:11], v[10:11], v[12:13]
	v_mul_u64_e32 v[12:13], s[24:25], v[14:15]
	v_add_nc_u64_e32 v[10:11], v[0:1], v[10:11]
	s_delay_alu instid0(VALU_DEP_1) | instskip(NEXT) | instid1(VALU_DEP_3)
	v_mul_u64_e32 v[10:11], s[26:27], v[10:11]
	v_lshl_add_u64 v[12:13], v[12:13], 2, s[46:47]
	s_delay_alu instid0(VALU_DEP_1) | instskip(SKIP_3) | instid1(VALU_DEP_1)
	v_lshl_add_u64 v[10:11], v[10:11], 2, v[12:13]
                                        ; implicit-def: $vgpr12_vgpr13
	global_load_b32 v25, v[10:11], off
	s_wait_xcnt 0x0
	v_add_nc_u64_e32 v[10:11], v[0:1], v[8:9]
	v_or_b32_e32 v3, s49, v11
	s_delay_alu instid0(VALU_DEP_1)
	v_cmpx_ne_u64_e32 0, v[2:3]
	s_xor_b32 s33, exec_lo, s0
	s_cbranch_execz .LBB55_25
; %bb.24:                               ;   in Loop: Header=BB55_3 Depth=1
	s_ashr_i32 s64, s49, 31
	v_dual_mov_b32 v15, v2 :: v_dual_ashrrev_i32 v12, 31, v11
	s_mov_b32 s65, s64
	v_mov_b32_e32 v23, v2
	s_add_nc_u64 s[66:67], s[48:49], s[64:65]
	s_delay_alu instid0(VALU_DEP_2) | instskip(SKIP_1) | instid1(SALU_CYCLE_1)
	v_mov_b32_e32 v13, v12
	s_xor_b64 s[66:67], s[66:67], s[64:65]
	s_cvt_f32_u32 s0, s66
	s_cvt_f32_u32 s2, s67
	s_sub_nc_u64 s[70:71], 0, s[66:67]
	v_add_nc_u64_e32 v[10:11], v[10:11], v[12:13]
	v_mov_b32_e32 v19, v2
	s_fmamk_f32 s0, s2, 0x4f800000, s0
	s_delay_alu instid0(SALU_CYCLE_3) | instskip(NEXT) | instid1(VALU_DEP_2)
	v_s_rcp_f32 s0, s0
	v_xor_b32_e32 v14, v10, v12
	s_delay_alu instid0(VALU_DEP_3) | instskip(SKIP_1) | instid1(TRANS32_DEP_1)
	v_xor_b32_e32 v18, v11, v12
	v_xor_b32_e32 v12, s64, v12
	s_mul_f32 s0, s0, 0x5f7ffffc
	s_delay_alu instid0(SALU_CYCLE_3) | instskip(NEXT) | instid1(SALU_CYCLE_3)
	s_mul_f32 s2, s0, 0x2f800000
	s_trunc_f32 s2, s2
	s_delay_alu instid0(SALU_CYCLE_3) | instskip(SKIP_1) | instid1(SALU_CYCLE_2)
	s_fmamk_f32 s0, s2, 0xcf800000, s0
	s_cvt_u32_f32 s69, s2
	s_cvt_u32_f32 s68, s0
	s_delay_alu instid0(SALU_CYCLE_3) | instskip(NEXT) | instid1(SALU_CYCLE_1)
	s_mul_u64 s[72:73], s[70:71], s[68:69]
	s_mul_hi_u32 s75, s68, s73
	s_mul_i32 s74, s68, s73
	s_mul_hi_u32 s2, s68, s72
	s_mul_i32 s63, s69, s72
	s_add_nc_u64 s[74:75], s[2:3], s[74:75]
	s_mul_hi_u32 s0, s69, s72
	s_mul_hi_u32 s65, s69, s73
	s_add_co_u32 s2, s74, s63
	s_add_co_ci_u32 s2, s75, s0
	s_mul_i32 s72, s69, s73
	s_add_co_ci_u32 s73, s65, 0
	s_delay_alu instid0(SALU_CYCLE_1) | instskip(NEXT) | instid1(SALU_CYCLE_1)
	s_add_nc_u64 s[72:73], s[2:3], s[72:73]
	s_add_co_u32 s68, s68, s72
	s_cselect_b32 s0, -1, 0
	s_delay_alu instid0(SALU_CYCLE_1) | instskip(SKIP_1) | instid1(SALU_CYCLE_1)
	s_cmp_lg_u32 s0, 0
	s_add_co_ci_u32 s69, s69, s73
	s_mul_u64 s[70:71], s[70:71], s[68:69]
	s_delay_alu instid0(SALU_CYCLE_1)
	s_mul_hi_u32 s73, s68, s71
	s_mul_i32 s72, s68, s71
	s_mul_hi_u32 s2, s68, s70
	s_mul_i32 s63, s69, s70
	s_add_nc_u64 s[72:73], s[2:3], s[72:73]
	s_mul_hi_u32 s0, s69, s70
	s_mul_hi_u32 s65, s69, s71
	s_add_co_u32 s2, s72, s63
	s_add_co_ci_u32 s2, s73, s0
	s_mul_i32 s70, s69, s71
	s_add_co_ci_u32 s71, s65, 0
	s_delay_alu instid0(SALU_CYCLE_1) | instskip(NEXT) | instid1(SALU_CYCLE_1)
	s_add_nc_u64 s[70:71], s[2:3], s[70:71]
	s_add_co_u32 s0, s68, s70
	s_cselect_b32 s2, -1, 0
	v_mul_hi_u32 v22, v14, s0
	s_cmp_lg_u32 s2, 0
	s_add_co_ci_u32 s2, s69, s71
	s_and_b64 s[68:69], s[0:1], s[56:57]
	v_mul_u64_e32 v[16:17], s[2:3], v[14:15]
	v_mul_u64_e32 v[10:11], s[68:69], v[18:19]
	;; [unrolled: 1-line block ×3, first 2 shown]
	s_delay_alu instid0(VALU_DEP_3) | instskip(NEXT) | instid1(VALU_DEP_1)
	v_add_nc_u64_e32 v[16:17], v[22:23], v[16:17]
	v_add_co_u32 v3, vcc_lo, v16, v10
	s_delay_alu instid0(VALU_DEP_2) | instskip(NEXT) | instid1(VALU_DEP_4)
	v_add_co_ci_u32_e32 v22, vcc_lo, v17, v11, vcc_lo
	v_add_co_ci_u32_e32 v21, vcc_lo, 0, v21, vcc_lo
	s_delay_alu instid0(VALU_DEP_1) | instskip(NEXT) | instid1(VALU_DEP_1)
	v_add_nc_u64_e32 v[10:11], v[22:23], v[20:21]
	v_mul_u64_e32 v[16:17], s[66:67], v[10:11]
	s_delay_alu instid0(VALU_DEP_1) | instskip(NEXT) | instid1(VALU_DEP_2)
	v_sub_nc_u32_e32 v3, v18, v17
	v_sub_co_u32 v5, vcc_lo, v14, v16
	s_delay_alu instid0(VALU_DEP_1) | instskip(NEXT) | instid1(VALU_DEP_3)
	v_sub_co_ci_u32_e64 v18, null, v18, v17, vcc_lo
	v_subrev_co_ci_u32_e64 v3, null, s67, v3, vcc_lo
	s_delay_alu instid0(VALU_DEP_3) | instskip(SKIP_1) | instid1(VALU_DEP_3)
	v_sub_co_u32 v13, s0, v5, s66
	v_add_nc_u64_e32 v[16:17], 1, v[10:11]
	v_subrev_co_ci_u32_e64 v3, null, 0, v3, s0
	s_delay_alu instid0(VALU_DEP_3) | instskip(SKIP_1) | instid1(VALU_DEP_3)
	v_cmp_le_u32_e32 vcc_lo, s66, v13
	v_cndmask_b32_e64 v13, 0, -1, vcc_lo
	v_cmp_le_u32_e32 vcc_lo, s67, v3
	v_cndmask_b32_e64 v14, 0, -1, vcc_lo
	;; [unrolled: 2-line block ×4, first 2 shown]
	v_cmp_eq_u32_e32 vcc_lo, s67, v3
	v_cndmask_b32_e32 v3, v14, v13, vcc_lo
	v_cmp_eq_u32_e32 vcc_lo, s67, v18
	v_add_nc_u64_e32 v[14:15], 2, v[10:11]
	v_dual_mov_b32 v13, v12 :: v_dual_cndmask_b32 v5, v19, v5, vcc_lo
	s_delay_alu instid0(VALU_DEP_4) | instskip(NEXT) | instid1(VALU_DEP_2)
	v_cmp_ne_u32_e32 vcc_lo, 0, v3
	v_cmp_ne_u32_e64 s0, 0, v5
	s_delay_alu instid0(VALU_DEP_4) | instskip(NEXT) | instid1(VALU_DEP_1)
	v_dual_cndmask_b32 v5, v16, v14, vcc_lo :: v_dual_cndmask_b32 v3, v17, v15, vcc_lo
	v_dual_cndmask_b32 v5, v10, v5, s0 :: v_dual_cndmask_b32 v3, v11, v3, s0
	s_delay_alu instid0(VALU_DEP_1) | instskip(NEXT) | instid1(VALU_DEP_2)
	v_xor_b32_e32 v10, v5, v12
	v_xor_b32_e32 v11, v3, v12
                                        ; implicit-def: $vgpr5
	s_delay_alu instid0(VALU_DEP_1)
	v_sub_nc_u64_e32 v[12:13], v[10:11], v[12:13]
                                        ; implicit-def: $vgpr10_vgpr11
.LBB55_25:                              ;   in Loop: Header=BB55_3 Depth=1
	s_and_not1_saveexec_b32 s0, s33
	s_cbranch_execz .LBB55_27
; %bb.26:                               ;   in Loop: Header=BB55_3 Depth=1
	v_rcp_iflag_f32_e32 v3, v5
	s_sub_co_i32 s2, 0, s48
	v_mov_b32_e32 v13, v2
	s_delay_alu instid0(TRANS32_DEP_1) | instskip(NEXT) | instid1(VALU_DEP_1)
	v_mul_f32_e32 v3, 0x4f7ffffe, v3
	v_cvt_u32_f32_e32 v3, v3
	s_delay_alu instid0(VALU_DEP_1) | instskip(NEXT) | instid1(VALU_DEP_1)
	v_mul_lo_u32 v5, s2, v3
	v_mul_hi_u32 v5, v3, v5
	s_delay_alu instid0(VALU_DEP_1) | instskip(NEXT) | instid1(VALU_DEP_1)
	v_add_nc_u32_e32 v3, v3, v5
	v_mul_hi_u32 v3, v10, v3
	s_delay_alu instid0(VALU_DEP_1) | instskip(NEXT) | instid1(VALU_DEP_1)
	v_mul_lo_u32 v5, v3, s48
	v_dual_sub_nc_u32 v5, v10, v5 :: v_dual_add_nc_u32 v10, 1, v3
	s_delay_alu instid0(VALU_DEP_1) | instskip(SKIP_1) | instid1(VALU_DEP_2)
	v_subrev_nc_u32_e32 v11, s48, v5
	v_cmp_le_u32_e32 vcc_lo, s48, v5
	v_dual_cndmask_b32 v5, v5, v11, vcc_lo :: v_dual_cndmask_b32 v3, v3, v10, vcc_lo
	s_delay_alu instid0(VALU_DEP_1) | instskip(NEXT) | instid1(VALU_DEP_2)
	v_cmp_le_u32_e32 vcc_lo, s48, v5
	v_add_nc_u32_e32 v10, 1, v3
	s_delay_alu instid0(VALU_DEP_1)
	v_cndmask_b32_e32 v12, v3, v10, vcc_lo
.LBB55_27:                              ;   in Loop: Header=BB55_3 Depth=1
	s_or_b32 exec_lo, exec_lo, s0
	s_delay_alu instid0(VALU_DEP_1) | instskip(SKIP_2) | instid1(VALU_DEP_2)
	v_mul_u64_e32 v[10:11], s[48:49], v[12:13]
	v_or_b32_e32 v3, s41, v1
	s_mov_b32 s0, exec_lo
	v_sub_nc_u64_e32 v[8:9], v[8:9], v[10:11]
	v_mul_u64_e32 v[10:11], s[24:25], v[12:13]
	s_delay_alu instid0(VALU_DEP_2) | instskip(NEXT) | instid1(VALU_DEP_1)
	v_add_nc_u64_e32 v[8:9], v[0:1], v[8:9]
	v_mul_u64_e32 v[8:9], s[26:27], v[8:9]
	s_delay_alu instid0(VALU_DEP_3) | instskip(NEXT) | instid1(VALU_DEP_1)
	v_lshl_add_u64 v[10:11], v[10:11], 2, s[46:47]
	v_lshl_add_u64 v[8:9], v[8:9], 2, v[10:11]
	global_load_b32 v20, v[8:9], off
                                        ; implicit-def: $vgpr8_vgpr9
	s_wait_xcnt 0x0
	v_cmpx_ne_u64_e32 0, v[2:3]
	s_xor_b32 s33, exec_lo, s0
	s_cbranch_execz .LBB55_29
; %bb.28:                               ;   in Loop: Header=BB55_3 Depth=1
	s_ashr_i32 s64, s41, 31
	v_dual_mov_b32 v5, v4 :: v_dual_mov_b32 v11, v2
	s_mov_b32 s65, s64
	v_mov_b32_e32 v15, v2
	s_add_nc_u64 s[66:67], s[40:41], s[64:65]
	s_delay_alu instid0(VALU_DEP_2)
	v_add_nc_u64_e32 v[8:9], v[0:1], v[4:5]
	s_xor_b64 s[66:67], s[66:67], s[64:65]
	v_mov_b32_e32 v19, v2
	s_cvt_f32_u32 s0, s66
	s_cvt_f32_u32 s2, s67
	s_sub_nc_u64 s[70:71], 0, s[66:67]
	s_delay_alu instid0(VALU_DEP_2) | instskip(NEXT) | instid1(SALU_CYCLE_1)
	v_xor_b32_e32 v10, v8, v4
	s_fmamk_f32 s0, s2, 0x4f800000, s0
	v_xor_b32_e32 v14, v9, v4
	s_delay_alu instid0(SALU_CYCLE_2) | instskip(NEXT) | instid1(TRANS32_DEP_1)
	v_s_rcp_f32 s0, s0
	s_mul_f32 s0, s0, 0x5f7ffffc
	s_delay_alu instid0(SALU_CYCLE_3) | instskip(NEXT) | instid1(SALU_CYCLE_3)
	s_mul_f32 s2, s0, 0x2f800000
	s_trunc_f32 s2, s2
	s_delay_alu instid0(SALU_CYCLE_3) | instskip(SKIP_1) | instid1(SALU_CYCLE_2)
	s_fmamk_f32 s0, s2, 0xcf800000, s0
	s_cvt_u32_f32 s69, s2
	s_cvt_u32_f32 s68, s0
	s_delay_alu instid0(SALU_CYCLE_3) | instskip(NEXT) | instid1(SALU_CYCLE_1)
	s_mul_u64 s[72:73], s[70:71], s[68:69]
	s_mul_hi_u32 s75, s68, s73
	s_mul_i32 s74, s68, s73
	s_mul_hi_u32 s2, s68, s72
	s_mul_i32 s63, s69, s72
	s_add_nc_u64 s[74:75], s[2:3], s[74:75]
	s_mul_hi_u32 s0, s69, s72
	s_mul_hi_u32 s65, s69, s73
	s_add_co_u32 s2, s74, s63
	s_add_co_ci_u32 s2, s75, s0
	s_mul_i32 s72, s69, s73
	s_add_co_ci_u32 s73, s65, 0
	s_delay_alu instid0(SALU_CYCLE_1) | instskip(NEXT) | instid1(SALU_CYCLE_1)
	s_add_nc_u64 s[72:73], s[2:3], s[72:73]
	s_add_co_u32 s68, s68, s72
	s_cselect_b32 s0, -1, 0
	s_delay_alu instid0(SALU_CYCLE_1) | instskip(SKIP_1) | instid1(SALU_CYCLE_1)
	s_cmp_lg_u32 s0, 0
	s_add_co_ci_u32 s69, s69, s73
	s_mul_u64 s[70:71], s[70:71], s[68:69]
	s_delay_alu instid0(SALU_CYCLE_1)
	s_mul_hi_u32 s73, s68, s71
	s_mul_i32 s72, s68, s71
	s_mul_hi_u32 s2, s68, s70
	s_mul_i32 s63, s69, s70
	s_add_nc_u64 s[72:73], s[2:3], s[72:73]
	s_mul_hi_u32 s0, s69, s70
	s_mul_hi_u32 s65, s69, s71
	s_add_co_u32 s2, s72, s63
	s_add_co_ci_u32 s2, s73, s0
	s_mul_i32 s70, s69, s71
	s_add_co_ci_u32 s71, s65, 0
	s_delay_alu instid0(SALU_CYCLE_1) | instskip(NEXT) | instid1(SALU_CYCLE_1)
	s_add_nc_u64 s[70:71], s[2:3], s[70:71]
	s_add_co_u32 s0, s68, s70
	s_cselect_b32 s2, -1, 0
	v_nop
	v_mul_hi_u32 v18, v10, s0
	s_cmp_lg_u32 s2, 0
	s_add_co_ci_u32 s2, s69, s71
	s_and_b64 s[68:69], s[0:1], s[56:57]
	v_mul_u64_e32 v[12:13], s[2:3], v[10:11]
	v_mul_u64_e32 v[8:9], s[68:69], v[14:15]
	;; [unrolled: 1-line block ×3, first 2 shown]
	s_delay_alu instid0(VALU_DEP_3) | instskip(NEXT) | instid1(VALU_DEP_1)
	v_add_nc_u64_e32 v[12:13], v[18:19], v[12:13]
	v_add_co_u32 v3, vcc_lo, v12, v8
	s_delay_alu instid0(VALU_DEP_2) | instskip(NEXT) | instid1(VALU_DEP_4)
	v_add_co_ci_u32_e32 v18, vcc_lo, v13, v9, vcc_lo
	v_add_co_ci_u32_e32 v17, vcc_lo, 0, v17, vcc_lo
	s_delay_alu instid0(VALU_DEP_1) | instskip(NEXT) | instid1(VALU_DEP_1)
	v_add_nc_u64_e32 v[8:9], v[18:19], v[16:17]
	v_mul_u64_e32 v[12:13], s[66:67], v[8:9]
	s_delay_alu instid0(VALU_DEP_1) | instskip(NEXT) | instid1(VALU_DEP_2)
	v_sub_nc_u32_e32 v3, v14, v13
	v_sub_co_u32 v5, vcc_lo, v10, v12
	s_delay_alu instid0(VALU_DEP_1) | instskip(NEXT) | instid1(VALU_DEP_3)
	v_sub_co_ci_u32_e64 v14, null, v14, v13, vcc_lo
	v_subrev_co_ci_u32_e64 v3, null, s67, v3, vcc_lo
	s_delay_alu instid0(VALU_DEP_3) | instskip(SKIP_1) | instid1(VALU_DEP_3)
	v_sub_co_u32 v10, s0, v5, s66
	v_add_nc_u64_e32 v[12:13], 1, v[8:9]
	v_subrev_co_ci_u32_e64 v3, null, 0, v3, s0
	s_delay_alu instid0(VALU_DEP_3) | instskip(SKIP_1) | instid1(VALU_DEP_3)
	v_cmp_le_u32_e32 vcc_lo, s66, v10
	v_cndmask_b32_e64 v10, 0, -1, vcc_lo
	v_cmp_le_u32_e32 vcc_lo, s67, v3
	v_cndmask_b32_e64 v11, 0, -1, vcc_lo
	;; [unrolled: 2-line block ×4, first 2 shown]
	v_cmp_eq_u32_e32 vcc_lo, s67, v3
	v_cndmask_b32_e32 v3, v11, v10, vcc_lo
	v_cmp_eq_u32_e32 vcc_lo, s67, v14
	v_add_nc_u64_e32 v[10:11], 2, v[8:9]
	v_cndmask_b32_e32 v5, v15, v5, vcc_lo
	s_delay_alu instid0(VALU_DEP_4) | instskip(NEXT) | instid1(VALU_DEP_3)
	v_cmp_ne_u32_e32 vcc_lo, 0, v3
	v_cndmask_b32_e32 v3, v13, v11, vcc_lo
	s_delay_alu instid0(VALU_DEP_3) | instskip(SKIP_1) | instid1(VALU_DEP_1)
	v_cmp_ne_u32_e64 s0, 0, v5
	v_dual_cndmask_b32 v5, v12, v10, vcc_lo :: v_dual_bitop2_b32 v10, s64, v4 bitop3:0x14
	v_dual_cndmask_b32 v3, v9, v3, s0 :: v_dual_cndmask_b32 v5, v8, v5, s0
	s_delay_alu instid0(VALU_DEP_1) | instskip(NEXT) | instid1(VALU_DEP_2)
	v_dual_mov_b32 v11, v10 :: v_dual_bitop2_b32 v9, v3, v10 bitop3:0x14
	v_xor_b32_e32 v8, v5, v10
	s_delay_alu instid0(VALU_DEP_1)
	v_sub_nc_u64_e32 v[8:9], v[8:9], v[10:11]
.LBB55_29:                              ;   in Loop: Header=BB55_3 Depth=1
	s_and_not1_saveexec_b32 s0, s33
	s_cbranch_execz .LBB55_31
; %bb.30:                               ;   in Loop: Header=BB55_3 Depth=1
	v_cvt_f32_u32_e32 v3, s40
	s_sub_co_i32 s2, 0, s40
	s_delay_alu instid0(VALU_DEP_1) | instskip(SKIP_1) | instid1(TRANS32_DEP_1)
	v_rcp_iflag_f32_e32 v3, v3
	v_nop
	v_mul_f32_e32 v3, 0x4f7ffffe, v3
	s_delay_alu instid0(VALU_DEP_1) | instskip(NEXT) | instid1(VALU_DEP_1)
	v_cvt_u32_f32_e32 v3, v3
	v_mul_lo_u32 v5, s2, v3
	s_delay_alu instid0(VALU_DEP_1) | instskip(NEXT) | instid1(VALU_DEP_1)
	v_mul_hi_u32 v5, v3, v5
	v_add_nc_u32_e32 v3, v3, v5
	s_delay_alu instid0(VALU_DEP_1) | instskip(NEXT) | instid1(VALU_DEP_1)
	v_mul_hi_u32 v3, v0, v3
	v_mul_lo_u32 v5, v3, s40
	s_delay_alu instid0(VALU_DEP_1) | instskip(NEXT) | instid1(VALU_DEP_1)
	v_sub_nc_u32_e32 v5, v0, v5
	v_subrev_nc_u32_e32 v9, s40, v5
	v_cmp_le_u32_e32 vcc_lo, s40, v5
	s_delay_alu instid0(VALU_DEP_2) | instskip(NEXT) | instid1(VALU_DEP_1)
	v_dual_cndmask_b32 v5, v5, v9 :: v_dual_add_nc_u32 v8, 1, v3
	v_dual_cndmask_b32 v3, v3, v8, vcc_lo :: v_dual_mov_b32 v9, v2
	s_delay_alu instid0(VALU_DEP_2) | instskip(NEXT) | instid1(VALU_DEP_2)
	v_cmp_le_u32_e32 vcc_lo, s40, v5
	v_add_nc_u32_e32 v8, 1, v3
	s_delay_alu instid0(VALU_DEP_1)
	v_cndmask_b32_e32 v8, v3, v8, vcc_lo
.LBB55_31:                              ;   in Loop: Header=BB55_3 Depth=1
	s_or_b32 exec_lo, exec_lo, s0
	s_delay_alu instid0(VALU_DEP_1) | instskip(SKIP_1) | instid1(VALU_DEP_1)
	v_mad_nc_u64_u32 v[10:11], s58, v8, v[0:1]
                                        ; implicit-def: $vgpr14_vgpr15
	s_mov_b32 s0, exec_lo
	v_mad_u32 v3, s59, v8, v11
	s_delay_alu instid0(VALU_DEP_1) | instskip(SKIP_1) | instid1(VALU_DEP_2)
	v_mad_u32 v11, s58, v9, v3
	v_mul_u64_e32 v[8:9], s[16:17], v[8:9]
	v_mul_u64_e32 v[10:11], s[18:19], v[10:11]
	s_delay_alu instid0(VALU_DEP_2) | instskip(NEXT) | instid1(VALU_DEP_1)
	v_lshl_add_u64 v[8:9], v[8:9], 2, s[38:39]
	v_lshl_add_u64 v[8:9], v[10:11], 2, v[8:9]
	global_load_b32 v29, v[8:9], off
	s_wait_xcnt 0x0
	v_mul_u64_e32 v[8:9], s[54:55], v[6:7]
	s_delay_alu instid0(VALU_DEP_1) | instskip(NEXT) | instid1(VALU_DEP_1)
	v_add_nc_u64_e32 v[18:19], v[0:1], v[8:9]
	v_dual_ashrrev_i32 v12, 31, v19 :: v_dual_bitop2_b32 v3, s31, v19 bitop3:0x54
	s_delay_alu instid0(VALU_DEP_1)
	v_cmpx_ne_u64_e32 0, v[2:3]
	s_xor_b32 s33, exec_lo, s0
	s_cbranch_execz .LBB55_33
; %bb.32:                               ;   in Loop: Header=BB55_3 Depth=1
	s_ashr_i32 s64, s31, 31
	v_dual_mov_b32 v13, v12 :: v_dual_mov_b32 v15, v2
	s_mov_b32 s65, s64
	v_mov_b32_e32 v33, v2
	s_add_nc_u64 s[66:67], s[30:31], s[64:65]
	s_delay_alu instid0(VALU_DEP_2)
	v_add_nc_u64_e32 v[10:11], v[18:19], v[12:13]
	s_xor_b64 s[66:67], s[66:67], s[64:65]
	v_mov_b32_e32 v23, v2
	s_cvt_f32_u32 s0, s66
	s_cvt_f32_u32 s2, s67
	s_sub_nc_u64 s[70:71], 0, s[66:67]
	s_delay_alu instid0(VALU_DEP_2) | instskip(NEXT) | instid1(SALU_CYCLE_1)
	v_xor_b32_e32 v14, v10, v12
	s_fmamk_f32 s0, s2, 0x4f800000, s0
	v_xor_b32_e32 v22, v11, v12
	s_delay_alu instid0(SALU_CYCLE_2) | instskip(NEXT) | instid1(TRANS32_DEP_1)
	v_s_rcp_f32 s0, s0
	s_mul_f32 s0, s0, 0x5f7ffffc
	s_delay_alu instid0(SALU_CYCLE_3) | instskip(NEXT) | instid1(SALU_CYCLE_3)
	s_mul_f32 s2, s0, 0x2f800000
	s_trunc_f32 s2, s2
	s_delay_alu instid0(SALU_CYCLE_3) | instskip(SKIP_1) | instid1(SALU_CYCLE_2)
	s_fmamk_f32 s0, s2, 0xcf800000, s0
	s_cvt_u32_f32 s69, s2
	s_cvt_u32_f32 s68, s0
	s_delay_alu instid0(SALU_CYCLE_3) | instskip(NEXT) | instid1(SALU_CYCLE_1)
	s_mul_u64 s[72:73], s[70:71], s[68:69]
	s_mul_hi_u32 s75, s68, s73
	s_mul_i32 s74, s68, s73
	s_mul_hi_u32 s2, s68, s72
	s_mul_i32 s63, s69, s72
	s_add_nc_u64 s[74:75], s[2:3], s[74:75]
	s_mul_hi_u32 s0, s69, s72
	s_mul_hi_u32 s65, s69, s73
	s_add_co_u32 s2, s74, s63
	s_add_co_ci_u32 s2, s75, s0
	s_mul_i32 s72, s69, s73
	s_add_co_ci_u32 s73, s65, 0
	s_delay_alu instid0(SALU_CYCLE_1) | instskip(NEXT) | instid1(SALU_CYCLE_1)
	s_add_nc_u64 s[72:73], s[2:3], s[72:73]
	s_add_co_u32 s68, s68, s72
	s_cselect_b32 s0, -1, 0
	s_delay_alu instid0(SALU_CYCLE_1) | instskip(SKIP_1) | instid1(SALU_CYCLE_1)
	s_cmp_lg_u32 s0, 0
	s_add_co_ci_u32 s69, s69, s73
	s_mul_u64 s[70:71], s[70:71], s[68:69]
	s_delay_alu instid0(SALU_CYCLE_1)
	s_mul_hi_u32 s73, s68, s71
	s_mul_i32 s72, s68, s71
	s_mul_hi_u32 s2, s68, s70
	s_mul_i32 s63, s69, s70
	s_add_nc_u64 s[72:73], s[2:3], s[72:73]
	s_mul_hi_u32 s0, s69, s70
	s_mul_hi_u32 s65, s69, s71
	s_add_co_u32 s2, s72, s63
	s_add_co_ci_u32 s2, s73, s0
	s_mul_i32 s70, s69, s71
	s_add_co_ci_u32 s71, s65, 0
	s_delay_alu instid0(SALU_CYCLE_1) | instskip(NEXT) | instid1(SALU_CYCLE_1)
	s_add_nc_u64 s[70:71], s[2:3], s[70:71]
	s_add_co_u32 s0, s68, s70
	s_cselect_b32 s2, -1, 0
	v_nop
	v_mul_hi_u32 v32, v14, s0
	s_cmp_lg_u32 s2, 0
	s_add_co_ci_u32 s2, s69, s71
	s_and_b64 s[68:69], s[0:1], s[56:57]
	v_mul_u64_e32 v[16:17], s[2:3], v[14:15]
	v_mul_u64_e32 v[10:11], s[68:69], v[22:23]
	;; [unrolled: 1-line block ×3, first 2 shown]
	s_delay_alu instid0(VALU_DEP_3) | instskip(NEXT) | instid1(VALU_DEP_1)
	v_add_nc_u64_e32 v[16:17], v[32:33], v[16:17]
	v_add_co_u32 v3, vcc_lo, v16, v10
	s_delay_alu instid0(VALU_DEP_2) | instskip(NEXT) | instid1(VALU_DEP_4)
	v_add_co_ci_u32_e32 v32, vcc_lo, v17, v11, vcc_lo
	v_add_co_ci_u32_e32 v31, vcc_lo, 0, v31, vcc_lo
	s_delay_alu instid0(VALU_DEP_1) | instskip(NEXT) | instid1(VALU_DEP_1)
	v_add_nc_u64_e32 v[10:11], v[32:33], v[30:31]
	v_mul_u64_e32 v[16:17], s[66:67], v[10:11]
	s_delay_alu instid0(VALU_DEP_1) | instskip(NEXT) | instid1(VALU_DEP_2)
	v_sub_nc_u32_e32 v3, v22, v17
	v_sub_co_u32 v5, vcc_lo, v14, v16
	s_delay_alu instid0(VALU_DEP_1) | instskip(NEXT) | instid1(VALU_DEP_3)
	v_sub_co_ci_u32_e64 v21, null, v22, v17, vcc_lo
	v_subrev_co_ci_u32_e64 v3, null, s67, v3, vcc_lo
	s_delay_alu instid0(VALU_DEP_3) | instskip(SKIP_1) | instid1(VALU_DEP_3)
	v_sub_co_u32 v13, s0, v5, s66
	v_add_nc_u64_e32 v[16:17], 1, v[10:11]
	v_subrev_co_ci_u32_e64 v3, null, 0, v3, s0
	s_delay_alu instid0(VALU_DEP_3) | instskip(SKIP_1) | instid1(VALU_DEP_3)
	v_cmp_le_u32_e32 vcc_lo, s66, v13
	v_cndmask_b32_e64 v13, 0, -1, vcc_lo
	v_cmp_le_u32_e32 vcc_lo, s67, v3
	v_cndmask_b32_e64 v14, 0, -1, vcc_lo
	;; [unrolled: 2-line block ×4, first 2 shown]
	v_cmp_eq_u32_e32 vcc_lo, s67, v3
	v_cndmask_b32_e32 v3, v14, v13, vcc_lo
	v_cmp_eq_u32_e32 vcc_lo, s67, v21
	v_add_nc_u64_e32 v[14:15], 2, v[10:11]
	v_cndmask_b32_e32 v5, v22, v5, vcc_lo
	s_delay_alu instid0(VALU_DEP_4) | instskip(NEXT) | instid1(VALU_DEP_2)
	v_cmp_ne_u32_e32 vcc_lo, 0, v3
	v_cmp_ne_u32_e64 s0, 0, v5
	s_delay_alu instid0(VALU_DEP_4) | instskip(NEXT) | instid1(VALU_DEP_1)
	v_dual_cndmask_b32 v3, v17, v15, vcc_lo :: v_dual_cndmask_b32 v5, v16, v14, vcc_lo
	v_dual_cndmask_b32 v3, v11, v3, s0 :: v_dual_bitop2_b32 v14, s64, v12 bitop3:0x14
	s_delay_alu instid0(VALU_DEP_2) | instskip(NEXT) | instid1(VALU_DEP_2)
	v_cndmask_b32_e64 v5, v10, v5, s0
	v_dual_mov_b32 v15, v14 :: v_dual_bitop2_b32 v11, v3, v14 bitop3:0x14
	s_delay_alu instid0(VALU_DEP_2) | instskip(NEXT) | instid1(VALU_DEP_1)
	v_xor_b32_e32 v10, v5, v14
	v_sub_nc_u64_e32 v[14:15], v[10:11], v[14:15]
.LBB55_33:                              ;   in Loop: Header=BB55_3 Depth=1
	s_or_saveexec_b32 s0, s33
	v_cvt_f32_u32_e32 v13, s30
	s_xor_b32 exec_lo, exec_lo, s0
	s_cbranch_execz .LBB55_35
; %bb.34:                               ;   in Loop: Header=BB55_3 Depth=1
	s_delay_alu instid0(VALU_DEP_1) | instskip(SKIP_2) | instid1(TRANS32_DEP_1)
	v_rcp_iflag_f32_e32 v3, v13
	s_sub_co_i32 s2, 0, s30
	v_mov_b32_e32 v15, v2
	v_mul_f32_e32 v3, 0x4f7ffffe, v3
	s_delay_alu instid0(VALU_DEP_1) | instskip(NEXT) | instid1(VALU_DEP_1)
	v_cvt_u32_f32_e32 v3, v3
	v_mul_lo_u32 v5, s2, v3
	s_delay_alu instid0(VALU_DEP_1) | instskip(NEXT) | instid1(VALU_DEP_1)
	v_mul_hi_u32 v5, v3, v5
	v_add_nc_u32_e32 v3, v3, v5
	s_delay_alu instid0(VALU_DEP_1) | instskip(NEXT) | instid1(VALU_DEP_1)
	v_mul_hi_u32 v3, v18, v3
	v_mul_lo_u32 v5, v3, s30
	s_delay_alu instid0(VALU_DEP_1) | instskip(NEXT) | instid1(VALU_DEP_1)
	v_dual_add_nc_u32 v10, 1, v3 :: v_dual_sub_nc_u32 v5, v18, v5
	v_subrev_nc_u32_e32 v11, s30, v5
	v_cmp_le_u32_e32 vcc_lo, s30, v5
	s_delay_alu instid0(VALU_DEP_2) | instskip(NEXT) | instid1(VALU_DEP_1)
	v_dual_cndmask_b32 v5, v5, v11, vcc_lo :: v_dual_cndmask_b32 v3, v3, v10, vcc_lo
	v_cmp_le_u32_e32 vcc_lo, s30, v5
	s_delay_alu instid0(VALU_DEP_2) | instskip(NEXT) | instid1(VALU_DEP_1)
	v_add_nc_u32_e32 v10, 1, v3
	v_cndmask_b32_e32 v14, v3, v10, vcc_lo
.LBB55_35:                              ;   in Loop: Header=BB55_3 Depth=1
	s_or_b32 exec_lo, exec_lo, s0
	s_delay_alu instid0(VALU_DEP_1)
	v_mul_u64_e32 v[10:11], s[30:31], v[14:15]
	v_lshlrev_b64_e32 v[16:17], 1, v[6:7]
	v_mul_u64_e32 v[14:15], s[8:9], v[14:15]
	v_alignbit_b32 v5, v7, v6, 31
	s_wait_loadcnt 0x3
	v_fma_f32 v7, -v24, v24, 1.0
	v_sub_f32_e32 v31, 1.0, v28
	s_mov_b32 s0, exec_lo
	s_wait_loadcnt 0x0
	s_delay_alu instid0(VALU_DEP_1) | instskip(SKIP_2) | instid1(VALU_DEP_2)
	v_mul_f32_e32 v6, v31, v29
	v_sub_nc_u64_e32 v[22:23], v[8:9], v[10:11]
	v_mad_nc_u64_u32 v[10:11], s4, v16, s[4:5]
	v_add_nc_u64_e32 v[22:23], v[0:1], v[22:23]
	s_delay_alu instid0(VALU_DEP_2) | instskip(NEXT) | instid1(VALU_DEP_2)
	v_mad_u32 v3, s5, v16, v11
	v_mul_u64_e32 v[22:23], s[10:11], v[22:23]
	s_delay_alu instid0(VALU_DEP_2) | instskip(SKIP_1) | instid1(VALU_DEP_1)
	v_mad_u32 v11, s4, v5, v3
	v_dual_mul_f32 v5, v7, v6 :: v_dual_sub_f32 v6, 1.0, v27
	v_mul_f32_e32 v3, v20, v5
	s_delay_alu instid0(VALU_DEP_3) | instskip(NEXT) | instid1(VALU_DEP_2)
	v_add_nc_u64_e32 v[20:21], v[0:1], v[10:11]
	v_mul_f32_e32 v30, v6, v3
	v_lshl_add_u64 v[6:7], v[14:15], 2, s[28:29]
	s_delay_alu instid0(VALU_DEP_2) | instskip(SKIP_1) | instid1(VALU_DEP_3)
	v_dual_mul_f32 v30, v27, v30 :: v_dual_bitop2_b32 v3, s31, v21 bitop3:0x54
	v_ashrrev_i32_e32 v14, 31, v21
	v_lshl_add_u64 v[6:7], v[22:23], 2, v[6:7]
                                        ; implicit-def: $vgpr22_vgpr23
	global_store_b32 v[6:7], v30, off
	s_wait_xcnt 0x0
	v_cmpx_ne_u64_e32 0, v[2:3]
	s_xor_b32 s33, exec_lo, s0
	s_cbranch_execz .LBB55_37
; %bb.36:                               ;   in Loop: Header=BB55_3 Depth=1
	s_ashr_i32 s64, s31, 31
	v_dual_mov_b32 v15, v14 :: v_dual_mov_b32 v23, v2
	s_mov_b32 s65, s64
	v_mov_b32_e32 v39, v2
	s_add_nc_u64 s[66:67], s[30:31], s[64:65]
	s_delay_alu instid0(VALU_DEP_2)
	v_add_nc_u64_e32 v[6:7], v[20:21], v[14:15]
	s_xor_b64 s[66:67], s[66:67], s[64:65]
	v_mov_b32_e32 v35, v2
	s_cvt_f32_u32 s0, s66
	s_cvt_f32_u32 s2, s67
	s_sub_nc_u64 s[70:71], 0, s[66:67]
	s_delay_alu instid0(VALU_DEP_2) | instskip(NEXT) | instid1(SALU_CYCLE_1)
	v_xor_b32_e32 v22, v6, v14
	s_fmamk_f32 s0, s2, 0x4f800000, s0
	v_xor_b32_e32 v34, v7, v14
	s_delay_alu instid0(SALU_CYCLE_2) | instskip(NEXT) | instid1(TRANS32_DEP_1)
	v_s_rcp_f32 s0, s0
	s_mul_f32 s0, s0, 0x5f7ffffc
	s_delay_alu instid0(SALU_CYCLE_3) | instskip(NEXT) | instid1(SALU_CYCLE_3)
	s_mul_f32 s2, s0, 0x2f800000
	s_trunc_f32 s2, s2
	s_delay_alu instid0(SALU_CYCLE_3) | instskip(SKIP_1) | instid1(SALU_CYCLE_2)
	s_fmamk_f32 s0, s2, 0xcf800000, s0
	s_cvt_u32_f32 s69, s2
	s_cvt_u32_f32 s68, s0
	s_delay_alu instid0(SALU_CYCLE_3) | instskip(NEXT) | instid1(SALU_CYCLE_1)
	s_mul_u64 s[72:73], s[70:71], s[68:69]
	s_mul_hi_u32 s75, s68, s73
	s_mul_i32 s74, s68, s73
	s_mul_hi_u32 s2, s68, s72
	s_mul_i32 s63, s69, s72
	s_add_nc_u64 s[74:75], s[2:3], s[74:75]
	s_mul_hi_u32 s0, s69, s72
	s_mul_hi_u32 s65, s69, s73
	s_add_co_u32 s2, s74, s63
	s_add_co_ci_u32 s2, s75, s0
	s_mul_i32 s72, s69, s73
	s_add_co_ci_u32 s73, s65, 0
	s_delay_alu instid0(SALU_CYCLE_1) | instskip(NEXT) | instid1(SALU_CYCLE_1)
	s_add_nc_u64 s[72:73], s[2:3], s[72:73]
	s_add_co_u32 s68, s68, s72
	s_cselect_b32 s0, -1, 0
	s_delay_alu instid0(SALU_CYCLE_1) | instskip(SKIP_1) | instid1(SALU_CYCLE_1)
	s_cmp_lg_u32 s0, 0
	s_add_co_ci_u32 s69, s69, s73
	s_mul_u64 s[70:71], s[70:71], s[68:69]
	s_delay_alu instid0(SALU_CYCLE_1)
	s_mul_hi_u32 s73, s68, s71
	s_mul_i32 s72, s68, s71
	s_mul_hi_u32 s2, s68, s70
	s_mul_i32 s63, s69, s70
	s_add_nc_u64 s[72:73], s[2:3], s[72:73]
	s_mul_hi_u32 s0, s69, s70
	s_mul_hi_u32 s65, s69, s71
	s_add_co_u32 s2, s72, s63
	s_add_co_ci_u32 s2, s73, s0
	s_mul_i32 s70, s69, s71
	s_add_co_ci_u32 s71, s65, 0
	s_delay_alu instid0(SALU_CYCLE_1) | instskip(NEXT) | instid1(SALU_CYCLE_1)
	s_add_nc_u64 s[70:71], s[2:3], s[70:71]
	s_add_co_u32 s0, s68, s70
	s_cselect_b32 s2, -1, 0
	v_nop
	v_mul_hi_u32 v38, v22, s0
	s_cmp_lg_u32 s2, 0
	s_add_co_ci_u32 s2, s69, s71
	s_and_b64 s[68:69], s[0:1], s[56:57]
	v_mul_u64_e32 v[32:33], s[2:3], v[22:23]
	v_mul_u64_e32 v[6:7], s[68:69], v[34:35]
	;; [unrolled: 1-line block ×3, first 2 shown]
	s_delay_alu instid0(VALU_DEP_3) | instskip(NEXT) | instid1(VALU_DEP_1)
	v_add_nc_u64_e32 v[32:33], v[38:39], v[32:33]
	v_add_co_u32 v3, vcc_lo, v32, v6
	s_delay_alu instid0(VALU_DEP_2) | instskip(NEXT) | instid1(VALU_DEP_4)
	v_add_co_ci_u32_e32 v38, vcc_lo, v33, v7, vcc_lo
	v_add_co_ci_u32_e32 v37, vcc_lo, 0, v37, vcc_lo
	s_delay_alu instid0(VALU_DEP_1) | instskip(NEXT) | instid1(VALU_DEP_1)
	v_add_nc_u64_e32 v[6:7], v[38:39], v[36:37]
	v_mul_u64_e32 v[32:33], s[66:67], v[6:7]
	s_delay_alu instid0(VALU_DEP_1) | instskip(NEXT) | instid1(VALU_DEP_2)
	v_sub_nc_u32_e32 v3, v34, v33
	v_sub_co_u32 v15, vcc_lo, v22, v32
	s_delay_alu instid0(VALU_DEP_1) | instskip(NEXT) | instid1(VALU_DEP_3)
	v_sub_co_ci_u32_e64 v34, null, v34, v33, vcc_lo
	v_subrev_co_ci_u32_e64 v3, null, s67, v3, vcc_lo
	s_delay_alu instid0(VALU_DEP_3) | instskip(SKIP_1) | instid1(VALU_DEP_3)
	v_sub_co_u32 v22, s0, v15, s66
	v_add_nc_u64_e32 v[32:33], 1, v[6:7]
	v_subrev_co_ci_u32_e64 v3, null, 0, v3, s0
	s_delay_alu instid0(VALU_DEP_3) | instskip(SKIP_1) | instid1(VALU_DEP_3)
	v_cmp_le_u32_e32 vcc_lo, s66, v22
	v_cndmask_b32_e64 v22, 0, -1, vcc_lo
	v_cmp_le_u32_e32 vcc_lo, s67, v3
	v_cndmask_b32_e64 v23, 0, -1, vcc_lo
	;; [unrolled: 2-line block ×4, first 2 shown]
	v_cmp_eq_u32_e32 vcc_lo, s67, v3
	v_cndmask_b32_e32 v3, v23, v22, vcc_lo
	v_cmp_eq_u32_e32 vcc_lo, s67, v34
	v_add_nc_u64_e32 v[22:23], 2, v[6:7]
	v_cndmask_b32_e32 v15, v35, v15, vcc_lo
	s_delay_alu instid0(VALU_DEP_4) | instskip(NEXT) | instid1(VALU_DEP_2)
	v_cmp_ne_u32_e32 vcc_lo, 0, v3
	v_cmp_ne_u32_e64 s0, 0, v15
	s_delay_alu instid0(VALU_DEP_4) | instskip(NEXT) | instid1(VALU_DEP_1)
	v_dual_cndmask_b32 v3, v33, v23, vcc_lo :: v_dual_cndmask_b32 v15, v32, v22, vcc_lo
	v_dual_cndmask_b32 v3, v7, v3, s0 :: v_dual_bitop2_b32 v22, s64, v14 bitop3:0x14
	s_delay_alu instid0(VALU_DEP_1) | instskip(NEXT) | instid1(VALU_DEP_2)
	v_mov_b32_e32 v23, v22
	v_dual_cndmask_b32 v6, v6, v15, s0 :: v_dual_bitop2_b32 v7, v3, v22 bitop3:0x14
	s_delay_alu instid0(VALU_DEP_1) | instskip(NEXT) | instid1(VALU_DEP_1)
	v_xor_b32_e32 v6, v6, v22
	v_sub_nc_u64_e32 v[22:23], v[6:7], v[22:23]
.LBB55_37:                              ;   in Loop: Header=BB55_3 Depth=1
	s_and_not1_saveexec_b32 s0, s33
	s_cbranch_execz .LBB55_39
; %bb.38:                               ;   in Loop: Header=BB55_3 Depth=1
	v_rcp_iflag_f32_e32 v3, v13
	s_sub_co_i32 s2, 0, s30
	v_mov_b32_e32 v23, v2
	s_delay_alu instid0(TRANS32_DEP_1) | instskip(NEXT) | instid1(VALU_DEP_1)
	v_mul_f32_e32 v3, 0x4f7ffffe, v3
	v_cvt_u32_f32_e32 v3, v3
	s_delay_alu instid0(VALU_DEP_1) | instskip(NEXT) | instid1(VALU_DEP_1)
	v_mul_lo_u32 v6, s2, v3
	v_mul_hi_u32 v6, v3, v6
	s_delay_alu instid0(VALU_DEP_1) | instskip(NEXT) | instid1(VALU_DEP_1)
	v_add_nc_u32_e32 v3, v3, v6
	v_mul_hi_u32 v3, v20, v3
	s_delay_alu instid0(VALU_DEP_1) | instskip(NEXT) | instid1(VALU_DEP_1)
	v_mul_lo_u32 v6, v3, s30
	v_dual_add_nc_u32 v7, 1, v3 :: v_dual_sub_nc_u32 v6, v20, v6
	s_delay_alu instid0(VALU_DEP_1) | instskip(SKIP_1) | instid1(VALU_DEP_2)
	v_subrev_nc_u32_e32 v15, s30, v6
	v_cmp_le_u32_e32 vcc_lo, s30, v6
	v_cndmask_b32_e32 v6, v6, v15, vcc_lo
	s_delay_alu instid0(VALU_DEP_4) | instskip(NEXT) | instid1(VALU_DEP_2)
	v_cndmask_b32_e32 v3, v3, v7, vcc_lo
	v_cmp_le_u32_e32 vcc_lo, s30, v6
	s_delay_alu instid0(VALU_DEP_2) | instskip(NEXT) | instid1(VALU_DEP_1)
	v_add_nc_u32_e32 v7, 1, v3
	v_cndmask_b32_e32 v22, v3, v7, vcc_lo
.LBB55_39:                              ;   in Loop: Header=BB55_3 Depth=1
	s_or_b32 exec_lo, exec_lo, s0
	s_delay_alu instid0(VALU_DEP_1) | instskip(SKIP_3) | instid1(VALU_DEP_3)
	v_mul_u64_e32 v[6:7], s[30:31], v[22:23]
	v_add_nc_u64_e32 v[16:17], 2, v[16:17]
	v_sub_f32_e32 v3, v25, v24
	s_mov_b32 s0, exec_lo
	v_sub_nc_u64_e32 v[32:33], v[10:11], v[6:7]
	s_delay_alu instid0(VALU_DEP_3) | instskip(NEXT) | instid1(VALU_DEP_2)
	v_mul_u64_e32 v[6:7], s[4:5], v[16:17]
	v_add_nc_u64_e32 v[16:17], v[0:1], v[32:33]
	v_mul_u64_e32 v[32:33], s[8:9], v[22:23]
	s_delay_alu instid0(VALU_DEP_2) | instskip(NEXT) | instid1(VALU_DEP_4)
	v_mul_u64_e32 v[16:17], s[10:11], v[16:17]
	v_add_nc_u64_e32 v[22:23], v[0:1], v[6:7]
	v_mul_f32_e32 v3, v3, v29
	s_delay_alu instid0(VALU_DEP_4) | instskip(NEXT) | instid1(VALU_DEP_1)
	v_lshl_add_u64 v[24:25], v[32:33], 2, s[28:29]
	v_lshl_add_u64 v[24:25], v[16:17], 2, v[24:25]
	s_delay_alu instid0(VALU_DEP_4) | instskip(NEXT) | instid1(VALU_DEP_4)
	v_ashrrev_i32_e32 v16, 31, v23
	v_mul_f32_e32 v15, v31, v3
	v_or_b32_e32 v3, s31, v23
	s_delay_alu instid0(VALU_DEP_2)
	v_mul_f32_e32 v31, v28, v15
	global_store_b32 v[24:25], v31, off
                                        ; implicit-def: $vgpr24_vgpr25
	s_wait_xcnt 0x0
	v_cmpx_ne_u64_e32 0, v[2:3]
	s_xor_b32 s33, exec_lo, s0
	s_cbranch_execz .LBB55_41
; %bb.40:                               ;   in Loop: Header=BB55_3 Depth=1
	s_ashr_i32 s64, s31, 31
	v_dual_mov_b32 v17, v16 :: v_dual_mov_b32 v33, v2
	s_mov_b32 s65, s64
	v_mov_b32_e32 v37, v2
	s_add_nc_u64 s[66:67], s[30:31], s[64:65]
	s_delay_alu instid0(VALU_DEP_2)
	v_add_nc_u64_e32 v[24:25], v[22:23], v[16:17]
	s_xor_b64 s[66:67], s[66:67], s[64:65]
	v_mov_b32_e32 v41, v2
	s_cvt_f32_u32 s0, s66
	s_cvt_f32_u32 s2, s67
	s_sub_nc_u64 s[70:71], 0, s[66:67]
	s_delay_alu instid0(VALU_DEP_2) | instskip(NEXT) | instid1(SALU_CYCLE_1)
	v_xor_b32_e32 v32, v24, v16
	s_fmamk_f32 s0, s2, 0x4f800000, s0
	v_xor_b32_e32 v36, v25, v16
	s_delay_alu instid0(SALU_CYCLE_2) | instskip(NEXT) | instid1(TRANS32_DEP_1)
	v_s_rcp_f32 s0, s0
	s_mul_f32 s0, s0, 0x5f7ffffc
	s_delay_alu instid0(SALU_CYCLE_3) | instskip(NEXT) | instid1(SALU_CYCLE_3)
	s_mul_f32 s2, s0, 0x2f800000
	s_trunc_f32 s2, s2
	s_delay_alu instid0(SALU_CYCLE_3) | instskip(SKIP_1) | instid1(SALU_CYCLE_2)
	s_fmamk_f32 s0, s2, 0xcf800000, s0
	s_cvt_u32_f32 s69, s2
	s_cvt_u32_f32 s68, s0
	s_delay_alu instid0(SALU_CYCLE_3) | instskip(NEXT) | instid1(SALU_CYCLE_1)
	s_mul_u64 s[72:73], s[70:71], s[68:69]
	s_mul_hi_u32 s75, s68, s73
	s_mul_i32 s74, s68, s73
	s_mul_hi_u32 s2, s68, s72
	s_mul_i32 s63, s69, s72
	s_add_nc_u64 s[74:75], s[2:3], s[74:75]
	s_mul_hi_u32 s0, s69, s72
	s_mul_hi_u32 s65, s69, s73
	s_add_co_u32 s2, s74, s63
	s_add_co_ci_u32 s2, s75, s0
	s_mul_i32 s72, s69, s73
	s_add_co_ci_u32 s73, s65, 0
	s_delay_alu instid0(SALU_CYCLE_1) | instskip(NEXT) | instid1(SALU_CYCLE_1)
	s_add_nc_u64 s[72:73], s[2:3], s[72:73]
	s_add_co_u32 s68, s68, s72
	s_cselect_b32 s0, -1, 0
	s_delay_alu instid0(SALU_CYCLE_1) | instskip(SKIP_1) | instid1(SALU_CYCLE_1)
	s_cmp_lg_u32 s0, 0
	s_add_co_ci_u32 s69, s69, s73
	s_mul_u64 s[70:71], s[70:71], s[68:69]
	s_delay_alu instid0(SALU_CYCLE_1)
	s_mul_hi_u32 s73, s68, s71
	s_mul_i32 s72, s68, s71
	s_mul_hi_u32 s2, s68, s70
	s_mul_i32 s63, s69, s70
	s_add_nc_u64 s[72:73], s[2:3], s[72:73]
	s_mul_hi_u32 s0, s69, s70
	s_mul_hi_u32 s65, s69, s71
	s_add_co_u32 s2, s72, s63
	s_add_co_ci_u32 s2, s73, s0
	s_mul_i32 s70, s69, s71
	s_add_co_ci_u32 s71, s65, 0
	s_delay_alu instid0(SALU_CYCLE_1) | instskip(NEXT) | instid1(SALU_CYCLE_1)
	s_add_nc_u64 s[70:71], s[2:3], s[70:71]
	s_add_co_u32 s0, s68, s70
	s_cselect_b32 s2, -1, 0
	v_nop
	v_mul_hi_u32 v40, v32, s0
	s_cmp_lg_u32 s2, 0
	s_add_co_ci_u32 s2, s69, s71
	s_and_b64 s[68:69], s[0:1], s[56:57]
	v_mul_u64_e32 v[34:35], s[2:3], v[32:33]
	v_mul_u64_e32 v[24:25], s[68:69], v[36:37]
	;; [unrolled: 1-line block ×3, first 2 shown]
	s_delay_alu instid0(VALU_DEP_3) | instskip(NEXT) | instid1(VALU_DEP_1)
	v_add_nc_u64_e32 v[34:35], v[40:41], v[34:35]
	v_add_co_u32 v3, vcc_lo, v34, v24
	s_delay_alu instid0(VALU_DEP_2) | instskip(NEXT) | instid1(VALU_DEP_4)
	v_add_co_ci_u32_e32 v40, vcc_lo, v35, v25, vcc_lo
	v_add_co_ci_u32_e32 v39, vcc_lo, 0, v39, vcc_lo
	s_delay_alu instid0(VALU_DEP_1) | instskip(NEXT) | instid1(VALU_DEP_1)
	v_add_nc_u64_e32 v[24:25], v[40:41], v[38:39]
	v_mul_u64_e32 v[34:35], s[66:67], v[24:25]
	s_delay_alu instid0(VALU_DEP_1) | instskip(NEXT) | instid1(VALU_DEP_2)
	v_sub_nc_u32_e32 v3, v36, v35
	v_sub_co_u32 v13, vcc_lo, v32, v34
	s_delay_alu instid0(VALU_DEP_1) | instskip(NEXT) | instid1(VALU_DEP_3)
	v_sub_co_ci_u32_e64 v17, null, v36, v35, vcc_lo
	v_subrev_co_ci_u32_e64 v3, null, s67, v3, vcc_lo
	s_delay_alu instid0(VALU_DEP_3) | instskip(SKIP_1) | instid1(VALU_DEP_3)
	v_sub_co_u32 v15, s0, v13, s66
	v_add_nc_u64_e32 v[34:35], 1, v[24:25]
	v_subrev_co_ci_u32_e64 v3, null, 0, v3, s0
	s_delay_alu instid0(VALU_DEP_3) | instskip(SKIP_1) | instid1(VALU_DEP_3)
	v_cmp_le_u32_e32 vcc_lo, s66, v15
	v_cndmask_b32_e64 v15, 0, -1, vcc_lo
	v_cmp_le_u32_e32 vcc_lo, s67, v3
	v_cndmask_b32_e64 v32, 0, -1, vcc_lo
	;; [unrolled: 2-line block ×4, first 2 shown]
	v_cmp_eq_u32_e32 vcc_lo, s67, v3
	v_cndmask_b32_e32 v3, v32, v15, vcc_lo
	v_cmp_eq_u32_e32 vcc_lo, s67, v17
	v_add_nc_u64_e32 v[32:33], 2, v[24:25]
	v_cndmask_b32_e32 v13, v36, v13, vcc_lo
	s_delay_alu instid0(VALU_DEP_4) | instskip(NEXT) | instid1(VALU_DEP_2)
	v_cmp_ne_u32_e32 vcc_lo, 0, v3
	v_cmp_ne_u32_e64 s0, 0, v13
	s_delay_alu instid0(VALU_DEP_4) | instskip(NEXT) | instid1(VALU_DEP_1)
	v_dual_cndmask_b32 v3, v35, v33, vcc_lo :: v_dual_cndmask_b32 v13, v34, v32, vcc_lo
	v_dual_cndmask_b32 v3, v25, v3, s0 :: v_dual_bitop2_b32 v32, s64, v16 bitop3:0x14
	s_delay_alu instid0(VALU_DEP_2) | instskip(NEXT) | instid1(VALU_DEP_2)
	v_cndmask_b32_e64 v13, v24, v13, s0
	v_dual_mov_b32 v33, v32 :: v_dual_bitop2_b32 v25, v3, v32 bitop3:0x14
	s_delay_alu instid0(VALU_DEP_2) | instskip(NEXT) | instid1(VALU_DEP_1)
	v_xor_b32_e32 v24, v13, v32
                                        ; implicit-def: $vgpr13
	v_sub_nc_u64_e32 v[24:25], v[24:25], v[32:33]
.LBB55_41:                              ;   in Loop: Header=BB55_3 Depth=1
	s_and_not1_saveexec_b32 s0, s33
	s_cbranch_execz .LBB55_43
; %bb.42:                               ;   in Loop: Header=BB55_3 Depth=1
	v_rcp_iflag_f32_e32 v3, v13
	s_sub_co_i32 s2, 0, s30
	v_mov_b32_e32 v25, v2
	s_delay_alu instid0(TRANS32_DEP_1) | instskip(NEXT) | instid1(VALU_DEP_1)
	v_mul_f32_e32 v3, 0x4f7ffffe, v3
	v_cvt_u32_f32_e32 v3, v3
	s_delay_alu instid0(VALU_DEP_1) | instskip(NEXT) | instid1(VALU_DEP_1)
	v_mul_lo_u32 v13, s2, v3
	v_mul_hi_u32 v13, v3, v13
	s_delay_alu instid0(VALU_DEP_1) | instskip(NEXT) | instid1(VALU_DEP_1)
	v_add_nc_u32_e32 v3, v3, v13
	v_mul_hi_u32 v3, v22, v3
	s_delay_alu instid0(VALU_DEP_1) | instskip(NEXT) | instid1(VALU_DEP_1)
	v_mul_lo_u32 v13, v3, s30
	v_sub_nc_u32_e32 v13, v22, v13
	s_delay_alu instid0(VALU_DEP_1) | instskip(SKIP_1) | instid1(VALU_DEP_2)
	v_subrev_nc_u32_e32 v17, s30, v13
	v_cmp_le_u32_e32 vcc_lo, s30, v13
	v_dual_add_nc_u32 v15, 1, v3 :: v_dual_cndmask_b32 v13, v13, v17, vcc_lo
	s_delay_alu instid0(VALU_DEP_1) | instskip(NEXT) | instid1(VALU_DEP_2)
	v_cndmask_b32_e32 v3, v3, v15, vcc_lo
	v_cmp_le_u32_e32 vcc_lo, s30, v13
	s_delay_alu instid0(VALU_DEP_2) | instskip(NEXT) | instid1(VALU_DEP_1)
	v_add_nc_u32_e32 v15, 1, v3
	v_cndmask_b32_e32 v24, v3, v15, vcc_lo
.LBB55_43:                              ;   in Loop: Header=BB55_3 Depth=1
	s_or_b32 exec_lo, exec_lo, s0
	s_delay_alu instid0(VALU_DEP_1) | instskip(SKIP_3) | instid1(VALU_DEP_3)
	v_mul_u64_e32 v[32:33], s[30:31], v[24:25]
	v_mul_u64_e32 v[24:25], s[8:9], v[24:25]
	v_or_b32_e32 v3, s37, v19
	s_mov_b32 s0, exec_lo
	v_sub_nc_u64_e32 v[32:33], v[6:7], v[32:33]
	s_delay_alu instid0(VALU_DEP_3) | instskip(NEXT) | instid1(VALU_DEP_2)
	v_lshl_add_u64 v[24:25], v[24:25], 2, s[28:29]
	v_add_nc_u64_e32 v[32:33], v[0:1], v[32:33]
	s_delay_alu instid0(VALU_DEP_1) | instskip(NEXT) | instid1(VALU_DEP_1)
	v_mul_u64_e32 v[32:33], s[10:11], v[32:33]
	v_lshl_add_u64 v[24:25], v[32:33], 2, v[24:25]
	global_store_b32 v[24:25], v5, off
                                        ; implicit-def: $vgpr24_vgpr25
	s_wait_xcnt 0x0
	v_cmpx_ne_u64_e32 0, v[2:3]
	s_xor_b32 s33, exec_lo, s0
	s_cbranch_execz .LBB55_45
; %bb.44:                               ;   in Loop: Header=BB55_3 Depth=1
	s_ashr_i32 s64, s37, 31
	v_dual_mov_b32 v13, v12 :: v_dual_mov_b32 v25, v2
	s_mov_b32 s65, s64
	v_mov_b32_e32 v39, v2
	s_add_nc_u64 s[66:67], s[36:37], s[64:65]
	s_delay_alu instid0(VALU_DEP_2)
	v_add_nc_u64_e32 v[18:19], v[18:19], v[12:13]
	s_xor_b64 s[66:67], s[66:67], s[64:65]
	v_mov_b32_e32 v35, v2
	s_cvt_f32_u32 s0, s66
	s_cvt_f32_u32 s2, s67
	s_sub_nc_u64 s[70:71], 0, s[66:67]
	s_delay_alu instid0(VALU_DEP_2) | instskip(NEXT) | instid1(SALU_CYCLE_1)
	v_xor_b32_e32 v24, v18, v12
	s_fmamk_f32 s0, s2, 0x4f800000, s0
	v_xor_b32_e32 v34, v19, v12
	v_xor_b32_e32 v12, s64, v12
	s_delay_alu instid0(SALU_CYCLE_1) | instskip(NEXT) | instid1(TRANS32_DEP_1)
	v_s_rcp_f32 s0, s0
	s_mul_f32 s0, s0, 0x5f7ffffc
	s_delay_alu instid0(SALU_CYCLE_3) | instskip(NEXT) | instid1(SALU_CYCLE_3)
	s_mul_f32 s2, s0, 0x2f800000
	s_trunc_f32 s2, s2
	s_delay_alu instid0(SALU_CYCLE_3) | instskip(SKIP_1) | instid1(SALU_CYCLE_2)
	s_fmamk_f32 s0, s2, 0xcf800000, s0
	s_cvt_u32_f32 s69, s2
	s_cvt_u32_f32 s68, s0
	s_delay_alu instid0(SALU_CYCLE_3) | instskip(NEXT) | instid1(SALU_CYCLE_1)
	s_mul_u64 s[72:73], s[70:71], s[68:69]
	s_mul_hi_u32 s75, s68, s73
	s_mul_i32 s74, s68, s73
	s_mul_hi_u32 s2, s68, s72
	s_mul_i32 s63, s69, s72
	s_add_nc_u64 s[74:75], s[2:3], s[74:75]
	s_mul_hi_u32 s0, s69, s72
	s_mul_hi_u32 s65, s69, s73
	s_add_co_u32 s2, s74, s63
	s_add_co_ci_u32 s2, s75, s0
	s_mul_i32 s72, s69, s73
	s_add_co_ci_u32 s73, s65, 0
	s_delay_alu instid0(SALU_CYCLE_1) | instskip(NEXT) | instid1(SALU_CYCLE_1)
	s_add_nc_u64 s[72:73], s[2:3], s[72:73]
	s_add_co_u32 s68, s68, s72
	s_cselect_b32 s0, -1, 0
	s_delay_alu instid0(SALU_CYCLE_1) | instskip(SKIP_1) | instid1(SALU_CYCLE_1)
	s_cmp_lg_u32 s0, 0
	s_add_co_ci_u32 s69, s69, s73
	s_mul_u64 s[70:71], s[70:71], s[68:69]
	s_delay_alu instid0(SALU_CYCLE_1)
	s_mul_hi_u32 s73, s68, s71
	s_mul_i32 s72, s68, s71
	s_mul_hi_u32 s2, s68, s70
	s_mul_i32 s63, s69, s70
	s_add_nc_u64 s[72:73], s[2:3], s[72:73]
	s_mul_hi_u32 s0, s69, s70
	s_mul_hi_u32 s65, s69, s71
	s_add_co_u32 s2, s72, s63
	s_add_co_ci_u32 s2, s73, s0
	s_mul_i32 s70, s69, s71
	s_add_co_ci_u32 s71, s65, 0
	s_delay_alu instid0(SALU_CYCLE_1) | instskip(NEXT) | instid1(SALU_CYCLE_1)
	s_add_nc_u64 s[70:71], s[2:3], s[70:71]
	s_add_co_u32 s0, s68, s70
	s_cselect_b32 s2, -1, 0
	v_nop
	v_mul_hi_u32 v38, v24, s0
	s_cmp_lg_u32 s2, 0
	s_add_co_ci_u32 s2, s69, s71
	s_and_b64 s[68:69], s[0:1], s[56:57]
	v_mul_u64_e32 v[32:33], s[2:3], v[24:25]
	v_mul_u64_e32 v[18:19], s[68:69], v[34:35]
	;; [unrolled: 1-line block ×3, first 2 shown]
	s_delay_alu instid0(VALU_DEP_3) | instskip(NEXT) | instid1(VALU_DEP_1)
	v_add_nc_u64_e32 v[32:33], v[38:39], v[32:33]
	v_add_co_u32 v3, vcc_lo, v32, v18
	s_delay_alu instid0(VALU_DEP_2) | instskip(NEXT) | instid1(VALU_DEP_4)
	v_add_co_ci_u32_e32 v38, vcc_lo, v33, v19, vcc_lo
	v_add_co_ci_u32_e32 v37, vcc_lo, 0, v37, vcc_lo
	s_delay_alu instid0(VALU_DEP_1) | instskip(NEXT) | instid1(VALU_DEP_1)
	v_add_nc_u64_e32 v[18:19], v[38:39], v[36:37]
	v_mul_u64_e32 v[32:33], s[66:67], v[18:19]
	s_delay_alu instid0(VALU_DEP_1) | instskip(NEXT) | instid1(VALU_DEP_2)
	v_sub_nc_u32_e32 v3, v34, v33
	v_sub_co_u32 v13, vcc_lo, v24, v32
	s_delay_alu instid0(VALU_DEP_1) | instskip(NEXT) | instid1(VALU_DEP_3)
	v_sub_co_ci_u32_e64 v17, null, v34, v33, vcc_lo
	v_subrev_co_ci_u32_e64 v3, null, s67, v3, vcc_lo
	s_delay_alu instid0(VALU_DEP_3) | instskip(SKIP_1) | instid1(VALU_DEP_3)
	v_sub_co_u32 v15, s0, v13, s66
	v_add_nc_u64_e32 v[32:33], 1, v[18:19]
	v_subrev_co_ci_u32_e64 v3, null, 0, v3, s0
	s_delay_alu instid0(VALU_DEP_3) | instskip(SKIP_1) | instid1(VALU_DEP_3)
	v_cmp_le_u32_e32 vcc_lo, s66, v15
	v_cndmask_b32_e64 v15, 0, -1, vcc_lo
	v_cmp_le_u32_e32 vcc_lo, s67, v3
	v_cndmask_b32_e64 v24, 0, -1, vcc_lo
	;; [unrolled: 2-line block ×4, first 2 shown]
	v_cmp_eq_u32_e32 vcc_lo, s67, v3
	v_cndmask_b32_e32 v3, v24, v15, vcc_lo
	v_cmp_eq_u32_e32 vcc_lo, s67, v17
	v_add_nc_u64_e32 v[24:25], 2, v[18:19]
	v_cndmask_b32_e32 v13, v34, v13, vcc_lo
	s_delay_alu instid0(VALU_DEP_4) | instskip(NEXT) | instid1(VALU_DEP_2)
	v_cmp_ne_u32_e32 vcc_lo, 0, v3
	v_cmp_ne_u32_e64 s0, 0, v13
	s_delay_alu instid0(VALU_DEP_4) | instskip(NEXT) | instid1(VALU_DEP_1)
	v_dual_cndmask_b32 v3, v33, v25, vcc_lo :: v_dual_cndmask_b32 v13, v32, v24, vcc_lo
	v_dual_cndmask_b32 v3, v19, v3, s0 :: v_dual_cndmask_b32 v15, v18, v13, s0
	s_delay_alu instid0(VALU_DEP_1) | instskip(NEXT) | instid1(VALU_DEP_2)
	v_dual_mov_b32 v13, v12 :: v_dual_bitop2_b32 v19, v3, v12 bitop3:0x14
	v_xor_b32_e32 v18, v15, v12
	s_delay_alu instid0(VALU_DEP_1)
	v_sub_nc_u64_e32 v[24:25], v[18:19], v[12:13]
                                        ; implicit-def: $vgpr18_vgpr19
.LBB55_45:                              ;   in Loop: Header=BB55_3 Depth=1
	s_or_saveexec_b32 s0, s33
	v_cvt_f32_u32_e32 v12, s36
	s_xor_b32 exec_lo, exec_lo, s0
	s_cbranch_execz .LBB55_47
; %bb.46:                               ;   in Loop: Header=BB55_3 Depth=1
	s_delay_alu instid0(VALU_DEP_1) | instskip(SKIP_2) | instid1(TRANS32_DEP_1)
	v_rcp_iflag_f32_e32 v3, v12
	s_sub_co_i32 s2, 0, s36
	v_mov_b32_e32 v25, v2
	v_mul_f32_e32 v3, 0x4f7ffffe, v3
	s_delay_alu instid0(VALU_DEP_1) | instskip(NEXT) | instid1(VALU_DEP_1)
	v_cvt_u32_f32_e32 v3, v3
	v_mul_lo_u32 v13, s2, v3
	s_delay_alu instid0(VALU_DEP_1) | instskip(NEXT) | instid1(VALU_DEP_1)
	v_mul_hi_u32 v13, v3, v13
	v_add_nc_u32_e32 v3, v3, v13
	s_delay_alu instid0(VALU_DEP_1) | instskip(NEXT) | instid1(VALU_DEP_1)
	v_mul_hi_u32 v3, v18, v3
	v_mul_lo_u32 v13, v3, s36
	s_delay_alu instid0(VALU_DEP_1) | instskip(NEXT) | instid1(VALU_DEP_1)
	v_sub_nc_u32_e32 v13, v18, v13
	v_subrev_nc_u32_e32 v17, s36, v13
	v_cmp_le_u32_e32 vcc_lo, s36, v13
	s_delay_alu instid0(VALU_DEP_2) | instskip(NEXT) | instid1(VALU_DEP_1)
	v_dual_add_nc_u32 v15, 1, v3 :: v_dual_cndmask_b32 v13, v13, v17, vcc_lo
	v_cndmask_b32_e32 v3, v3, v15, vcc_lo
	s_delay_alu instid0(VALU_DEP_2) | instskip(NEXT) | instid1(VALU_DEP_2)
	v_cmp_le_u32_e32 vcc_lo, s36, v13
	v_add_nc_u32_e32 v15, 1, v3
	s_delay_alu instid0(VALU_DEP_1)
	v_cndmask_b32_e32 v24, v3, v15, vcc_lo
.LBB55_47:                              ;   in Loop: Header=BB55_3 Depth=1
	s_or_b32 exec_lo, exec_lo, s0
	s_delay_alu instid0(VALU_DEP_1) | instskip(SKIP_2) | instid1(VALU_DEP_2)
	v_mul_u64_e32 v[18:19], s[36:37], v[24:25]
	v_or_b32_e32 v3, s37, v21
	s_mov_b32 s0, exec_lo
	v_sub_nc_u64_e32 v[8:9], v[8:9], v[18:19]
	v_mul_u64_e32 v[18:19], s[12:13], v[24:25]
	s_delay_alu instid0(VALU_DEP_2) | instskip(NEXT) | instid1(VALU_DEP_1)
	v_add_nc_u64_e32 v[8:9], v[0:1], v[8:9]
	v_mul_u64_e32 v[8:9], s[14:15], v[8:9]
	s_delay_alu instid0(VALU_DEP_3) | instskip(NEXT) | instid1(VALU_DEP_1)
	v_lshl_add_u64 v[18:19], v[18:19], 2, s[34:35]
	v_lshl_add_u64 v[8:9], v[8:9], 2, v[18:19]
	global_store_b32 v[8:9], v30, off
                                        ; implicit-def: $vgpr8_vgpr9
	s_wait_xcnt 0x0
	v_cmpx_ne_u64_e32 0, v[2:3]
	s_xor_b32 s33, exec_lo, s0
	s_cbranch_execz .LBB55_49
; %bb.48:                               ;   in Loop: Header=BB55_3 Depth=1
	s_ashr_i32 s64, s37, 31
	v_dual_mov_b32 v15, v14 :: v_dual_mov_b32 v19, v2
	s_mov_b32 s65, s64
	v_mov_b32_e32 v25, v2
	s_add_nc_u64 s[66:67], s[36:37], s[64:65]
	s_delay_alu instid0(VALU_DEP_2)
	v_add_nc_u64_e32 v[8:9], v[20:21], v[14:15]
	s_xor_b64 s[66:67], s[66:67], s[64:65]
	v_mov_b32_e32 v35, v2
	s_cvt_f32_u32 s0, s66
	s_cvt_f32_u32 s2, s67
	s_sub_nc_u64 s[70:71], 0, s[66:67]
	s_delay_alu instid0(VALU_DEP_2) | instskip(NEXT) | instid1(SALU_CYCLE_1)
	v_xor_b32_e32 v18, v8, v14
	s_fmamk_f32 s0, s2, 0x4f800000, s0
	v_xor_b32_e32 v24, v9, v14
	v_xor_b32_e32 v14, s64, v14
	s_delay_alu instid0(SALU_CYCLE_1) | instskip(NEXT) | instid1(TRANS32_DEP_1)
	v_s_rcp_f32 s0, s0
	s_mul_f32 s0, s0, 0x5f7ffffc
	s_delay_alu instid0(SALU_CYCLE_3) | instskip(NEXT) | instid1(SALU_CYCLE_3)
	s_mul_f32 s2, s0, 0x2f800000
	s_trunc_f32 s2, s2
	s_delay_alu instid0(SALU_CYCLE_3) | instskip(SKIP_1) | instid1(SALU_CYCLE_2)
	s_fmamk_f32 s0, s2, 0xcf800000, s0
	s_cvt_u32_f32 s69, s2
	s_cvt_u32_f32 s68, s0
	s_delay_alu instid0(SALU_CYCLE_3) | instskip(NEXT) | instid1(SALU_CYCLE_1)
	s_mul_u64 s[72:73], s[70:71], s[68:69]
	s_mul_hi_u32 s75, s68, s73
	s_mul_i32 s74, s68, s73
	s_mul_hi_u32 s2, s68, s72
	s_mul_i32 s63, s69, s72
	s_add_nc_u64 s[74:75], s[2:3], s[74:75]
	s_mul_hi_u32 s0, s69, s72
	s_mul_hi_u32 s65, s69, s73
	s_add_co_u32 s2, s74, s63
	s_add_co_ci_u32 s2, s75, s0
	s_mul_i32 s72, s69, s73
	s_add_co_ci_u32 s73, s65, 0
	s_delay_alu instid0(SALU_CYCLE_1) | instskip(NEXT) | instid1(SALU_CYCLE_1)
	s_add_nc_u64 s[72:73], s[2:3], s[72:73]
	s_add_co_u32 s68, s68, s72
	s_cselect_b32 s0, -1, 0
	s_delay_alu instid0(SALU_CYCLE_1) | instskip(SKIP_1) | instid1(SALU_CYCLE_1)
	s_cmp_lg_u32 s0, 0
	s_add_co_ci_u32 s69, s69, s73
	s_mul_u64 s[70:71], s[70:71], s[68:69]
	s_delay_alu instid0(SALU_CYCLE_1)
	s_mul_hi_u32 s73, s68, s71
	s_mul_i32 s72, s68, s71
	s_mul_hi_u32 s2, s68, s70
	s_mul_i32 s63, s69, s70
	s_add_nc_u64 s[72:73], s[2:3], s[72:73]
	s_mul_hi_u32 s0, s69, s70
	s_mul_hi_u32 s65, s69, s71
	s_add_co_u32 s2, s72, s63
	s_add_co_ci_u32 s2, s73, s0
	s_mul_i32 s70, s69, s71
	s_add_co_ci_u32 s71, s65, 0
	s_delay_alu instid0(SALU_CYCLE_1) | instskip(NEXT) | instid1(SALU_CYCLE_1)
	s_add_nc_u64 s[70:71], s[2:3], s[70:71]
	s_add_co_u32 s0, s68, s70
	s_cselect_b32 s2, -1, 0
	v_nop
	v_mul_hi_u32 v34, v18, s0
	s_cmp_lg_u32 s2, 0
	s_add_co_ci_u32 s2, s69, s71
	s_and_b64 s[68:69], s[0:1], s[56:57]
	v_mul_u64_e32 v[20:21], s[2:3], v[18:19]
	v_mul_u64_e32 v[8:9], s[68:69], v[24:25]
	v_mul_u64_e32 v[32:33], s[2:3], v[24:25]
	s_delay_alu instid0(VALU_DEP_3) | instskip(NEXT) | instid1(VALU_DEP_1)
	v_add_nc_u64_e32 v[20:21], v[34:35], v[20:21]
	v_add_co_u32 v3, vcc_lo, v20, v8
	s_delay_alu instid0(VALU_DEP_2) | instskip(NEXT) | instid1(VALU_DEP_4)
	v_add_co_ci_u32_e32 v34, vcc_lo, v21, v9, vcc_lo
	v_add_co_ci_u32_e32 v33, vcc_lo, 0, v33, vcc_lo
	s_delay_alu instid0(VALU_DEP_1) | instskip(NEXT) | instid1(VALU_DEP_1)
	v_add_nc_u64_e32 v[8:9], v[34:35], v[32:33]
	v_mul_u64_e32 v[20:21], s[66:67], v[8:9]
	s_delay_alu instid0(VALU_DEP_1) | instskip(NEXT) | instid1(VALU_DEP_2)
	v_sub_nc_u32_e32 v3, v24, v21
	v_sub_co_u32 v13, vcc_lo, v18, v20
	s_delay_alu instid0(VALU_DEP_1) | instskip(NEXT) | instid1(VALU_DEP_3)
	v_sub_co_ci_u32_e64 v17, null, v24, v21, vcc_lo
	v_subrev_co_ci_u32_e64 v3, null, s67, v3, vcc_lo
	s_delay_alu instid0(VALU_DEP_3) | instskip(SKIP_1) | instid1(VALU_DEP_3)
	v_sub_co_u32 v15, s0, v13, s66
	v_add_nc_u64_e32 v[20:21], 1, v[8:9]
	v_subrev_co_ci_u32_e64 v3, null, 0, v3, s0
	s_delay_alu instid0(VALU_DEP_3) | instskip(SKIP_1) | instid1(VALU_DEP_3)
	v_cmp_le_u32_e32 vcc_lo, s66, v15
	v_cndmask_b32_e64 v15, 0, -1, vcc_lo
	v_cmp_le_u32_e32 vcc_lo, s67, v3
	v_cndmask_b32_e64 v18, 0, -1, vcc_lo
	;; [unrolled: 2-line block ×4, first 2 shown]
	v_cmp_eq_u32_e32 vcc_lo, s67, v3
	v_cndmask_b32_e32 v3, v18, v15, vcc_lo
	v_cmp_eq_u32_e32 vcc_lo, s67, v17
	v_add_nc_u64_e32 v[18:19], 2, v[8:9]
	v_cndmask_b32_e32 v13, v24, v13, vcc_lo
	s_delay_alu instid0(VALU_DEP_4) | instskip(NEXT) | instid1(VALU_DEP_2)
	v_cmp_ne_u32_e32 vcc_lo, 0, v3
	v_cmp_ne_u32_e64 s0, 0, v13
	s_delay_alu instid0(VALU_DEP_4) | instskip(NEXT) | instid1(VALU_DEP_1)
	v_dual_cndmask_b32 v3, v21, v19, vcc_lo :: v_dual_cndmask_b32 v13, v20, v18, vcc_lo
                                        ; implicit-def: $vgpr20_vgpr21
	v_dual_cndmask_b32 v3, v9, v3, s0 :: v_dual_cndmask_b32 v8, v8, v13, s0
	s_delay_alu instid0(VALU_DEP_1) | instskip(NEXT) | instid1(VALU_DEP_2)
	v_dual_mov_b32 v15, v14 :: v_dual_bitop2_b32 v9, v3, v14 bitop3:0x14
	v_xor_b32_e32 v8, v8, v14
	s_delay_alu instid0(VALU_DEP_1)
	v_sub_nc_u64_e32 v[8:9], v[8:9], v[14:15]
.LBB55_49:                              ;   in Loop: Header=BB55_3 Depth=1
	s_and_not1_saveexec_b32 s0, s33
	s_cbranch_execz .LBB55_51
; %bb.50:                               ;   in Loop: Header=BB55_3 Depth=1
	v_rcp_iflag_f32_e32 v3, v12
	s_sub_co_i32 s2, 0, s36
	v_nop
	s_delay_alu instid0(TRANS32_DEP_1) | instskip(NEXT) | instid1(VALU_DEP_1)
	v_mul_f32_e32 v3, 0x4f7ffffe, v3
	v_cvt_u32_f32_e32 v3, v3
	s_delay_alu instid0(VALU_DEP_1) | instskip(NEXT) | instid1(VALU_DEP_1)
	v_mul_lo_u32 v8, s2, v3
	v_mul_hi_u32 v8, v3, v8
	s_delay_alu instid0(VALU_DEP_1) | instskip(NEXT) | instid1(VALU_DEP_1)
	v_add_nc_u32_e32 v3, v3, v8
	v_mul_hi_u32 v3, v20, v3
	s_delay_alu instid0(VALU_DEP_1) | instskip(NEXT) | instid1(VALU_DEP_1)
	v_mul_lo_u32 v8, v3, s36
	v_dual_add_nc_u32 v9, 1, v3 :: v_dual_sub_nc_u32 v8, v20, v8
	s_delay_alu instid0(VALU_DEP_1) | instskip(SKIP_1) | instid1(VALU_DEP_2)
	v_subrev_nc_u32_e32 v13, s36, v8
	v_cmp_le_u32_e32 vcc_lo, s36, v8
	v_cndmask_b32_e32 v8, v8, v13, vcc_lo
	s_delay_alu instid0(VALU_DEP_4) | instskip(NEXT) | instid1(VALU_DEP_2)
	v_cndmask_b32_e32 v3, v3, v9, vcc_lo
	v_cmp_le_u32_e32 vcc_lo, s36, v8
	s_delay_alu instid0(VALU_DEP_2) | instskip(NEXT) | instid1(VALU_DEP_1)
	v_add_nc_u32_e32 v9, 1, v3
	v_dual_cndmask_b32 v8, v3, v9 :: v_dual_mov_b32 v9, v2
.LBB55_51:                              ;   in Loop: Header=BB55_3 Depth=1
	s_or_b32 exec_lo, exec_lo, s0
	s_delay_alu instid0(VALU_DEP_1) | instskip(SKIP_3) | instid1(VALU_DEP_3)
	v_mul_u64_e32 v[14:15], s[36:37], v[8:9]
	v_mul_u64_e32 v[8:9], s[12:13], v[8:9]
	v_or_b32_e32 v3, s37, v23
	s_mov_b32 s0, exec_lo
	v_sub_nc_u64_e32 v[10:11], v[10:11], v[14:15]
	s_delay_alu instid0(VALU_DEP_3) | instskip(NEXT) | instid1(VALU_DEP_2)
	v_lshl_add_u64 v[8:9], v[8:9], 2, s[34:35]
	v_add_nc_u64_e32 v[10:11], v[0:1], v[10:11]
	s_delay_alu instid0(VALU_DEP_1) | instskip(NEXT) | instid1(VALU_DEP_1)
	v_mul_u64_e32 v[10:11], s[14:15], v[10:11]
	v_lshl_add_u64 v[8:9], v[10:11], 2, v[8:9]
	global_store_b32 v[8:9], v31, off
                                        ; implicit-def: $vgpr8_vgpr9
	s_wait_xcnt 0x0
	v_cmpx_ne_u64_e32 0, v[2:3]
	s_xor_b32 s33, exec_lo, s0
	s_cbranch_execz .LBB55_53
; %bb.52:                               ;   in Loop: Header=BB55_3 Depth=1
	s_ashr_i32 s64, s37, 31
	v_dual_mov_b32 v17, v16 :: v_dual_mov_b32 v11, v2
	s_mov_b32 s65, s64
	v_mov_b32_e32 v15, v2
	s_add_nc_u64 s[66:67], s[36:37], s[64:65]
	s_delay_alu instid0(VALU_DEP_2)
	v_add_nc_u64_e32 v[8:9], v[22:23], v[16:17]
	s_xor_b64 s[66:67], s[66:67], s[64:65]
	v_mov_b32_e32 v21, v2
	s_cvt_f32_u32 s0, s66
	s_cvt_f32_u32 s2, s67
	s_sub_nc_u64 s[70:71], 0, s[66:67]
                                        ; implicit-def: $vgpr22_vgpr23
	s_delay_alu instid0(VALU_DEP_2) | instskip(NEXT) | instid1(SALU_CYCLE_1)
	v_xor_b32_e32 v10, v8, v16
	s_fmamk_f32 s0, s2, 0x4f800000, s0
	v_xor_b32_e32 v14, v9, v16
	s_delay_alu instid0(SALU_CYCLE_2) | instskip(NEXT) | instid1(TRANS32_DEP_1)
	v_s_rcp_f32 s0, s0
	s_mul_f32 s0, s0, 0x5f7ffffc
	s_delay_alu instid0(SALU_CYCLE_3) | instskip(NEXT) | instid1(SALU_CYCLE_3)
	s_mul_f32 s2, s0, 0x2f800000
	s_trunc_f32 s2, s2
	s_delay_alu instid0(SALU_CYCLE_3) | instskip(SKIP_1) | instid1(SALU_CYCLE_2)
	s_fmamk_f32 s0, s2, 0xcf800000, s0
	s_cvt_u32_f32 s69, s2
	s_cvt_u32_f32 s68, s0
	s_delay_alu instid0(SALU_CYCLE_3) | instskip(NEXT) | instid1(SALU_CYCLE_1)
	s_mul_u64 s[72:73], s[70:71], s[68:69]
	s_mul_hi_u32 s75, s68, s73
	s_mul_i32 s74, s68, s73
	s_mul_hi_u32 s2, s68, s72
	s_mul_i32 s63, s69, s72
	s_add_nc_u64 s[74:75], s[2:3], s[74:75]
	s_mul_hi_u32 s0, s69, s72
	s_mul_hi_u32 s65, s69, s73
	s_add_co_u32 s2, s74, s63
	s_add_co_ci_u32 s2, s75, s0
	s_mul_i32 s72, s69, s73
	s_add_co_ci_u32 s73, s65, 0
	s_delay_alu instid0(SALU_CYCLE_1) | instskip(NEXT) | instid1(SALU_CYCLE_1)
	s_add_nc_u64 s[72:73], s[2:3], s[72:73]
	s_add_co_u32 s68, s68, s72
	s_cselect_b32 s0, -1, 0
	s_delay_alu instid0(SALU_CYCLE_1) | instskip(SKIP_1) | instid1(SALU_CYCLE_1)
	s_cmp_lg_u32 s0, 0
	s_add_co_ci_u32 s69, s69, s73
	s_mul_u64 s[70:71], s[70:71], s[68:69]
	s_delay_alu instid0(SALU_CYCLE_1)
	s_mul_hi_u32 s73, s68, s71
	s_mul_i32 s72, s68, s71
	s_mul_hi_u32 s2, s68, s70
	s_mul_i32 s63, s69, s70
	s_add_nc_u64 s[72:73], s[2:3], s[72:73]
	s_mul_hi_u32 s0, s69, s70
	s_mul_hi_u32 s65, s69, s71
	s_add_co_u32 s2, s72, s63
	s_add_co_ci_u32 s2, s73, s0
	s_mul_i32 s70, s69, s71
	s_add_co_ci_u32 s71, s65, 0
	s_delay_alu instid0(SALU_CYCLE_1) | instskip(NEXT) | instid1(SALU_CYCLE_1)
	s_add_nc_u64 s[70:71], s[2:3], s[70:71]
	s_add_co_u32 s0, s68, s70
	s_cselect_b32 s2, -1, 0
	v_nop
	v_mul_hi_u32 v20, v10, s0
	s_cmp_lg_u32 s2, 0
	s_add_co_ci_u32 s2, s69, s71
	s_and_b64 s[68:69], s[0:1], s[56:57]
	v_mul_u64_e32 v[12:13], s[2:3], v[10:11]
	v_mul_u64_e32 v[8:9], s[68:69], v[14:15]
	;; [unrolled: 1-line block ×3, first 2 shown]
	s_delay_alu instid0(VALU_DEP_3) | instskip(NEXT) | instid1(VALU_DEP_1)
	v_add_nc_u64_e32 v[12:13], v[20:21], v[12:13]
	v_add_co_u32 v3, vcc_lo, v12, v8
	s_delay_alu instid0(VALU_DEP_2) | instskip(NEXT) | instid1(VALU_DEP_4)
	v_add_co_ci_u32_e32 v20, vcc_lo, v13, v9, vcc_lo
	v_add_co_ci_u32_e32 v19, vcc_lo, 0, v19, vcc_lo
	s_delay_alu instid0(VALU_DEP_1) | instskip(NEXT) | instid1(VALU_DEP_1)
	v_add_nc_u64_e32 v[8:9], v[20:21], v[18:19]
	v_mul_u64_e32 v[12:13], s[66:67], v[8:9]
	s_delay_alu instid0(VALU_DEP_1) | instskip(NEXT) | instid1(VALU_DEP_2)
	v_sub_nc_u32_e32 v3, v14, v13
	v_sub_co_u32 v10, vcc_lo, v10, v12
	s_delay_alu instid0(VALU_DEP_1) | instskip(NEXT) | instid1(VALU_DEP_3)
	v_sub_co_ci_u32_e64 v14, null, v14, v13, vcc_lo
	v_subrev_co_ci_u32_e64 v3, null, s67, v3, vcc_lo
	s_delay_alu instid0(VALU_DEP_3) | instskip(NEXT) | instid1(VALU_DEP_1)
	v_sub_co_u32 v11, s0, v10, s66
	v_subrev_co_ci_u32_e64 v3, null, 0, v3, s0
	s_delay_alu instid0(VALU_DEP_2) | instskip(SKIP_1) | instid1(VALU_DEP_3)
	v_cmp_le_u32_e32 vcc_lo, s66, v11
	v_cndmask_b32_e64 v11, 0, -1, vcc_lo
	v_cmp_le_u32_e32 vcc_lo, s67, v3
	v_cndmask_b32_e64 v12, 0, -1, vcc_lo
	;; [unrolled: 2-line block ×4, first 2 shown]
	v_cmp_eq_u32_e32 vcc_lo, s67, v3
	v_cndmask_b32_e32 v3, v12, v11, vcc_lo
	v_cmp_eq_u32_e32 vcc_lo, s67, v14
	v_add_nc_u64_e32 v[10:11], 2, v[8:9]
	v_add_nc_u64_e32 v[12:13], 1, v[8:9]
	v_cndmask_b32_e32 v14, v17, v15, vcc_lo
	v_cmp_ne_u32_e32 vcc_lo, 0, v3
	s_delay_alu instid0(VALU_DEP_2) | instskip(NEXT) | instid1(VALU_DEP_4)
	v_cmp_ne_u32_e64 s0, 0, v14
	v_dual_cndmask_b32 v3, v13, v11, vcc_lo :: v_dual_cndmask_b32 v11, v12, v10, vcc_lo
	v_xor_b32_e32 v10, s64, v16
                                        ; implicit-def: $vgpr12
	s_delay_alu instid0(VALU_DEP_2) | instskip(NEXT) | instid1(VALU_DEP_2)
	v_cndmask_b32_e64 v3, v9, v3, s0
	v_dual_cndmask_b32 v8, v8, v11, s0 :: v_dual_mov_b32 v11, v10
	s_delay_alu instid0(VALU_DEP_2) | instskip(NEXT) | instid1(VALU_DEP_2)
	v_xor_b32_e32 v9, v3, v10
	v_xor_b32_e32 v8, v8, v10
	s_delay_alu instid0(VALU_DEP_1)
	v_sub_nc_u64_e32 v[8:9], v[8:9], v[10:11]
.LBB55_53:                              ;   in Loop: Header=BB55_3 Depth=1
	s_and_not1_saveexec_b32 s0, s33
	s_cbranch_execz .LBB55_55
; %bb.54:                               ;   in Loop: Header=BB55_3 Depth=1
	v_rcp_iflag_f32_e32 v3, v12
	s_sub_co_i32 s2, 0, s36
	v_nop
	s_delay_alu instid0(TRANS32_DEP_1) | instskip(NEXT) | instid1(VALU_DEP_1)
	v_mul_f32_e32 v3, 0x4f7ffffe, v3
	v_cvt_u32_f32_e32 v3, v3
	s_delay_alu instid0(VALU_DEP_1) | instskip(NEXT) | instid1(VALU_DEP_1)
	v_mul_lo_u32 v8, s2, v3
	v_mul_hi_u32 v8, v3, v8
	s_delay_alu instid0(VALU_DEP_1) | instskip(NEXT) | instid1(VALU_DEP_1)
	v_add_nc_u32_e32 v3, v3, v8
	v_mul_hi_u32 v3, v22, v3
	s_delay_alu instid0(VALU_DEP_1) | instskip(NEXT) | instid1(VALU_DEP_1)
	v_mul_lo_u32 v8, v3, s36
	v_dual_add_nc_u32 v9, 1, v3 :: v_dual_sub_nc_u32 v8, v22, v8
	s_delay_alu instid0(VALU_DEP_1) | instskip(SKIP_1) | instid1(VALU_DEP_2)
	v_subrev_nc_u32_e32 v10, s36, v8
	v_cmp_le_u32_e32 vcc_lo, s36, v8
	v_dual_cndmask_b32 v8, v8, v10 :: v_dual_cndmask_b32 v3, v3, v9
	s_delay_alu instid0(VALU_DEP_1) | instskip(NEXT) | instid1(VALU_DEP_2)
	v_cmp_le_u32_e32 vcc_lo, s36, v8
	v_add_nc_u32_e32 v9, 1, v3
	s_delay_alu instid0(VALU_DEP_1)
	v_dual_cndmask_b32 v8, v3, v9 :: v_dual_mov_b32 v9, v2
.LBB55_55:                              ;   in Loop: Header=BB55_3 Depth=1
	s_or_b32 exec_lo, exec_lo, s0
	s_delay_alu instid0(VALU_DEP_1) | instskip(SKIP_4) | instid1(VALU_DEP_4)
	v_mul_u64_e32 v[10:11], s[36:37], v[8:9]
	v_mul_u64_e32 v[8:9], s[12:13], v[8:9]
	v_or_b32_e32 v3, s45, v1
	v_mul_f32_e32 v5, v27, v5
	s_mov_b32 s0, exec_lo
	v_sub_nc_u64_e32 v[6:7], v[6:7], v[10:11]
	s_delay_alu instid0(VALU_DEP_4) | instskip(NEXT) | instid1(VALU_DEP_2)
	v_lshl_add_u64 v[8:9], v[8:9], 2, s[34:35]
	v_add_nc_u64_e32 v[6:7], v[0:1], v[6:7]
	s_delay_alu instid0(VALU_DEP_1) | instskip(NEXT) | instid1(VALU_DEP_1)
	v_mul_u64_e32 v[6:7], s[14:15], v[6:7]
	v_lshl_add_u64 v[6:7], v[6:7], 2, v[8:9]
	global_store_b32 v[6:7], v5, off
                                        ; implicit-def: $vgpr6_vgpr7
	s_wait_xcnt 0x0
	v_cmpx_ne_u64_e32 0, v[2:3]
	s_xor_b32 s33, exec_lo, s0
	s_cbranch_execz .LBB55_57
; %bb.56:                               ;   in Loop: Header=BB55_3 Depth=1
	s_ashr_i32 s64, s45, 31
	v_dual_mov_b32 v5, v4 :: v_dual_mov_b32 v9, v2
	s_mov_b32 s65, s64
	v_mov_b32_e32 v17, v2
	s_add_nc_u64 s[66:67], s[44:45], s[64:65]
	s_delay_alu instid0(VALU_DEP_2)
	v_add_nc_u64_e32 v[6:7], v[0:1], v[4:5]
	s_xor_b64 s[66:67], s[66:67], s[64:65]
	v_mov_b32_e32 v13, v2
	s_cvt_f32_u32 s0, s66
	s_cvt_f32_u32 s2, s67
	s_sub_nc_u64 s[70:71], 0, s[66:67]
	s_delay_alu instid0(VALU_DEP_2) | instskip(NEXT) | instid1(SALU_CYCLE_1)
	v_xor_b32_e32 v12, v7, v4
	s_fmamk_f32 s0, s2, 0x4f800000, s0
	v_xor_b32_e32 v8, v6, v4
	v_xor_b32_e32 v4, s64, v4
	s_delay_alu instid0(SALU_CYCLE_1) | instskip(NEXT) | instid1(TRANS32_DEP_1)
	v_s_rcp_f32 s0, s0
	s_mul_f32 s0, s0, 0x5f7ffffc
	s_delay_alu instid0(SALU_CYCLE_3) | instskip(NEXT) | instid1(SALU_CYCLE_3)
	s_mul_f32 s2, s0, 0x2f800000
	s_trunc_f32 s2, s2
	s_delay_alu instid0(SALU_CYCLE_3) | instskip(SKIP_1) | instid1(SALU_CYCLE_2)
	s_fmamk_f32 s0, s2, 0xcf800000, s0
	s_cvt_u32_f32 s69, s2
	s_cvt_u32_f32 s68, s0
	s_delay_alu instid0(SALU_CYCLE_3) | instskip(NEXT) | instid1(SALU_CYCLE_1)
	s_mul_u64 s[72:73], s[70:71], s[68:69]
	s_mul_hi_u32 s75, s68, s73
	s_mul_i32 s74, s68, s73
	s_mul_hi_u32 s2, s68, s72
	s_mul_i32 s63, s69, s72
	s_add_nc_u64 s[74:75], s[2:3], s[74:75]
	s_mul_hi_u32 s0, s69, s72
	s_mul_hi_u32 s65, s69, s73
	s_add_co_u32 s2, s74, s63
	s_add_co_ci_u32 s2, s75, s0
	s_mul_i32 s72, s69, s73
	s_add_co_ci_u32 s73, s65, 0
	s_delay_alu instid0(SALU_CYCLE_1) | instskip(NEXT) | instid1(SALU_CYCLE_1)
	s_add_nc_u64 s[72:73], s[2:3], s[72:73]
	s_add_co_u32 s68, s68, s72
	s_cselect_b32 s0, -1, 0
	s_delay_alu instid0(SALU_CYCLE_1) | instskip(SKIP_1) | instid1(SALU_CYCLE_1)
	s_cmp_lg_u32 s0, 0
	s_add_co_ci_u32 s69, s69, s73
	s_mul_u64 s[70:71], s[70:71], s[68:69]
	s_delay_alu instid0(SALU_CYCLE_1)
	s_mul_hi_u32 s73, s68, s71
	s_mul_i32 s72, s68, s71
	s_mul_hi_u32 s2, s68, s70
	s_mul_i32 s63, s69, s70
	s_add_nc_u64 s[72:73], s[2:3], s[72:73]
	s_mul_hi_u32 s0, s69, s70
	s_mul_hi_u32 s65, s69, s71
	s_add_co_u32 s2, s72, s63
	s_add_co_ci_u32 s2, s73, s0
	s_mul_i32 s70, s69, s71
	s_add_co_ci_u32 s71, s65, 0
	s_delay_alu instid0(SALU_CYCLE_1) | instskip(NEXT) | instid1(SALU_CYCLE_1)
	s_add_nc_u64 s[70:71], s[2:3], s[70:71]
	s_add_co_u32 s0, s68, s70
	s_cselect_b32 s2, -1, 0
	v_nop
	v_mul_hi_u32 v16, v8, s0
	s_cmp_lg_u32 s2, 0
	s_add_co_ci_u32 s2, s69, s71
	s_and_b64 s[68:69], s[0:1], s[56:57]
	v_mul_u64_e32 v[10:11], s[2:3], v[8:9]
	v_mul_u64_e32 v[6:7], s[68:69], v[12:13]
	v_mul_u64_e32 v[14:15], s[2:3], v[12:13]
	s_delay_alu instid0(VALU_DEP_3) | instskip(NEXT) | instid1(VALU_DEP_1)
	v_add_nc_u64_e32 v[10:11], v[16:17], v[10:11]
	v_add_co_u32 v3, vcc_lo, v10, v6
	s_delay_alu instid0(VALU_DEP_2) | instskip(NEXT) | instid1(VALU_DEP_4)
	v_add_co_ci_u32_e32 v16, vcc_lo, v11, v7, vcc_lo
	v_add_co_ci_u32_e32 v15, vcc_lo, 0, v15, vcc_lo
	s_delay_alu instid0(VALU_DEP_1) | instskip(NEXT) | instid1(VALU_DEP_1)
	v_add_nc_u64_e32 v[6:7], v[16:17], v[14:15]
	v_mul_u64_e32 v[10:11], s[66:67], v[6:7]
	s_delay_alu instid0(VALU_DEP_1) | instskip(NEXT) | instid1(VALU_DEP_2)
	v_sub_nc_u32_e32 v3, v12, v11
	v_sub_co_u32 v5, vcc_lo, v8, v10
	s_delay_alu instid0(VALU_DEP_1) | instskip(NEXT) | instid1(VALU_DEP_3)
	v_sub_co_ci_u32_e64 v12, null, v12, v11, vcc_lo
	v_subrev_co_ci_u32_e64 v3, null, s67, v3, vcc_lo
	s_delay_alu instid0(VALU_DEP_3) | instskip(SKIP_1) | instid1(VALU_DEP_3)
	v_sub_co_u32 v8, s0, v5, s66
	v_add_nc_u64_e32 v[10:11], 1, v[6:7]
	v_subrev_co_ci_u32_e64 v3, null, 0, v3, s0
	s_delay_alu instid0(VALU_DEP_3) | instskip(SKIP_1) | instid1(VALU_DEP_3)
	v_cmp_le_u32_e32 vcc_lo, s66, v8
	v_cndmask_b32_e64 v8, 0, -1, vcc_lo
	v_cmp_le_u32_e32 vcc_lo, s67, v3
	v_cndmask_b32_e64 v9, 0, -1, vcc_lo
	;; [unrolled: 2-line block ×4, first 2 shown]
	v_cmp_eq_u32_e32 vcc_lo, s67, v3
	v_cndmask_b32_e32 v3, v9, v8, vcc_lo
	v_cmp_eq_u32_e32 vcc_lo, s67, v12
	v_add_nc_u64_e32 v[8:9], 2, v[6:7]
	v_cndmask_b32_e32 v5, v13, v5, vcc_lo
	s_delay_alu instid0(VALU_DEP_4) | instskip(NEXT) | instid1(VALU_DEP_2)
	v_cmp_ne_u32_e32 vcc_lo, 0, v3
	v_cmp_ne_u32_e64 s0, 0, v5
	s_delay_alu instid0(VALU_DEP_4) | instskip(NEXT) | instid1(VALU_DEP_1)
	v_dual_cndmask_b32 v3, v11, v9, vcc_lo :: v_dual_cndmask_b32 v5, v10, v8, vcc_lo
	v_dual_cndmask_b32 v3, v7, v3, s0 :: v_dual_cndmask_b32 v6, v6, v5, s0
	s_delay_alu instid0(VALU_DEP_1) | instskip(NEXT) | instid1(VALU_DEP_2)
	v_dual_mov_b32 v5, v4 :: v_dual_bitop2_b32 v7, v3, v4 bitop3:0x14
	v_xor_b32_e32 v6, v6, v4
	s_delay_alu instid0(VALU_DEP_1)
	v_sub_nc_u64_e32 v[6:7], v[6:7], v[4:5]
.LBB55_57:                              ;   in Loop: Header=BB55_3 Depth=1
	s_and_not1_saveexec_b32 s0, s33
	s_cbranch_execz .LBB55_2
; %bb.58:                               ;   in Loop: Header=BB55_3 Depth=1
	v_cvt_f32_u32_e32 v3, s44
	s_sub_co_i32 s2, 0, s44
	v_mov_b32_e32 v7, v2
	s_delay_alu instid0(VALU_DEP_2) | instskip(SKIP_1) | instid1(TRANS32_DEP_1)
	v_rcp_iflag_f32_e32 v3, v3
	v_nop
	v_mul_f32_e32 v3, 0x4f7ffffe, v3
	s_delay_alu instid0(VALU_DEP_1) | instskip(NEXT) | instid1(VALU_DEP_1)
	v_cvt_u32_f32_e32 v3, v3
	v_mul_lo_u32 v4, s2, v3
	s_delay_alu instid0(VALU_DEP_1) | instskip(NEXT) | instid1(VALU_DEP_1)
	v_mul_hi_u32 v4, v3, v4
	v_add_nc_u32_e32 v3, v3, v4
	s_delay_alu instid0(VALU_DEP_1) | instskip(NEXT) | instid1(VALU_DEP_1)
	v_mul_hi_u32 v3, v0, v3
	v_mul_lo_u32 v4, v3, s44
	s_delay_alu instid0(VALU_DEP_1) | instskip(NEXT) | instid1(VALU_DEP_1)
	v_dual_add_nc_u32 v5, 1, v3 :: v_dual_sub_nc_u32 v4, v0, v4
	v_subrev_nc_u32_e32 v6, s44, v4
	v_cmp_le_u32_e32 vcc_lo, s44, v4
	s_delay_alu instid0(VALU_DEP_2) | instskip(NEXT) | instid1(VALU_DEP_1)
	v_dual_cndmask_b32 v4, v4, v6 :: v_dual_cndmask_b32 v3, v3, v5
	v_cmp_le_u32_e32 vcc_lo, s44, v4
	s_delay_alu instid0(VALU_DEP_2) | instskip(NEXT) | instid1(VALU_DEP_1)
	v_add_nc_u32_e32 v5, 1, v3
	v_cndmask_b32_e32 v6, v3, v5, vcc_lo
	s_branch .LBB55_2
.LBB55_59:
	s_endpgm
	.section	.rodata,"a",@progbits
	.p2align	6, 0x0
	.amdhsa_kernel _ZN2at6native12_GLOBAL__N_16kernel17gru_cell_backwardIfflLi2EEEvNS_4cuda6detail10TensorInfoIT_T1_EES9_S9_S9_S9_S8_S8_
		.amdhsa_group_segment_fixed_size 0
		.amdhsa_private_segment_fixed_size 0
		.amdhsa_kernarg_size 2352
		.amdhsa_user_sgpr_count 2
		.amdhsa_user_sgpr_dispatch_ptr 0
		.amdhsa_user_sgpr_queue_ptr 0
		.amdhsa_user_sgpr_kernarg_segment_ptr 1
		.amdhsa_user_sgpr_dispatch_id 0
		.amdhsa_user_sgpr_kernarg_preload_length 0
		.amdhsa_user_sgpr_kernarg_preload_offset 0
		.amdhsa_user_sgpr_private_segment_size 0
		.amdhsa_wavefront_size32 1
		.amdhsa_uses_dynamic_stack 0
		.amdhsa_enable_private_segment 0
		.amdhsa_system_sgpr_workgroup_id_x 1
		.amdhsa_system_sgpr_workgroup_id_y 0
		.amdhsa_system_sgpr_workgroup_id_z 0
		.amdhsa_system_sgpr_workgroup_info 0
		.amdhsa_system_vgpr_workitem_id 0
		.amdhsa_next_free_vgpr 42
		.amdhsa_next_free_sgpr 76
		.amdhsa_named_barrier_count 0
		.amdhsa_reserve_vcc 1
		.amdhsa_float_round_mode_32 0
		.amdhsa_float_round_mode_16_64 0
		.amdhsa_float_denorm_mode_32 3
		.amdhsa_float_denorm_mode_16_64 3
		.amdhsa_fp16_overflow 0
		.amdhsa_memory_ordered 1
		.amdhsa_forward_progress 1
		.amdhsa_inst_pref_size 92
		.amdhsa_round_robin_scheduling 0
		.amdhsa_exception_fp_ieee_invalid_op 0
		.amdhsa_exception_fp_denorm_src 0
		.amdhsa_exception_fp_ieee_div_zero 0
		.amdhsa_exception_fp_ieee_overflow 0
		.amdhsa_exception_fp_ieee_underflow 0
		.amdhsa_exception_fp_ieee_inexact 0
		.amdhsa_exception_int_div_zero 0
	.end_amdhsa_kernel
	.section	.text._ZN2at6native12_GLOBAL__N_16kernel17gru_cell_backwardIfflLi2EEEvNS_4cuda6detail10TensorInfoIT_T1_EES9_S9_S9_S9_S8_S8_,"axG",@progbits,_ZN2at6native12_GLOBAL__N_16kernel17gru_cell_backwardIfflLi2EEEvNS_4cuda6detail10TensorInfoIT_T1_EES9_S9_S9_S9_S8_S8_,comdat
.Lfunc_end55:
	.size	_ZN2at6native12_GLOBAL__N_16kernel17gru_cell_backwardIfflLi2EEEvNS_4cuda6detail10TensorInfoIT_T1_EES9_S9_S9_S9_S8_S8_, .Lfunc_end55-_ZN2at6native12_GLOBAL__N_16kernel17gru_cell_backwardIfflLi2EEEvNS_4cuda6detail10TensorInfoIT_T1_EES9_S9_S9_S9_S8_S8_
                                        ; -- End function
	.set _ZN2at6native12_GLOBAL__N_16kernel17gru_cell_backwardIfflLi2EEEvNS_4cuda6detail10TensorInfoIT_T1_EES9_S9_S9_S9_S8_S8_.num_vgpr, 42
	.set _ZN2at6native12_GLOBAL__N_16kernel17gru_cell_backwardIfflLi2EEEvNS_4cuda6detail10TensorInfoIT_T1_EES9_S9_S9_S9_S8_S8_.num_agpr, 0
	.set _ZN2at6native12_GLOBAL__N_16kernel17gru_cell_backwardIfflLi2EEEvNS_4cuda6detail10TensorInfoIT_T1_EES9_S9_S9_S9_S8_S8_.numbered_sgpr, 76
	.set _ZN2at6native12_GLOBAL__N_16kernel17gru_cell_backwardIfflLi2EEEvNS_4cuda6detail10TensorInfoIT_T1_EES9_S9_S9_S9_S8_S8_.num_named_barrier, 0
	.set _ZN2at6native12_GLOBAL__N_16kernel17gru_cell_backwardIfflLi2EEEvNS_4cuda6detail10TensorInfoIT_T1_EES9_S9_S9_S9_S8_S8_.private_seg_size, 0
	.set _ZN2at6native12_GLOBAL__N_16kernel17gru_cell_backwardIfflLi2EEEvNS_4cuda6detail10TensorInfoIT_T1_EES9_S9_S9_S9_S8_S8_.uses_vcc, 1
	.set _ZN2at6native12_GLOBAL__N_16kernel17gru_cell_backwardIfflLi2EEEvNS_4cuda6detail10TensorInfoIT_T1_EES9_S9_S9_S9_S8_S8_.uses_flat_scratch, 0
	.set _ZN2at6native12_GLOBAL__N_16kernel17gru_cell_backwardIfflLi2EEEvNS_4cuda6detail10TensorInfoIT_T1_EES9_S9_S9_S9_S8_S8_.has_dyn_sized_stack, 0
	.set _ZN2at6native12_GLOBAL__N_16kernel17gru_cell_backwardIfflLi2EEEvNS_4cuda6detail10TensorInfoIT_T1_EES9_S9_S9_S9_S8_S8_.has_recursion, 0
	.set _ZN2at6native12_GLOBAL__N_16kernel17gru_cell_backwardIfflLi2EEEvNS_4cuda6detail10TensorInfoIT_T1_EES9_S9_S9_S9_S8_S8_.has_indirect_call, 0
	.section	.AMDGPU.csdata,"",@progbits
; Kernel info:
; codeLenInByte = 11736
; TotalNumSgprs: 78
; NumVgprs: 42
; ScratchSize: 0
; MemoryBound: 0
; FloatMode: 240
; IeeeMode: 1
; LDSByteSize: 0 bytes/workgroup (compile time only)
; SGPRBlocks: 0
; VGPRBlocks: 2
; NumSGPRsForWavesPerEU: 78
; NumVGPRsForWavesPerEU: 42
; NamedBarCnt: 0
; Occupancy: 16
; WaveLimiterHint : 1
; COMPUTE_PGM_RSRC2:SCRATCH_EN: 0
; COMPUTE_PGM_RSRC2:USER_SGPR: 2
; COMPUTE_PGM_RSRC2:TRAP_HANDLER: 0
; COMPUTE_PGM_RSRC2:TGID_X_EN: 1
; COMPUTE_PGM_RSRC2:TGID_Y_EN: 0
; COMPUTE_PGM_RSRC2:TGID_Z_EN: 0
; COMPUTE_PGM_RSRC2:TIDIG_COMP_CNT: 0
	.section	.text._ZN2at6native12_GLOBAL__N_16kernel17gru_cell_backwardIN3c104HalfEfiLi1EEEvNS_4cuda6detail10TensorInfoIT_T1_EESB_SB_SB_SB_SA_SA_,"axG",@progbits,_ZN2at6native12_GLOBAL__N_16kernel17gru_cell_backwardIN3c104HalfEfiLi1EEEvNS_4cuda6detail10TensorInfoIT_T1_EESB_SB_SB_SB_SA_SA_,comdat
	.globl	_ZN2at6native12_GLOBAL__N_16kernel17gru_cell_backwardIN3c104HalfEfiLi1EEEvNS_4cuda6detail10TensorInfoIT_T1_EESB_SB_SB_SB_SA_SA_ ; -- Begin function _ZN2at6native12_GLOBAL__N_16kernel17gru_cell_backwardIN3c104HalfEfiLi1EEEvNS_4cuda6detail10TensorInfoIT_T1_EESB_SB_SB_SB_SA_SA_
	.p2align	8
	.type	_ZN2at6native12_GLOBAL__N_16kernel17gru_cell_backwardIN3c104HalfEfiLi1EEEvNS_4cuda6detail10TensorInfoIT_T1_EESB_SB_SB_SB_SA_SA_,@function
_ZN2at6native12_GLOBAL__N_16kernel17gru_cell_backwardIN3c104HalfEfiLi1EEEvNS_4cuda6detail10TensorInfoIT_T1_EESB_SB_SB_SB_SA_SA_: ; @_ZN2at6native12_GLOBAL__N_16kernel17gru_cell_backwardIN3c104HalfEfiLi1EEEvNS_4cuda6detail10TensorInfoIT_T1_EESB_SB_SB_SB_SA_SA_
; %bb.0:
	s_clause 0x1
	s_load_b32 s4, s[0:1], 0x44c
	s_load_b64 s[2:3], s[0:1], 0x438
	s_bfe_u32 s5, ttmp6, 0x4000c
	s_and_b32 s6, ttmp6, 15
	s_add_co_i32 s5, s5, 1
	s_getreg_b32 s7, hwreg(HW_REG_IB_STS2, 6, 4)
	s_mul_i32 s5, ttmp9, s5
	s_delay_alu instid0(SALU_CYCLE_1)
	s_add_co_i32 s6, s6, s5
	s_wait_kmcnt 0x0
	s_and_b32 s4, s4, 0xffff
	s_cmp_eq_u32 s7, 0
	s_cselect_b32 s5, ttmp9, s6
	s_mov_b32 s6, exec_lo
	v_mad_u32 v2, s5, s4, v0
	s_mov_b32 s5, 0
	s_delay_alu instid0(VALU_DEP_1)
	v_cmpx_gt_i32_e64 s3, v2
	s_cbranch_execz .LBB56_3
; %bb.1:
	s_abs_i32 s16, s2
	s_load_b32 s22, s[0:1], 0x21c
	s_add_nc_u64 s[6:7], s[0:1], 0x440
	s_cvt_f32_u32 s8, s16
	s_load_b32 s23, s[0:1], 0x2f4
	s_load_b32 s21, s[6:7], 0x0
	s_sub_co_i32 s25, 0, s16
	v_mov_b32_e32 v1, 0
	v_rcp_iflag_f32_e32 v0, s8
	s_wait_xcnt 0x0
	s_clause 0x7
	s_load_b64 s[6:7], s[0:1], 0x1b0
	s_load_b64 s[8:9], s[0:1], 0x288
	s_load_b64 s[10:11], s[0:1], 0x0
	s_load_b32 s17, s[0:1], 0x6c
	s_load_b64 s[12:13], s[0:1], 0xd8
	s_load_b32 s18, s[0:1], 0x144
	s_load_b64 s[14:15], s[0:1], 0x360
	s_load_b32 s19, s[0:1], 0x3cc
	s_wait_xcnt 0x0
	s_ashr_i32 s0, s2, 31
	s_lshl_b32 s1, s2, 2
	v_nop
	v_readfirstlane_b32 s20, v0
	s_mul_f32 s24, s20, 0x4f7ffffe
	s_lshl_b32 s20, s2, 1
	s_wait_kmcnt 0x0
	v_mul_lo_u32 v3, v2, s22
	v_mul_lo_u32 v4, v2, s23
	s_cvt_u32_f32 s24, s24
	s_mul_i32 s21, s21, s4
	s_delay_alu instid0(SALU_CYCLE_1) | instskip(NEXT) | instid1(SALU_CYCLE_1)
	s_mul_i32 s22, s21, s22
	s_mul_i32 s25, s25, s24
	;; [unrolled: 1-line block ×3, first 2 shown]
	s_mul_hi_u32 s4, s24, s25
	s_mov_b32 s25, s5
	s_add_co_i32 s4, s24, s4
	s_mov_b32 s24, 1.0
.LBB56_2:                               ; =>This Inner Loop Header: Depth=1
	v_dual_sub_nc_u32 v0, 0, v2 :: v_dual_ashrrev_i32 v5, 31, v2
	s_delay_alu instid0(VALU_DEP_1) | instskip(NEXT) | instid1(VALU_DEP_1)
	v_xor_b32_e32 v5, s0, v5
	v_dual_lshlrev_b32 v8, 2, v5 :: v_dual_max_i32 v0, v2, v0
	s_delay_alu instid0(VALU_DEP_1) | instskip(SKIP_2) | instid1(VALU_DEP_1)
	v_mul_u64_e32 v[6:7], s[4:5], v[0:1]
	global_load_u16 v6, v3, s[6:7] scale_offset
	v_mul_lo_u32 v9, v7, s16
	v_dual_add_nc_u32 v10, 1, v7 :: v_dual_sub_nc_u32 v0, v0, v9
	s_delay_alu instid0(VALU_DEP_1) | instskip(NEXT) | instid1(VALU_DEP_2)
	v_cmp_le_u32_e32 vcc_lo, s16, v0
	v_cndmask_b32_e32 v7, v7, v10, vcc_lo
	v_subrev_nc_u32_e32 v9, s16, v0
	s_delay_alu instid0(VALU_DEP_1) | instskip(NEXT) | instid1(VALU_DEP_1)
	v_dual_cndmask_b32 v0, v0, v9 :: v_dual_add_nc_u32 v9, 1, v7
	v_cmp_le_u32_e32 vcc_lo, s16, v0
	s_delay_alu instid0(VALU_DEP_2) | instskip(NEXT) | instid1(VALU_DEP_1)
	v_cndmask_b32_e32 v0, v7, v9, vcc_lo
	v_xor_b32_e32 v0, v0, v5
	s_delay_alu instid0(VALU_DEP_1) | instskip(NEXT) | instid1(VALU_DEP_1)
	v_lshlrev_b32_e32 v7, 2, v0
	v_sub_nc_u32_e32 v7, v7, v8
	s_delay_alu instid0(VALU_DEP_1)
	v_or_b32_e32 v10, 3, v7
	v_or_b32_e32 v11, 1, v7
	v_dual_add_nc_u32 v7, 4, v7 :: v_dual_bitop2_b32 v12, 2, v7 bitop3:0x54
	v_dual_sub_nc_u32 v9, v0, v5 :: v_dual_lshlrev_b32 v5, 1, v5
	v_lshlrev_b32_e32 v0, 1, v0
	v_mad_u32 v10, s2, v10, v2
	v_mad_u32 v11, s2, v11, v2
	s_delay_alu instid0(VALU_DEP_4)
	v_mad_u32 v8, s1, v9, v2
	v_mad_u32 v7, s2, v7, v2
	v_sub_nc_u32_e32 v0, v0, v5
	v_mad_u32 v12, s2, v12, v2
	s_wait_xcnt 0x0
	v_add_nc_u32_e32 v3, s22, v3
	v_mad_u32 v5, s20, v9, v2
	v_mul_lo_u32 v10, v10, s19
	v_mul_lo_u32 v11, v11, s19
	v_mul_lo_u32 v8, v8, s19
	v_mul_lo_u32 v7, v7, s19
	v_mul_lo_u32 v12, v12, s19
	s_clause 0x4
	global_load_u16 v13, v8, s[14:15] scale_offset
	global_load_u16 v14, v10, s[14:15] scale_offset
	;; [unrolled: 1-line block ×5, first 2 shown]
	s_wait_xcnt 0x0
	v_dual_add_nc_u32 v0, 2, v0 :: v_dual_bitop2_b32 v7, 1, v0 bitop3:0x54
	v_mul_lo_u32 v8, v5, s17
	v_mul_lo_u32 v5, v5, s18
	s_delay_alu instid0(VALU_DEP_3) | instskip(NEXT) | instid1(VALU_DEP_4)
	v_mad_u32 v7, s2, v7, v2
	v_mad_u32 v0, s2, v0, v2
	v_add_nc_u32_e32 v2, s21, v2
	s_delay_alu instid0(VALU_DEP_1) | instskip(NEXT) | instid1(VALU_DEP_4)
	v_cmp_le_i32_e32 vcc_lo, s3, v2
	v_mul_lo_u32 v9, v7, s17
	s_delay_alu instid0(VALU_DEP_4)
	v_mul_lo_u32 v10, v0, s17
	v_mul_lo_u32 v7, v7, s18
	;; [unrolled: 1-line block ×3, first 2 shown]
	s_or_b32 s25, vcc_lo, s25
	s_wait_loadcnt 0x5
	v_cvt_f32_f16_e32 v11, v6
	s_wait_loadcnt 0x4
	v_cvt_f32_f16_e32 v12, v13
	;; [unrolled: 2-line block ×5, first 2 shown]
	v_fma_mix_f32 v16, -v16, v16, s24 op_sel_hi:[1,1,0]
	v_sub_f32_e32 v12, 1.0, v12
	s_wait_loadcnt 0x0
	v_cvt_f32_f16_e32 v17, v17
	v_dual_sub_f32 v18, 1.0, v18 :: v_dual_sub_f32 v14, v14, v19
	v_mul_f16_e32 v6, v15, v6
	s_delay_alu instid0(VALU_DEP_2) | instskip(NEXT) | instid1(VALU_DEP_3)
	v_mul_f32_e32 v19, v18, v11
	v_mul_f32_e32 v11, v14, v11
	s_delay_alu instid0(VALU_DEP_1) | instskip(NEXT) | instid1(VALU_DEP_3)
	v_mul_f32_e32 v11, v18, v11
	v_mul_f32_e32 v14, v16, v19
	v_fma_mixlo_f16 v16, v16, v19, 0
	s_delay_alu instid0(VALU_DEP_3) | instskip(NEXT) | instid1(VALU_DEP_3)
	v_fma_mixlo_f16 v11, v11, v15, 0 op_sel_hi:[0,1,0]
	v_mul_f32_e32 v17, v14, v17
	v_fma_mixlo_f16 v14, v14, v13, 0 op_sel_hi:[0,1,0]
	s_delay_alu instid0(VALU_DEP_2) | instskip(NEXT) | instid1(VALU_DEP_1)
	v_mul_f32_e32 v12, v12, v17
	v_fma_mixlo_f16 v12, v12, v13, 0 op_sel_hi:[0,1,0]
	s_clause 0x2
	global_store_b16 v8, v12, s[10:11] scale_offset
	global_store_b16 v9, v11, s[10:11] scale_offset
	;; [unrolled: 1-line block ×3, first 2 shown]
	s_clause 0x2
	global_store_b16 v5, v12, s[12:13] scale_offset
	global_store_b16 v7, v11, s[12:13] scale_offset
	;; [unrolled: 1-line block ×4, first 2 shown]
	s_wait_xcnt 0x0
	v_add_nc_u32_e32 v4, s23, v4
	s_and_not1_b32 exec_lo, exec_lo, s25
	s_cbranch_execnz .LBB56_2
.LBB56_3:
	s_endpgm
	.section	.rodata,"a",@progbits
	.p2align	6, 0x0
	.amdhsa_kernel _ZN2at6native12_GLOBAL__N_16kernel17gru_cell_backwardIN3c104HalfEfiLi1EEEvNS_4cuda6detail10TensorInfoIT_T1_EESB_SB_SB_SB_SA_SA_
		.amdhsa_group_segment_fixed_size 0
		.amdhsa_private_segment_fixed_size 0
		.amdhsa_kernarg_size 1344
		.amdhsa_user_sgpr_count 2
		.amdhsa_user_sgpr_dispatch_ptr 0
		.amdhsa_user_sgpr_queue_ptr 0
		.amdhsa_user_sgpr_kernarg_segment_ptr 1
		.amdhsa_user_sgpr_dispatch_id 0
		.amdhsa_user_sgpr_kernarg_preload_length 0
		.amdhsa_user_sgpr_kernarg_preload_offset 0
		.amdhsa_user_sgpr_private_segment_size 0
		.amdhsa_wavefront_size32 1
		.amdhsa_uses_dynamic_stack 0
		.amdhsa_enable_private_segment 0
		.amdhsa_system_sgpr_workgroup_id_x 1
		.amdhsa_system_sgpr_workgroup_id_y 0
		.amdhsa_system_sgpr_workgroup_id_z 0
		.amdhsa_system_sgpr_workgroup_info 0
		.amdhsa_system_vgpr_workitem_id 0
		.amdhsa_next_free_vgpr 20
		.amdhsa_next_free_sgpr 26
		.amdhsa_named_barrier_count 0
		.amdhsa_reserve_vcc 1
		.amdhsa_float_round_mode_32 0
		.amdhsa_float_round_mode_16_64 0
		.amdhsa_float_denorm_mode_32 3
		.amdhsa_float_denorm_mode_16_64 3
		.amdhsa_fp16_overflow 0
		.amdhsa_memory_ordered 1
		.amdhsa_forward_progress 1
		.amdhsa_inst_pref_size 8
		.amdhsa_round_robin_scheduling 0
		.amdhsa_exception_fp_ieee_invalid_op 0
		.amdhsa_exception_fp_denorm_src 0
		.amdhsa_exception_fp_ieee_div_zero 0
		.amdhsa_exception_fp_ieee_overflow 0
		.amdhsa_exception_fp_ieee_underflow 0
		.amdhsa_exception_fp_ieee_inexact 0
		.amdhsa_exception_int_div_zero 0
	.end_amdhsa_kernel
	.section	.text._ZN2at6native12_GLOBAL__N_16kernel17gru_cell_backwardIN3c104HalfEfiLi1EEEvNS_4cuda6detail10TensorInfoIT_T1_EESB_SB_SB_SB_SA_SA_,"axG",@progbits,_ZN2at6native12_GLOBAL__N_16kernel17gru_cell_backwardIN3c104HalfEfiLi1EEEvNS_4cuda6detail10TensorInfoIT_T1_EESB_SB_SB_SB_SA_SA_,comdat
.Lfunc_end56:
	.size	_ZN2at6native12_GLOBAL__N_16kernel17gru_cell_backwardIN3c104HalfEfiLi1EEEvNS_4cuda6detail10TensorInfoIT_T1_EESB_SB_SB_SB_SA_SA_, .Lfunc_end56-_ZN2at6native12_GLOBAL__N_16kernel17gru_cell_backwardIN3c104HalfEfiLi1EEEvNS_4cuda6detail10TensorInfoIT_T1_EESB_SB_SB_SB_SA_SA_
                                        ; -- End function
	.set _ZN2at6native12_GLOBAL__N_16kernel17gru_cell_backwardIN3c104HalfEfiLi1EEEvNS_4cuda6detail10TensorInfoIT_T1_EESB_SB_SB_SB_SA_SA_.num_vgpr, 20
	.set _ZN2at6native12_GLOBAL__N_16kernel17gru_cell_backwardIN3c104HalfEfiLi1EEEvNS_4cuda6detail10TensorInfoIT_T1_EESB_SB_SB_SB_SA_SA_.num_agpr, 0
	.set _ZN2at6native12_GLOBAL__N_16kernel17gru_cell_backwardIN3c104HalfEfiLi1EEEvNS_4cuda6detail10TensorInfoIT_T1_EESB_SB_SB_SB_SA_SA_.numbered_sgpr, 26
	.set _ZN2at6native12_GLOBAL__N_16kernel17gru_cell_backwardIN3c104HalfEfiLi1EEEvNS_4cuda6detail10TensorInfoIT_T1_EESB_SB_SB_SB_SA_SA_.num_named_barrier, 0
	.set _ZN2at6native12_GLOBAL__N_16kernel17gru_cell_backwardIN3c104HalfEfiLi1EEEvNS_4cuda6detail10TensorInfoIT_T1_EESB_SB_SB_SB_SA_SA_.private_seg_size, 0
	.set _ZN2at6native12_GLOBAL__N_16kernel17gru_cell_backwardIN3c104HalfEfiLi1EEEvNS_4cuda6detail10TensorInfoIT_T1_EESB_SB_SB_SB_SA_SA_.uses_vcc, 1
	.set _ZN2at6native12_GLOBAL__N_16kernel17gru_cell_backwardIN3c104HalfEfiLi1EEEvNS_4cuda6detail10TensorInfoIT_T1_EESB_SB_SB_SB_SA_SA_.uses_flat_scratch, 0
	.set _ZN2at6native12_GLOBAL__N_16kernel17gru_cell_backwardIN3c104HalfEfiLi1EEEvNS_4cuda6detail10TensorInfoIT_T1_EESB_SB_SB_SB_SA_SA_.has_dyn_sized_stack, 0
	.set _ZN2at6native12_GLOBAL__N_16kernel17gru_cell_backwardIN3c104HalfEfiLi1EEEvNS_4cuda6detail10TensorInfoIT_T1_EESB_SB_SB_SB_SA_SA_.has_recursion, 0
	.set _ZN2at6native12_GLOBAL__N_16kernel17gru_cell_backwardIN3c104HalfEfiLi1EEEvNS_4cuda6detail10TensorInfoIT_T1_EESB_SB_SB_SB_SA_SA_.has_indirect_call, 0
	.section	.AMDGPU.csdata,"",@progbits
; Kernel info:
; codeLenInByte = 1020
; TotalNumSgprs: 28
; NumVgprs: 20
; ScratchSize: 0
; MemoryBound: 0
; FloatMode: 240
; IeeeMode: 1
; LDSByteSize: 0 bytes/workgroup (compile time only)
; SGPRBlocks: 0
; VGPRBlocks: 1
; NumSGPRsForWavesPerEU: 28
; NumVGPRsForWavesPerEU: 20
; NamedBarCnt: 0
; Occupancy: 16
; WaveLimiterHint : 1
; COMPUTE_PGM_RSRC2:SCRATCH_EN: 0
; COMPUTE_PGM_RSRC2:USER_SGPR: 2
; COMPUTE_PGM_RSRC2:TRAP_HANDLER: 0
; COMPUTE_PGM_RSRC2:TGID_X_EN: 1
; COMPUTE_PGM_RSRC2:TGID_Y_EN: 0
; COMPUTE_PGM_RSRC2:TGID_Z_EN: 0
; COMPUTE_PGM_RSRC2:TIDIG_COMP_CNT: 0
	.section	.text._ZN2at6native12_GLOBAL__N_16kernel17gru_cell_backwardIN3c104HalfEfiLi2EEEvNS_4cuda6detail10TensorInfoIT_T1_EESB_SB_SB_SB_SA_SA_,"axG",@progbits,_ZN2at6native12_GLOBAL__N_16kernel17gru_cell_backwardIN3c104HalfEfiLi2EEEvNS_4cuda6detail10TensorInfoIT_T1_EESB_SB_SB_SB_SA_SA_,comdat
	.globl	_ZN2at6native12_GLOBAL__N_16kernel17gru_cell_backwardIN3c104HalfEfiLi2EEEvNS_4cuda6detail10TensorInfoIT_T1_EESB_SB_SB_SB_SA_SA_ ; -- Begin function _ZN2at6native12_GLOBAL__N_16kernel17gru_cell_backwardIN3c104HalfEfiLi2EEEvNS_4cuda6detail10TensorInfoIT_T1_EESB_SB_SB_SB_SA_SA_
	.p2align	8
	.type	_ZN2at6native12_GLOBAL__N_16kernel17gru_cell_backwardIN3c104HalfEfiLi2EEEvNS_4cuda6detail10TensorInfoIT_T1_EESB_SB_SB_SB_SA_SA_,@function
_ZN2at6native12_GLOBAL__N_16kernel17gru_cell_backwardIN3c104HalfEfiLi2EEEvNS_4cuda6detail10TensorInfoIT_T1_EESB_SB_SB_SB_SA_SA_: ; @_ZN2at6native12_GLOBAL__N_16kernel17gru_cell_backwardIN3c104HalfEfiLi2EEEvNS_4cuda6detail10TensorInfoIT_T1_EESB_SB_SB_SB_SA_SA_
; %bb.0:
	s_clause 0x1
	s_load_b32 s2, s[0:1], 0x44c
	s_load_b64 s[4:5], s[0:1], 0x438
	s_bfe_u32 s3, ttmp6, 0x4000c
	s_and_b32 s6, ttmp6, 15
	s_add_co_i32 s3, s3, 1
	s_getreg_b32 s7, hwreg(HW_REG_IB_STS2, 6, 4)
	s_mul_i32 s3, ttmp9, s3
	s_delay_alu instid0(SALU_CYCLE_1)
	s_add_co_i32 s6, s6, s3
	s_wait_kmcnt 0x0
	s_and_b32 s2, s2, 0xffff
	s_cmp_eq_u32 s7, 0
	s_mov_b32 s7, 0
	s_cselect_b32 s3, ttmp9, s6
	s_delay_alu instid0(SALU_CYCLE_1) | instskip(SKIP_1) | instid1(VALU_DEP_1)
	v_mad_u32 v2, s3, s2, v0
	s_mov_b32 s3, exec_lo
	v_cmpx_gt_i32_e64 s5, v2
	s_cbranch_execz .LBB57_3
; %bb.1:
	s_clause 0x4
	s_load_b32 s3, s[0:1], 0x36c
	s_load_b32 s40, s[0:1], 0xe4
	s_load_b64 s[8:9], s[0:1], 0x144
	s_load_b64 s[10:11], s[0:1], 0x1b0
	s_load_b32 s56, s[0:1], 0x1bc
	s_abs_i32 s33, s4
	s_add_nc_u64 s[18:19], s[0:1], 0x440
	s_cvt_f32_u32 s6, s33
	s_clause 0x3
	s_load_b64 s[12:13], s[0:1], 0x0
	s_load_b32 s41, s[0:1], 0xc
	s_load_b64 s[14:15], s[0:1], 0x6c
	s_load_b64 s[16:17], s[0:1], 0xd8
	s_load_b32 s48, s[18:19], 0x0
	s_wait_xcnt 0x0
	s_clause 0x5
	s_load_b64 s[18:19], s[0:1], 0x21c
	s_load_b64 s[20:21], s[0:1], 0x288
	s_load_b32 s57, s[0:1], 0x294
	s_load_b64 s[22:23], s[0:1], 0x2f4
	s_load_b64 s[24:25], s[0:1], 0x360
	;; [unrolled: 1-line block ×3, first 2 shown]
	s_ashr_i32 s43, s4, 31
	v_rcp_iflag_f32_e32 v0, s6
	s_sub_co_i32 s6, 0, s33
	s_mov_b32 s29, s7
	s_mov_b32 s35, s7
	;; [unrolled: 1-line block ×3, first 2 shown]
	s_lshl_b32 s54, s4, 2
	s_lshl_b32 s55, s4, 1
	s_wait_xcnt 0x0
	v_nop
	v_readfirstlane_b32 s0, v0
	s_mov_b32 s58, 1.0
	s_mov_b32 s59, s7
	s_wait_kmcnt 0x0
	s_abs_i32 s47, s40
	s_ashr_i32 s52, s40, 31
	s_abs_i32 s42, s3
	s_abs_i32 s45, s56
	s_cvt_f32_u32 s1, s42
	s_mul_f32 s0, s0, 0x4f7ffffe
	s_abs_i32 s46, s41
	s_mul_i32 s48, s48, s2
	v_rcp_iflag_f32_e32 v0, s1
	s_cvt_f32_u32 s1, s45
	s_cvt_u32_f32 s0, s0
	s_cvt_f32_u32 s2, s46
	s_abs_i32 s50, s57
	s_sub_co_i32 s31, 0, s46
	s_mul_i32 s6, s6, s0
	v_nop
	v_readfirstlane_b32 s28, v0
	v_rcp_iflag_f32_e32 v0, s1
	v_rcp_iflag_f32_e32 v1, s2
	s_mul_hi_u32 s2, s0, s6
	s_sub_co_i32 s37, 0, s50
	s_mul_f32 s1, s28, 0x4f7ffffe
	s_sub_co_i32 s28, 0, s42
	s_add_co_i32 s6, s0, s2
	v_readfirstlane_b32 s30, v0
	s_cvt_u32_f32 s1, s1
	v_readfirstlane_b32 s0, v1
	s_ashr_i32 s44, s3, 31
	s_ashr_i32 s49, s56, 31
	s_mul_i32 s28, s28, s1
	s_mul_f32 s30, s30, 0x4f7ffffe
	s_mul_hi_u32 s2, s1, s28
	s_mul_f32 s0, s0, 0x4f7ffffe
	s_add_co_i32 s28, s1, s2
	s_cvt_f32_u32 s1, s47
	s_cvt_u32_f32 s2, s30
	s_sub_co_i32 s30, 0, s45
	s_cvt_u32_f32 s0, s0
	v_rcp_iflag_f32_e32 v0, s1
	s_cvt_f32_u32 s1, s50
	s_mul_i32 s30, s30, s2
	s_ashr_i32 s51, s41, 31
	s_mul_hi_u32 s30, s2, s30
	v_rcp_iflag_f32_e32 v1, s1
	s_add_co_i32 s30, s2, s30
	v_nop
	v_readfirstlane_b32 s1, v0
	s_mul_i32 s2, s31, s0
	s_mov_b32 s31, s7
	s_mul_hi_u32 s2, s0, s2
	s_ashr_i32 s53, s57, 31
	v_readfirstlane_b32 s36, v1
	s_mul_f32 s1, s1, 0x4f7ffffe
	s_add_co_i32 s34, s0, s2
	s_sub_co_i32 s2, 0, s47
	v_mov_b32_e32 v1, 0
	s_cvt_u32_f32 s0, s1
	s_mul_f32 s1, s36, 0x4f7ffffe
	s_sub_co_i32 s56, 0, s56
	s_sub_co_i32 s57, 0, s57
	s_mul_i32 s2, s2, s0
	s_cvt_u32_f32 s1, s1
	s_mul_hi_u32 s2, s0, s2
	s_delay_alu instid0(SALU_CYCLE_1) | instskip(NEXT) | instid1(SALU_CYCLE_1)
	s_add_co_i32 s36, s0, s2
	s_mul_i32 s0, s37, s1
	s_mov_b32 s37, s7
	s_mul_hi_u32 s0, s1, s0
	s_delay_alu instid0(SALU_CYCLE_1)
	s_add_co_i32 s38, s1, s0
.LBB57_2:                               ; =>This Inner Loop Header: Depth=1
	v_dual_ashrrev_i32 v3, 31, v2 :: v_dual_sub_nc_u32 v0, 0, v2
	v_dual_mov_b32 v13, v1 :: v_dual_mov_b32 v5, v1
	v_dual_mov_b32 v7, v1 :: v_dual_mov_b32 v9, v1
	s_delay_alu instid0(VALU_DEP_3) | instskip(NEXT) | instid1(VALU_DEP_1)
	v_dual_mov_b32 v11, v1 :: v_dual_max_i32 v0, v2, v0
	v_mul_u64_e32 v[14:15], s[6:7], v[0:1]
	v_mul_u64_e32 v[16:17], s[30:31], v[0:1]
	v_xor_b32_e32 v24, s43, v3
	s_delay_alu instid0(VALU_DEP_3) | instskip(NEXT) | instid1(VALU_DEP_3)
	v_mul_lo_u32 v8, v15, s33
	v_mul_lo_u32 v10, v17, s45
	v_dual_add_nc_u32 v12, 1, v15 :: v_dual_add_nc_u32 v14, 1, v17
	s_delay_alu instid0(VALU_DEP_4) | instskip(NEXT) | instid1(VALU_DEP_4)
	v_dual_lshlrev_b32 v6, 2, v24 :: v_dual_bitop2_b32 v4, s49, v3 bitop3:0x14
	v_dual_sub_nc_u32 v8, v0, v8 :: v_dual_bitop2_b32 v3, s53, v3 bitop3:0x14
	s_delay_alu instid0(VALU_DEP_1) | instskip(SKIP_3) | instid1(VALU_DEP_3)
	v_cmp_le_u32_e32 vcc_lo, s33, v8
	v_sub_nc_u32_e32 v10, v0, v10
	v_subrev_nc_u32_e32 v16, s33, v8
	v_cndmask_b32_e32 v12, v15, v12, vcc_lo
	v_cmp_le_u32_e64 s0, s45, v10
	v_subrev_nc_u32_e32 v15, s45, v10
	s_delay_alu instid0(VALU_DEP_4) | instskip(NEXT) | instid1(VALU_DEP_3)
	v_cndmask_b32_e32 v8, v8, v16, vcc_lo
	v_dual_add_nc_u32 v16, 1, v12 :: v_dual_cndmask_b32 v14, v17, v14, s0
	s_delay_alu instid0(VALU_DEP_3) | instskip(NEXT) | instid1(VALU_DEP_3)
	v_cndmask_b32_e64 v10, v10, v15, s0
	v_cmp_le_u32_e32 vcc_lo, s33, v8
	s_delay_alu instid0(VALU_DEP_3) | instskip(NEXT) | instid1(VALU_DEP_3)
	v_dual_cndmask_b32 v8, v12, v16 :: v_dual_add_nc_u32 v15, 1, v14
	v_cmp_le_u32_e32 vcc_lo, s45, v10
	s_delay_alu instid0(VALU_DEP_2) | instskip(NEXT) | instid1(VALU_DEP_1)
	v_dual_cndmask_b32 v10, v14, v15, vcc_lo :: v_dual_bitop2_b32 v25, v8, v24 bitop3:0x14
	v_dual_lshlrev_b32 v10, 2, v25 :: v_dual_bitop2_b32 v8, v10, v4 bitop3:0x14
	s_delay_alu instid0(VALU_DEP_1) | instskip(NEXT) | instid1(VALU_DEP_2)
	v_dual_sub_nc_u32 v26, v25, v24 :: v_dual_sub_nc_u32 v6, v10, v6
	v_sub_nc_u32_e32 v4, v8, v4
	s_delay_alu instid0(VALU_DEP_2) | instskip(NEXT) | instid1(VALU_DEP_3)
	v_mul_lo_u32 v27, s54, v26
	v_or_b32_e32 v10, 1, v6
	s_delay_alu instid0(VALU_DEP_3) | instskip(SKIP_2) | instid1(VALU_DEP_4)
	v_mad_u32 v8, s56, v4, v2
	v_or_b32_e32 v12, 2, v6
	v_dual_add_nc_u32 v6, 4, v6 :: v_dual_bitop2_b32 v14, 3, v6 bitop3:0x54
	v_mul_lo_u32 v28, s4, v10
	s_delay_alu instid0(VALU_DEP_3) | instskip(NEXT) | instid1(VALU_DEP_3)
	v_mul_lo_u32 v29, s4, v12
	v_mul_lo_u32 v31, s4, v6
	v_add_nc_u32_e32 v6, v2, v27
	v_mul_lo_u32 v30, s4, v14
	v_mul_lo_u32 v8, v8, s19
	s_delay_alu instid0(VALU_DEP_3) | instskip(NEXT) | instid1(VALU_DEP_1)
	v_dual_ashrrev_i32 v6, 31, v6 :: v_dual_add_nc_u32 v12, v2, v28
	v_dual_add_nc_u32 v14, v2, v29 :: v_dual_bitop2_b32 v32, s44, v6 bitop3:0x14
	v_add3_u32 v10, v6, v27, v2
	v_dual_add_nc_u32 v15, v2, v30 :: v_dual_add_nc_u32 v16, v2, v31
	v_mad_u32 v8, v4, s18, v8
	s_delay_alu instid0(VALU_DEP_3) | instskip(NEXT) | instid1(VALU_DEP_3)
	v_dual_ashrrev_i32 v6, 31, v12 :: v_dual_bitop2_b32 v4, v10, v6 bitop3:0x14
	v_dual_ashrrev_i32 v10, 31, v14 :: v_dual_ashrrev_i32 v12, 31, v15
	s_delay_alu instid0(VALU_DEP_4) | instskip(NEXT) | instid1(VALU_DEP_3)
	v_ashrrev_i32_e32 v16, 31, v16
	v_mul_u64_e32 v[14:15], s[28:29], v[4:5]
	s_delay_alu instid0(VALU_DEP_4) | instskip(NEXT) | instid1(VALU_DEP_4)
	v_xor_b32_e32 v5, s44, v6
	v_add3_u32 v17, v10, v29, v2
	v_add3_u32 v18, v12, v30, v2
	;; [unrolled: 1-line block ×3, first 2 shown]
	v_xor_b32_e32 v33, s44, v10
	v_xor_b32_e32 v34, s44, v12
	global_load_u16 v36, v8, s[10:11] scale_offset
	s_wait_xcnt 0x0
	v_xor_b32_e32 v8, v17, v10
	v_xor_b32_e32 v10, v18, v12
	;; [unrolled: 1-line block ×3, first 2 shown]
	v_add3_u32 v14, v6, v28, v2
	s_delay_alu instid0(VALU_DEP_3) | instskip(NEXT) | instid1(VALU_DEP_3)
	v_mul_u64_e32 v[20:21], s[28:29], v[10:11]
	v_mul_u64_e32 v[22:23], s[28:29], v[12:13]
	s_delay_alu instid0(VALU_DEP_2) | instskip(NEXT) | instid1(VALU_DEP_2)
	v_dual_add_nc_u32 v20, 1, v21 :: v_dual_bitop2_b32 v6, v14, v6 bitop3:0x14
	v_add_nc_u32_e32 v37, 1, v23
	v_mul_u64_e32 v[18:19], s[28:29], v[8:9]
	v_xor_b32_e32 v35, s44, v16
	s_delay_alu instid0(VALU_DEP_4) | instskip(SKIP_4) | instid1(VALU_DEP_4)
	v_mul_u64_e32 v[16:17], s[28:29], v[6:7]
	v_mul_lo_u32 v7, v15, s42
	v_add_nc_u32_e32 v9, 1, v15
	v_mul_lo_u32 v18, v21, s42
	v_mul_lo_u32 v22, v23, s42
	v_sub_nc_u32_e32 v4, v4, v7
	s_delay_alu instid0(VALU_DEP_1) | instskip(SKIP_1) | instid1(VALU_DEP_2)
	v_subrev_nc_u32_e32 v7, s42, v4
	v_cmp_le_u32_e32 vcc_lo, s42, v4
	v_cndmask_b32_e32 v4, v4, v7, vcc_lo
	v_mul_lo_u32 v14, v19, s42
	v_add_nc_u32_e32 v16, 1, v19
	v_mul_lo_u32 v11, v17, s42
	v_cndmask_b32_e32 v9, v15, v9, vcc_lo
	v_cmp_le_u32_e32 vcc_lo, s42, v4
	v_dual_add_nc_u32 v13, 1, v17 :: v_dual_sub_nc_u32 v8, v8, v14
	s_delay_alu instid0(VALU_DEP_3) | instskip(SKIP_1) | instid1(VALU_DEP_3)
	v_dual_sub_nc_u32 v6, v6, v11 :: v_dual_add_nc_u32 v7, 1, v9
	v_sub_nc_u32_e32 v10, v10, v18
	v_cmp_le_u32_e64 s0, s42, v8
	s_delay_alu instid0(VALU_DEP_3) | instskip(NEXT) | instid1(VALU_DEP_4)
	v_cndmask_b32_e32 v4, v9, v7, vcc_lo
	v_cmp_le_u32_e32 vcc_lo, s42, v6
	v_sub_nc_u32_e32 v11, v12, v22
	v_subrev_nc_u32_e32 v9, s42, v6
	v_cndmask_b32_e64 v12, v19, v16, s0
	v_cmp_le_u32_e64 s1, s42, v10
	v_cndmask_b32_e32 v7, v17, v13, vcc_lo
	v_subrev_nc_u32_e32 v15, s42, v10
	v_cmp_le_u32_e64 s2, s42, v11
	v_cndmask_b32_e32 v6, v6, v9, vcc_lo
	v_subrev_nc_u32_e32 v13, s42, v8
	v_cndmask_b32_e64 v14, v21, v20, s1
	v_dual_add_nc_u32 v9, 1, v7 :: v_dual_bitop2_b32 v4, v4, v32 bitop3:0x14
	v_dual_cndmask_b32 v16, v23, v37, s2 :: v_dual_cndmask_b32 v10, v10, v15, s1
	s_delay_alu instid0(VALU_DEP_3)
	v_add_nc_u32_e32 v15, 1, v14
	v_cmp_le_u32_e32 vcc_lo, s42, v6
	v_subrev_nc_u32_e32 v17, s42, v11
	v_dual_cndmask_b32 v8, v8, v13, s0 :: v_dual_add_nc_u32 v13, 1, v12
	v_dual_sub_nc_u32 v4, v4, v32 :: v_dual_cndmask_b32 v6, v7, v9, vcc_lo
	v_cmp_le_u32_e32 vcc_lo, s42, v10
	s_delay_alu instid0(VALU_DEP_4) | instskip(NEXT) | instid1(VALU_DEP_3)
	v_dual_cndmask_b32 v11, v11, v17, s2 :: v_dual_add_nc_u32 v17, 1, v16
	v_mul_lo_u32 v10, v4, s3
	v_cndmask_b32_e32 v7, v14, v15, vcc_lo
	v_cmp_le_u32_e32 vcc_lo, s42, v8
	v_cndmask_b32_e32 v8, v12, v13, vcc_lo
	v_cmp_le_u32_e32 vcc_lo, s42, v11
	s_delay_alu instid0(VALU_DEP_4) | instskip(SKIP_1) | instid1(VALU_DEP_4)
	v_xor_b32_e32 v7, v7, v34
	v_dual_sub_nc_u32 v10, v27, v10 :: v_dual_bitop2_b32 v6, v6, v5 bitop3:0x14
	v_xor_b32_e32 v8, v8, v33
	s_delay_alu instid0(VALU_DEP_3) | instskip(NEXT) | instid1(VALU_DEP_1)
	v_dual_cndmask_b32 v9, v16, v17, vcc_lo :: v_dual_sub_nc_u32 v7, v7, v34
	v_dual_sub_nc_u32 v5, v6, v5 :: v_dual_bitop2_b32 v9, v9, v35 bitop3:0x14
	s_delay_alu instid0(VALU_DEP_3) | instskip(NEXT) | instid1(VALU_DEP_2)
	v_sub_nc_u32_e32 v6, v8, v33
	v_mul_lo_u32 v11, v5, s3
	s_delay_alu instid0(VALU_DEP_3) | instskip(SKIP_1) | instid1(VALU_DEP_4)
	v_dual_add_nc_u32 v10, v2, v10 :: v_dual_sub_nc_u32 v8, v9, v35
	v_mul_lo_u32 v9, v7, s3
	v_mul_lo_u32 v12, v6, s3
	s_delay_alu instid0(VALU_DEP_3) | instskip(SKIP_2) | instid1(VALU_DEP_4)
	v_mul_lo_u32 v13, v8, s3
	v_sub_nc_u32_e32 v11, v28, v11
	v_mul_lo_u32 v10, v10, s27
	v_dual_sub_nc_u32 v9, v30, v9 :: v_dual_sub_nc_u32 v12, v29, v12
	s_delay_alu instid0(VALU_DEP_3) | instskip(NEXT) | instid1(VALU_DEP_2)
	v_dual_add_nc_u32 v11, v2, v11 :: v_dual_sub_nc_u32 v13, v31, v13
	v_dual_add_nc_u32 v9, v2, v9 :: v_dual_add_nc_u32 v12, v2, v12
	s_delay_alu instid0(VALU_DEP_2) | instskip(SKIP_1) | instid1(VALU_DEP_4)
	v_mul_lo_u32 v11, v11, s27
	v_mad_u32 v4, v4, s26, v10
	v_add_nc_u32_e32 v13, v2, v13
	s_delay_alu instid0(VALU_DEP_4) | instskip(SKIP_1) | instid1(VALU_DEP_3)
	v_mul_lo_u32 v9, v9, s27
	v_mul_lo_u32 v12, v12, s27
	;; [unrolled: 1-line block ×3, first 2 shown]
	v_mad_u32 v5, v5, s26, v11
	v_mul_u64_e32 v[10:11], s[38:39], v[0:1]
	v_mad_u32 v7, v7, s26, v9
	v_mad_u32 v6, v6, s26, v12
	v_mov_b32_e32 v9, v1
	v_mad_u32 v8, v8, s26, v13
	s_clause 0x4
	global_load_u16 v22, v4, s[24:25] scale_offset
	global_load_u16 v23, v7, s[24:25] scale_offset
	;; [unrolled: 1-line block ×5, first 2 shown]
	s_wait_xcnt 0x4
	v_lshlrev_b32_e32 v4, 1, v24
	v_mul_lo_u32 v24, s55, v26
	s_wait_xcnt 0x2
	v_dual_mov_b32 v5, v1 :: v_dual_mov_b32 v7, v1
	s_wait_xcnt 0x1
	v_mul_lo_u32 v6, v11, s50
	s_wait_xcnt 0x0
	s_delay_alu instid0(VALU_DEP_1) | instskip(NEXT) | instid1(VALU_DEP_1)
	v_dual_add_nc_u32 v8, 1, v11 :: v_dual_sub_nc_u32 v0, v0, v6
	v_subrev_nc_u32_e32 v6, s50, v0
	v_cmp_le_u32_e32 vcc_lo, s50, v0
	s_delay_alu instid0(VALU_DEP_2) | instskip(NEXT) | instid1(VALU_DEP_1)
	v_dual_cndmask_b32 v8, v11, v8, vcc_lo :: v_dual_cndmask_b32 v0, v0, v6, vcc_lo
	v_add_nc_u32_e32 v6, 1, v8
	s_delay_alu instid0(VALU_DEP_2) | instskip(NEXT) | instid1(VALU_DEP_2)
	v_cmp_le_u32_e32 vcc_lo, s50, v0
	v_dual_cndmask_b32 v0, v8, v6, vcc_lo :: v_dual_lshlrev_b32 v6, 1, v25
	s_delay_alu instid0(VALU_DEP_1) | instskip(NEXT) | instid1(VALU_DEP_1)
	v_xor_b32_e32 v0, v0, v3
	v_dual_sub_nc_u32 v0, v0, v3 :: v_dual_sub_nc_u32 v3, v6, v4
	s_delay_alu instid0(VALU_DEP_1) | instskip(NEXT) | instid1(VALU_DEP_2)
	v_mad_u32 v4, s57, v0, v2
	v_dual_add_nc_u32 v3, 2, v3 :: v_dual_bitop2_b32 v6, 1, v3 bitop3:0x54
	s_delay_alu instid0(VALU_DEP_1) | instskip(NEXT) | instid1(VALU_DEP_2)
	v_mul_lo_u32 v25, s4, v6
	v_mul_lo_u32 v3, s4, v3
	v_add_nc_u32_e32 v6, v2, v24
	v_mul_lo_u32 v4, v4, s23
	s_delay_alu instid0(VALU_DEP_2) | instskip(NEXT) | instid1(VALU_DEP_4)
	v_dual_add_nc_u32 v10, v2, v25 :: v_dual_ashrrev_i32 v6, 31, v6
	v_add_nc_u32_e32 v11, v2, v3
	s_delay_alu instid0(VALU_DEP_3) | instskip(NEXT) | instid1(VALU_DEP_3)
	v_mad_u32 v0, v0, s22, v4
	v_add3_u32 v8, v6, v24, v2
	v_xor_b32_e32 v26, s51, v6
	v_xor_b32_e32 v30, s52, v6
	s_delay_alu instid0(VALU_DEP_3) | instskip(SKIP_1) | instid1(VALU_DEP_2)
	v_dual_ashrrev_i32 v8, 31, v11 :: v_dual_bitop2_b32 v4, v8, v6 bitop3:0x14
	v_ashrrev_i32_e32 v6, 31, v10
	v_mul_u64_e32 v[12:13], s[36:37], v[4:5]
	s_delay_alu instid0(VALU_DEP_3) | instskip(SKIP_3) | instid1(VALU_DEP_4)
	v_add3_u32 v15, v8, v3, v2
	v_xor_b32_e32 v31, s51, v8
	v_xor_b32_e32 v12, s52, v8
	v_add3_u32 v14, v6, v25, v2
	v_xor_b32_e32 v8, v15, v8
	s_delay_alu instid0(VALU_DEP_1)
	v_mul_u64_e32 v[20:21], s[36:37], v[8:9]
	v_mul_u64_e32 v[16:17], s[34:35], v[8:9]
	v_add_nc_u32_e32 v16, 1, v13
	v_mul_u64_e32 v[10:11], s[34:35], v[4:5]
	v_xor_b32_e32 v10, s51, v6
	v_xor_b32_e32 v5, s52, v6
	v_dual_add_nc_u32 v38, 1, v21 :: v_dual_bitop2_b32 v6, v14, v6 bitop3:0x14
	s_delay_alu instid0(VALU_DEP_1)
	v_mul_u64_e32 v[14:15], s[34:35], v[6:7]
	v_mul_u64_e32 v[18:19], s[36:37], v[6:7]
	v_mul_lo_u32 v14, v13, s47
	v_mul_lo_u32 v32, v17, s46
	v_mul_lo_u32 v37, v21, s47
	v_add_nc_u32_e32 v33, 1, v17
	v_mul_lo_u32 v7, v11, s46
	v_add_nc_u32_e32 v9, 1, v11
	s_delay_alu instid0(VALU_DEP_2)
	v_sub_nc_u32_e32 v7, v4, v7
	v_mul_lo_u32 v18, v15, s46
	v_mul_lo_u32 v34, v19, s47
	v_add_nc_u32_e32 v20, 1, v15
	v_add_nc_u32_e32 v35, 1, v19
	v_cmp_le_u32_e32 vcc_lo, s46, v7
	v_sub_nc_u32_e32 v4, v4, v14
	v_subrev_nc_u32_e32 v14, s46, v7
	v_cndmask_b32_e32 v9, v11, v9, vcc_lo
	s_delay_alu instid0(VALU_DEP_3) | instskip(NEXT) | instid1(VALU_DEP_2)
	v_cmp_le_u32_e64 s0, s47, v4
	v_dual_cndmask_b32 v7, v7, v14 :: v_dual_add_nc_u32 v14, 1, v9
	s_delay_alu instid0(VALU_DEP_2) | instskip(SKIP_4) | instid1(VALU_DEP_4)
	v_cndmask_b32_e64 v11, v13, v16, s0
	v_subrev_nc_u32_e32 v13, s47, v4
	v_dual_sub_nc_u32 v16, v6, v18 :: v_dual_sub_nc_u32 v18, v8, v32
	v_sub_nc_u32_e32 v6, v6, v34
	v_cmp_le_u32_e32 vcc_lo, s46, v7
	v_dual_cndmask_b32 v4, v4, v13, s0 :: v_dual_add_nc_u32 v13, 1, v11
	v_sub_nc_u32_e32 v8, v8, v37
	v_cmp_le_u32_e64 s0, s46, v18
	v_cndmask_b32_e32 v7, v9, v14, vcc_lo
	s_delay_alu instid0(VALU_DEP_4) | instskip(SKIP_3) | instid1(VALU_DEP_4)
	v_cmp_le_u32_e64 s1, s47, v4
	v_cmp_le_u32_e32 vcc_lo, s46, v16
	v_subrev_nc_u32_e32 v14, s46, v16
	v_cmp_le_u32_e64 s2, s47, v8
	v_cndmask_b32_e64 v4, v11, v13, s1
	v_cmp_le_u32_e64 s1, s47, v6
	v_dual_cndmask_b32 v9, v15, v20, vcc_lo :: v_dual_cndmask_b32 v15, v17, v33, s0
	v_subrev_nc_u32_e32 v17, s46, v18
	s_delay_alu instid0(VALU_DEP_3) | instskip(SKIP_1) | instid1(VALU_DEP_4)
	v_dual_cndmask_b32 v14, v16, v14, vcc_lo :: v_dual_cndmask_b32 v11, v19, v35, s1
	v_subrev_nc_u32_e32 v13, s47, v6
	v_dual_add_nc_u32 v16, 1, v9 :: v_dual_bitop2_b32 v7, v7, v26 bitop3:0x14
	s_delay_alu instid0(VALU_DEP_4) | instskip(NEXT) | instid1(VALU_DEP_4)
	v_dual_cndmask_b32 v17, v18, v17, s0 :: v_dual_add_nc_u32 v18, 1, v15
	v_cmp_le_u32_e32 vcc_lo, s46, v14
	v_cndmask_b32_e64 v19, v21, v38, s2
	v_subrev_nc_u32_e32 v20, s47, v8
	v_dual_cndmask_b32 v6, v6, v13, s1 :: v_dual_bitop2_b32 v4, v4, v30 bitop3:0x14
	v_cndmask_b32_e32 v9, v9, v16, vcc_lo
	v_cmp_le_u32_e32 vcc_lo, s46, v17
	s_delay_alu instid0(VALU_DEP_4)
	v_dual_add_nc_u32 v13, 1, v11 :: v_dual_cndmask_b32 v8, v8, v20, s2
	v_dual_add_nc_u32 v20, 1, v19 :: v_dual_sub_nc_u32 v7, v7, v26
	v_cndmask_b32_e32 v14, v15, v18, vcc_lo
	v_cmp_le_u32_e32 vcc_lo, s47, v6
	v_sub_nc_u32_e32 v4, v4, v30
	v_dual_cndmask_b32 v6, v11, v13, vcc_lo :: v_dual_bitop2_b32 v9, v9, v10 bitop3:0x14
	v_cmp_le_u32_e32 vcc_lo, s47, v8
	v_mul_lo_u32 v11, v7, s41
	s_delay_alu instid0(VALU_DEP_3) | instskip(SKIP_2) | instid1(VALU_DEP_1)
	v_dual_sub_nc_u32 v9, v9, v10 :: v_dual_bitop2_b32 v13, v14, v31 bitop3:0x14
	v_mul_lo_u32 v14, v4, s40
	v_dual_cndmask_b32 v8, v19, v20, vcc_lo :: v_dual_bitop2_b32 v6, v6, v5 bitop3:0x14
	v_dual_sub_nc_u32 v10, v13, v31 :: v_dual_bitop2_b32 v8, v8, v12 bitop3:0x14
	s_delay_alu instid0(VALU_DEP_2) | instskip(NEXT) | instid1(VALU_DEP_4)
	v_dual_sub_nc_u32 v5, v6, v5 :: v_dual_sub_nc_u32 v11, v24, v11
	v_sub_nc_u32_e32 v14, v24, v14
	s_delay_alu instid0(VALU_DEP_2) | instskip(SKIP_3) | instid1(VALU_DEP_4)
	v_dual_sub_nc_u32 v6, v8, v12 :: v_dual_add_nc_u32 v11, v2, v11
	v_mul_lo_u32 v8, v9, s41
	v_mul_lo_u32 v12, v10, s41
	;; [unrolled: 1-line block ×4, first 2 shown]
	v_add_nc_u32_e32 v14, v2, v14
	v_mul_lo_u32 v11, v11, s15
	v_sub_nc_u32_e32 v8, v25, v8
	v_dual_sub_nc_u32 v12, v3, v12 :: v_dual_sub_nc_u32 v13, v25, v13
	v_sub_nc_u32_e32 v3, v3, v15
	v_mul_lo_u32 v14, v14, s9
	s_delay_alu instid0(VALU_DEP_4) | instskip(NEXT) | instid1(VALU_DEP_4)
	v_add_nc_u32_e32 v8, v2, v8
	v_dual_add_nc_u32 v12, v2, v12 :: v_dual_add_nc_u32 v13, v2, v13
	s_delay_alu instid0(VALU_DEP_4) | instskip(NEXT) | instid1(VALU_DEP_3)
	v_dual_add_nc_u32 v3, v2, v3 :: v_dual_add_nc_u32 v2, s48, v2
	v_mul_lo_u32 v8, v8, s15
	s_delay_alu instid0(VALU_DEP_3) | instskip(NEXT) | instid1(VALU_DEP_4)
	v_mul_lo_u32 v12, v12, s15
	v_mul_lo_u32 v13, v13, s9
	s_delay_alu instid0(VALU_DEP_4)
	v_mul_lo_u32 v3, v3, s9
	v_mad_u32 v7, v7, s14, v11
	v_mad_u32 v4, v4, s8, v14
	v_cmp_le_i32_e32 vcc_lo, s5, v2
	v_mad_u32 v8, v9, s14, v8
	v_mad_u32 v9, v10, s14, v12
	;; [unrolled: 1-line block ×4, first 2 shown]
	s_wait_loadcnt 0x5
	v_cvt_f32_f16_e32 v6, v36
	s_or_b32 s59, vcc_lo, s59
	s_wait_loadcnt 0x4
	v_cvt_f32_f16_e32 v10, v22
	s_wait_loadcnt 0x3
	v_cvt_f32_f16_e32 v11, v23
	;; [unrolled: 2-line block ×4, first 2 shown]
	v_fma_mix_f32 v14, -v28, v28, s58 op_sel_hi:[1,1,0]
	v_sub_f32_e32 v10, 1.0, v10
	s_wait_loadcnt 0x0
	v_cvt_f32_f16_e32 v15, v29
	v_dual_sub_f32 v12, 1.0, v12 :: v_dual_sub_f32 v11, v11, v13
	v_mul_f16_e32 v16, v27, v36
	s_delay_alu instid0(VALU_DEP_2) | instskip(NEXT) | instid1(VALU_DEP_1)
	v_dual_mul_f32 v13, v12, v6 :: v_dual_mul_f32 v6, v11, v6
	v_dual_mul_f32 v11, v14, v13 :: v_dual_mul_f32 v6, v12, v6
	v_fma_mixlo_f16 v12, v14, v13, 0
	s_delay_alu instid0(VALU_DEP_2) | instskip(NEXT) | instid1(VALU_DEP_3)
	v_mul_f32_e32 v13, v11, v15
	v_fma_mixlo_f16 v6, v6, v27, 0 op_sel_hi:[0,1,0]
	v_fma_mixlo_f16 v11, v11, v22, 0 op_sel_hi:[0,1,0]
	s_delay_alu instid0(VALU_DEP_3) | instskip(NEXT) | instid1(VALU_DEP_1)
	v_mul_f32_e32 v10, v10, v13
	v_fma_mixlo_f16 v10, v10, v22, 0 op_sel_hi:[0,1,0]
	s_clause 0x2
	global_store_b16 v7, v10, s[12:13] scale_offset
	global_store_b16 v8, v6, s[12:13] scale_offset
	;; [unrolled: 1-line block ×3, first 2 shown]
	s_clause 0x2
	global_store_b16 v4, v10, s[16:17] scale_offset
	global_store_b16 v5, v6, s[16:17] scale_offset
	;; [unrolled: 1-line block ×4, first 2 shown]
	s_wait_xcnt 0x0
	s_and_not1_b32 exec_lo, exec_lo, s59
	s_cbranch_execnz .LBB57_2
.LBB57_3:
	s_endpgm
	.section	.rodata,"a",@progbits
	.p2align	6, 0x0
	.amdhsa_kernel _ZN2at6native12_GLOBAL__N_16kernel17gru_cell_backwardIN3c104HalfEfiLi2EEEvNS_4cuda6detail10TensorInfoIT_T1_EESB_SB_SB_SB_SA_SA_
		.amdhsa_group_segment_fixed_size 0
		.amdhsa_private_segment_fixed_size 0
		.amdhsa_kernarg_size 1344
		.amdhsa_user_sgpr_count 2
		.amdhsa_user_sgpr_dispatch_ptr 0
		.amdhsa_user_sgpr_queue_ptr 0
		.amdhsa_user_sgpr_kernarg_segment_ptr 1
		.amdhsa_user_sgpr_dispatch_id 0
		.amdhsa_user_sgpr_kernarg_preload_length 0
		.amdhsa_user_sgpr_kernarg_preload_offset 0
		.amdhsa_user_sgpr_private_segment_size 0
		.amdhsa_wavefront_size32 1
		.amdhsa_uses_dynamic_stack 0
		.amdhsa_enable_private_segment 0
		.amdhsa_system_sgpr_workgroup_id_x 1
		.amdhsa_system_sgpr_workgroup_id_y 0
		.amdhsa_system_sgpr_workgroup_id_z 0
		.amdhsa_system_sgpr_workgroup_info 0
		.amdhsa_system_vgpr_workitem_id 0
		.amdhsa_next_free_vgpr 39
		.amdhsa_next_free_sgpr 60
		.amdhsa_named_barrier_count 0
		.amdhsa_reserve_vcc 1
		.amdhsa_float_round_mode_32 0
		.amdhsa_float_round_mode_16_64 0
		.amdhsa_float_denorm_mode_32 3
		.amdhsa_float_denorm_mode_16_64 3
		.amdhsa_fp16_overflow 0
		.amdhsa_memory_ordered 1
		.amdhsa_forward_progress 1
		.amdhsa_inst_pref_size 24
		.amdhsa_round_robin_scheduling 0
		.amdhsa_exception_fp_ieee_invalid_op 0
		.amdhsa_exception_fp_denorm_src 0
		.amdhsa_exception_fp_ieee_div_zero 0
		.amdhsa_exception_fp_ieee_overflow 0
		.amdhsa_exception_fp_ieee_underflow 0
		.amdhsa_exception_fp_ieee_inexact 0
		.amdhsa_exception_int_div_zero 0
	.end_amdhsa_kernel
	.section	.text._ZN2at6native12_GLOBAL__N_16kernel17gru_cell_backwardIN3c104HalfEfiLi2EEEvNS_4cuda6detail10TensorInfoIT_T1_EESB_SB_SB_SB_SA_SA_,"axG",@progbits,_ZN2at6native12_GLOBAL__N_16kernel17gru_cell_backwardIN3c104HalfEfiLi2EEEvNS_4cuda6detail10TensorInfoIT_T1_EESB_SB_SB_SB_SA_SA_,comdat
.Lfunc_end57:
	.size	_ZN2at6native12_GLOBAL__N_16kernel17gru_cell_backwardIN3c104HalfEfiLi2EEEvNS_4cuda6detail10TensorInfoIT_T1_EESB_SB_SB_SB_SA_SA_, .Lfunc_end57-_ZN2at6native12_GLOBAL__N_16kernel17gru_cell_backwardIN3c104HalfEfiLi2EEEvNS_4cuda6detail10TensorInfoIT_T1_EESB_SB_SB_SB_SA_SA_
                                        ; -- End function
	.set _ZN2at6native12_GLOBAL__N_16kernel17gru_cell_backwardIN3c104HalfEfiLi2EEEvNS_4cuda6detail10TensorInfoIT_T1_EESB_SB_SB_SB_SA_SA_.num_vgpr, 39
	.set _ZN2at6native12_GLOBAL__N_16kernel17gru_cell_backwardIN3c104HalfEfiLi2EEEvNS_4cuda6detail10TensorInfoIT_T1_EESB_SB_SB_SB_SA_SA_.num_agpr, 0
	.set _ZN2at6native12_GLOBAL__N_16kernel17gru_cell_backwardIN3c104HalfEfiLi2EEEvNS_4cuda6detail10TensorInfoIT_T1_EESB_SB_SB_SB_SA_SA_.numbered_sgpr, 60
	.set _ZN2at6native12_GLOBAL__N_16kernel17gru_cell_backwardIN3c104HalfEfiLi2EEEvNS_4cuda6detail10TensorInfoIT_T1_EESB_SB_SB_SB_SA_SA_.num_named_barrier, 0
	.set _ZN2at6native12_GLOBAL__N_16kernel17gru_cell_backwardIN3c104HalfEfiLi2EEEvNS_4cuda6detail10TensorInfoIT_T1_EESB_SB_SB_SB_SA_SA_.private_seg_size, 0
	.set _ZN2at6native12_GLOBAL__N_16kernel17gru_cell_backwardIN3c104HalfEfiLi2EEEvNS_4cuda6detail10TensorInfoIT_T1_EESB_SB_SB_SB_SA_SA_.uses_vcc, 1
	.set _ZN2at6native12_GLOBAL__N_16kernel17gru_cell_backwardIN3c104HalfEfiLi2EEEvNS_4cuda6detail10TensorInfoIT_T1_EESB_SB_SB_SB_SA_SA_.uses_flat_scratch, 0
	.set _ZN2at6native12_GLOBAL__N_16kernel17gru_cell_backwardIN3c104HalfEfiLi2EEEvNS_4cuda6detail10TensorInfoIT_T1_EESB_SB_SB_SB_SA_SA_.has_dyn_sized_stack, 0
	.set _ZN2at6native12_GLOBAL__N_16kernel17gru_cell_backwardIN3c104HalfEfiLi2EEEvNS_4cuda6detail10TensorInfoIT_T1_EESB_SB_SB_SB_SA_SA_.has_recursion, 0
	.set _ZN2at6native12_GLOBAL__N_16kernel17gru_cell_backwardIN3c104HalfEfiLi2EEEvNS_4cuda6detail10TensorInfoIT_T1_EESB_SB_SB_SB_SA_SA_.has_indirect_call, 0
	.section	.AMDGPU.csdata,"",@progbits
; Kernel info:
; codeLenInByte = 3060
; TotalNumSgprs: 62
; NumVgprs: 39
; ScratchSize: 0
; MemoryBound: 0
; FloatMode: 240
; IeeeMode: 1
; LDSByteSize: 0 bytes/workgroup (compile time only)
; SGPRBlocks: 0
; VGPRBlocks: 2
; NumSGPRsForWavesPerEU: 62
; NumVGPRsForWavesPerEU: 39
; NamedBarCnt: 0
; Occupancy: 16
; WaveLimiterHint : 1
; COMPUTE_PGM_RSRC2:SCRATCH_EN: 0
; COMPUTE_PGM_RSRC2:USER_SGPR: 2
; COMPUTE_PGM_RSRC2:TRAP_HANDLER: 0
; COMPUTE_PGM_RSRC2:TGID_X_EN: 1
; COMPUTE_PGM_RSRC2:TGID_Y_EN: 0
; COMPUTE_PGM_RSRC2:TGID_Z_EN: 0
; COMPUTE_PGM_RSRC2:TIDIG_COMP_CNT: 0
	.section	.text._ZN2at6native12_GLOBAL__N_16kernel17gru_cell_backwardIN3c104HalfEflLi1EEEvNS_4cuda6detail10TensorInfoIT_T1_EESB_SB_SB_SB_SA_SA_,"axG",@progbits,_ZN2at6native12_GLOBAL__N_16kernel17gru_cell_backwardIN3c104HalfEflLi1EEEvNS_4cuda6detail10TensorInfoIT_T1_EESB_SB_SB_SB_SA_SA_,comdat
	.globl	_ZN2at6native12_GLOBAL__N_16kernel17gru_cell_backwardIN3c104HalfEflLi1EEEvNS_4cuda6detail10TensorInfoIT_T1_EESB_SB_SB_SB_SA_SA_ ; -- Begin function _ZN2at6native12_GLOBAL__N_16kernel17gru_cell_backwardIN3c104HalfEflLi1EEEvNS_4cuda6detail10TensorInfoIT_T1_EESB_SB_SB_SB_SA_SA_
	.p2align	8
	.type	_ZN2at6native12_GLOBAL__N_16kernel17gru_cell_backwardIN3c104HalfEflLi1EEEvNS_4cuda6detail10TensorInfoIT_T1_EESB_SB_SB_SB_SA_SA_,@function
_ZN2at6native12_GLOBAL__N_16kernel17gru_cell_backwardIN3c104HalfEflLi1EEEvNS_4cuda6detail10TensorInfoIT_T1_EESB_SB_SB_SB_SA_SA_: ; @_ZN2at6native12_GLOBAL__N_16kernel17gru_cell_backwardIN3c104HalfEflLi1EEEvNS_4cuda6detail10TensorInfoIT_T1_EESB_SB_SB_SB_SA_SA_
; %bb.0:
	s_clause 0x1
	s_load_b32 s2, s[0:1], 0x83c
	s_load_b128 s[4:7], s[0:1], 0x820
	s_bfe_u32 s3, ttmp6, 0x4000c
	s_and_b32 s8, ttmp6, 15
	s_add_co_i32 s3, s3, 1
	s_getreg_b32 s9, hwreg(HW_REG_IB_STS2, 6, 4)
	s_mul_i32 s3, ttmp9, s3
	v_mov_b32_e32 v2, 0
	s_add_co_i32 s8, s8, s3
	s_delay_alu instid0(VALU_DEP_1)
	v_mov_b32_e32 v1, v2
	s_wait_kmcnt 0x0
	s_and_b32 s2, s2, 0xffff
	s_cmp_eq_u32 s9, 0
	s_cselect_b32 s3, ttmp9, s8
	s_mov_b32 s8, exec_lo
	v_mad_u32 v0, s3, s2, v0
	s_mov_b32 s3, 0
	s_delay_alu instid0(VALU_DEP_1)
	v_cmpx_gt_i64_e64 s[6:7], v[0:1]
	s_cbranch_execz .LBB58_7
; %bb.1:
	s_clause 0x1
	s_load_b64 s[28:29], s[0:1], 0x410
	s_load_b64 s[30:31], s[0:1], 0x5b0
	v_cvt_f32_u32_e32 v3, s4
	s_add_nc_u64 s[8:9], s[0:1], 0x830
	s_clause 0x1
	s_load_b64 s[34:35], s[0:1], 0x4e0
	s_load_b64 s[36:37], s[0:1], 0x340
	s_load_b32 s20, s[8:9], 0x0
	v_rcp_iflag_f32_e32 v3, v3
	s_wait_xcnt 0x0
	s_sub_co_i32 s8, 0, s4
	s_mov_b32 s21, s3
	s_lshl_b64 s[22:23], s[4:5], 2
	s_lshl_b64 s[24:25], s[4:5], 1
	s_mov_b64 s[26:27], 0xffffffff
	s_mov_b32 s33, 0
	v_nop
	v_mul_f32_e32 v3, 0x4f7ffffe, v3
	s_delay_alu instid0(VALU_DEP_1) | instskip(SKIP_3) | instid1(VALU_DEP_3)
	v_cvt_u32_f32_e32 v3, v3
	s_wait_kmcnt 0x0
	v_mul_u64_e32 v[4:5], s[28:29], v[0:1]
	v_mul_u64_e32 v[6:7], s[30:31], v[0:1]
	v_mul_lo_u32 v8, s8, v3
	s_clause 0x5
	s_load_b64 s[8:9], s[0:1], 0x0
	s_load_b64 s[10:11], s[0:1], 0xd0
	;; [unrolled: 1-line block ×6, first 2 shown]
	s_mul_i32 s20, s20, s2
	s_wait_xcnt 0x0
	s_mul_u64 s[0:1], s[20:21], s[28:29]
	s_mul_u64 s[30:31], s[20:21], s[30:31]
	s_lshl_b64 s[28:29], s[0:1], 1
	s_lshl_b64 s[30:31], s[30:31], 1
	s_mov_b32 s1, 1.0
	v_mul_hi_u32 v8, v3, v8
	s_delay_alu instid0(VALU_DEP_1)
	v_add_nc_u32_e32 v10, v3, v8
	v_lshl_add_u64 v[4:5], v[4:5], 1, s[36:37]
	v_lshl_add_u64 v[6:7], v[6:7], 1, s[34:35]
	s_ashr_i32 s34, s5, 31
	s_branch .LBB58_3
.LBB58_2:                               ;   in Loop: Header=BB58_3 Depth=1
	s_or_b32 exec_lo, exec_lo, s0
	s_delay_alu instid0(VALU_DEP_1) | instskip(SKIP_1) | instid1(VALU_DEP_2)
	v_lshlrev_b64_e32 v[12:13], 2, v[8:9]
	v_mad_nc_u64_u32 v[16:17], s22, v8, v[0:1]
	v_add_nc_u64_e32 v[14:15], 4, v[12:13]
	v_or_b32_e32 v3, 1, v12
	v_or_b32_e32 v22, 2, v12
	v_mul_lo_u32 v11, s4, v13
	v_mad_u32 v17, s23, v8, v17
	s_delay_alu instid0(VALU_DEP_4)
	v_mul_lo_u32 v24, s5, v3
	v_mad_nc_u64_u32 v[18:19], s4, v14, v[0:1]
	v_mad_nc_u64_u32 v[20:21], s4, v3, v[0:1]
	v_or_b32_e32 v3, 3, v12
	v_mul_lo_u32 v25, s5, v22
	v_mad_nc_u64_u32 v[22:23], s4, v22, v[0:1]
	s_delay_alu instid0(VALU_DEP_3)
	v_mul_lo_u32 v26, s5, v3
	v_mad_nc_u64_u32 v[12:13], s4, v3, v[0:1]
	v_mad_u32 v17, s22, v9, v17
	v_mad_u32 v14, s5, v14, v19
	v_add3_u32 v21, v24, v21, v11
	v_add3_u32 v23, v25, v23, v11
	s_wait_kmcnt 0x0
	s_delay_alu instid0(VALU_DEP_2) | instskip(SKIP_4) | instid1(VALU_DEP_4)
	v_mul_u64_e32 v[20:21], s[18:19], v[20:21]
	v_add3_u32 v13, v26, v13, v11
	v_mul_u64_e32 v[16:17], s[18:19], v[16:17]
	v_mad_u32 v19, s4, v15, v14
	v_mul_u64_e32 v[14:15], s[18:19], v[22:23]
	v_mul_u64_e32 v[12:13], s[18:19], v[12:13]
	s_delay_alu instid0(VALU_DEP_3)
	v_mul_u64_e32 v[18:19], s[18:19], v[18:19]
	v_lshl_add_u64 v[20:21], v[20:21], 1, s[16:17]
	global_load_u16 v3, v[20:21], off
	global_load_u16 v11, v[4:5], off
	v_lshl_add_u64 v[14:15], v[14:15], 1, s[16:17]
	v_lshl_add_u64 v[12:13], v[12:13], 1, s[16:17]
	;; [unrolled: 1-line block ×3, first 2 shown]
	s_wait_xcnt 0x0
	v_add_nc_u64_e32 v[4:5], s[28:29], v[4:5]
	v_lshl_add_u64 v[18:19], v[18:19], 1, s[16:17]
	s_clause 0x3
	global_load_u16 v22, v[12:13], off
	global_load_u16 v23, v[14:15], off
	;; [unrolled: 1-line block ×4, first 2 shown]
	s_wait_xcnt 0x3
	v_lshlrev_b64_e32 v[12:13], 1, v[8:9]
	s_wait_xcnt 0x1
	v_mad_nc_u64_u32 v[16:17], s24, v8, v[0:1]
	s_delay_alu instid0(VALU_DEP_2) | instskip(NEXT) | instid1(VALU_DEP_2)
	v_add_nc_u64_e32 v[14:15], 2, v[12:13]
	v_mad_u32 v8, s25, v8, v17
	s_delay_alu instid0(VALU_DEP_2) | instskip(NEXT) | instid1(VALU_DEP_2)
	v_mad_nc_u64_u32 v[20:21], s4, v14, v[0:1]
	v_mad_u32 v17, s24, v9, v8
	s_delay_alu instid0(VALU_DEP_2) | instskip(NEXT) | instid1(VALU_DEP_2)
	v_mad_u32 v14, s5, v14, v21
	v_mul_u64_e32 v[8:9], s[10:11], v[16:17]
	s_delay_alu instid0(VALU_DEP_2) | instskip(NEXT) | instid1(VALU_DEP_2)
	v_mad_u32 v21, s4, v15, v14
	v_lshl_add_u64 v[8:9], v[8:9], 1, s[8:9]
	s_wait_loadcnt 0x4
	v_cvt_f32_f16_e32 v27, v11
	s_wait_loadcnt 0x3
	v_cvt_f32_f16_e32 v22, v22
	s_wait_loadcnt 0x2
	v_fma_mix_f32 v28, -v23, v23, s1 op_sel_hi:[1,1,0]
	v_cvt_f32_f16_e32 v23, v23
	v_or_b32_e32 v26, 1, v12
	s_wait_loadcnt 0x1
	v_cvt_f32_f16_e32 v30, v24
	s_wait_loadcnt 0x0
	v_cvt_f32_f16_e32 v25, v25
	v_sub_f32_e32 v22, v22, v23
	s_wait_xcnt 0x0
	v_mad_nc_u64_u32 v[18:19], s4, v26, v[0:1]
	v_add_nc_u64_e32 v[0:1], s[20:21], v[0:1]
	s_delay_alu instid0(VALU_DEP_1) | instskip(NEXT) | instid1(VALU_DEP_3)
	v_cmp_le_i64_e32 vcc_lo, s[6:7], v[0:1]
	v_mad_u32 v12, s5, v26, v19
	v_cvt_f32_f16_e32 v26, v3
	s_or_b32 s33, vcc_lo, s33
	s_delay_alu instid0(VALU_DEP_1) | instskip(NEXT) | instid1(VALU_DEP_1)
	v_sub_f32_e32 v26, 1.0, v26
	v_mul_f32_e32 v29, v26, v27
	s_delay_alu instid0(VALU_DEP_4) | instskip(SKIP_1) | instid1(VALU_DEP_3)
	v_mad_u32 v19, s4, v13, v12
	v_mul_u64_e32 v[12:13], s[14:15], v[16:17]
	v_dual_mul_f32 v31, v28, v29 :: v_dual_sub_f32 v23, 1.0, v30
	s_delay_alu instid0(VALU_DEP_1) | instskip(NEXT) | instid1(VALU_DEP_4)
	v_dual_mul_f32 v25, v31, v25 :: v_dual_mul_f32 v22, v22, v27
	v_mul_u64_e32 v[14:15], s[10:11], v[18:19]
	v_mul_u64_e32 v[16:17], s[14:15], v[18:19]
	;; [unrolled: 1-line block ×4, first 2 shown]
	v_dual_mul_f32 v23, v23, v25 :: v_dual_mul_f32 v22, v26, v22
	v_fma_mixlo_f16 v25, v28, v29, 0
	s_delay_alu instid0(VALU_DEP_2) | instskip(NEXT) | instid1(VALU_DEP_3)
	v_fma_mixlo_f16 v23, v23, v24, 0 op_sel_hi:[0,1,0]
	v_fma_mixlo_f16 v22, v22, v3, 0 op_sel_hi:[0,1,0]
	v_mul_f16_e32 v3, v3, v11
	v_fma_mixlo_f16 v11, v31, v24, 0 op_sel_hi:[0,1,0]
	v_lshl_add_u64 v[12:13], v[12:13], 1, s[12:13]
	v_lshl_add_u64 v[14:15], v[14:15], 1, s[8:9]
	v_lshl_add_u64 v[16:17], v[16:17], 1, s[12:13]
	v_lshl_add_u64 v[18:19], v[18:19], 1, s[8:9]
	v_lshl_add_u64 v[20:21], v[20:21], 1, s[12:13]
	s_clause 0x2
	global_store_b16 v[8:9], v23, off
	global_store_b16 v[14:15], v22, off
	;; [unrolled: 1-line block ×3, first 2 shown]
	s_clause 0x2
	global_store_b16 v[12:13], v23, off
	global_store_b16 v[16:17], v22, off
	;; [unrolled: 1-line block ×4, first 2 shown]
	s_wait_xcnt 0x0
	v_add_nc_u64_e32 v[6:7], s[30:31], v[6:7]
	s_and_not1_b32 exec_lo, exec_lo, s33
	s_cbranch_execz .LBB58_7
.LBB58_3:                               ; =>This Inner Loop Header: Depth=1
	v_or_b32_e32 v3, s5, v1
                                        ; implicit-def: $vgpr8_vgpr9
	s_mov_b32 s0, exec_lo
	s_delay_alu instid0(VALU_DEP_1)
	v_cmpx_ne_u64_e32 0, v[2:3]
	s_xor_b32 s38, exec_lo, s0
	s_cbranch_execz .LBB58_5
; %bb.4:                                ;   in Loop: Header=BB58_3 Depth=1
	s_mov_b32 s35, s34
	v_dual_mov_b32 v15, v2 :: v_dual_ashrrev_i32 v8, 31, v1
	s_add_nc_u64 s[36:37], s[4:5], s[34:35]
	v_mov_b32_e32 v19, v2
	s_xor_b64 s[36:37], s[36:37], s[34:35]
	s_delay_alu instid0(VALU_DEP_2)
	v_mov_b32_e32 v9, v8
	s_cvt_f32_u32 s0, s36
	s_cvt_f32_u32 s2, s37
	s_sub_nc_u64 s[42:43], 0, s[36:37]
	v_mov_b32_e32 v23, v2
	v_add_nc_u64_e32 v[12:13], v[0:1], v[8:9]
	s_fmamk_f32 s0, s2, 0x4f800000, s0
	s_delay_alu instid0(SALU_CYCLE_3) | instskip(NEXT) | instid1(VALU_DEP_1)
	v_s_rcp_f32 s0, s0
	v_xor_b32_e32 v14, v12, v8
	s_delay_alu instid0(VALU_DEP_2) | instskip(NEXT) | instid1(TRANS32_DEP_1)
	v_xor_b32_e32 v18, v13, v8
	s_mul_f32 s0, s0, 0x5f7ffffc
	s_delay_alu instid0(SALU_CYCLE_3) | instskip(NEXT) | instid1(SALU_CYCLE_3)
	s_mul_f32 s2, s0, 0x2f800000
	s_trunc_f32 s2, s2
	s_delay_alu instid0(SALU_CYCLE_3) | instskip(SKIP_1) | instid1(SALU_CYCLE_2)
	s_fmamk_f32 s0, s2, 0xcf800000, s0
	s_cvt_u32_f32 s41, s2
	s_cvt_u32_f32 s40, s0
	s_delay_alu instid0(SALU_CYCLE_3) | instskip(NEXT) | instid1(SALU_CYCLE_1)
	s_mul_u64 s[44:45], s[42:43], s[40:41]
	s_mul_hi_u32 s47, s40, s45
	s_mul_i32 s46, s40, s45
	s_mul_hi_u32 s2, s40, s44
	s_mul_i32 s35, s41, s44
	s_add_nc_u64 s[46:47], s[2:3], s[46:47]
	s_mul_hi_u32 s0, s41, s44
	s_mul_hi_u32 s39, s41, s45
	s_add_co_u32 s2, s46, s35
	s_add_co_ci_u32 s2, s47, s0
	s_mul_i32 s44, s41, s45
	s_add_co_ci_u32 s45, s39, 0
	s_delay_alu instid0(SALU_CYCLE_1) | instskip(NEXT) | instid1(SALU_CYCLE_1)
	s_add_nc_u64 s[44:45], s[2:3], s[44:45]
	s_add_co_u32 s40, s40, s44
	s_cselect_b32 s0, -1, 0
	s_delay_alu instid0(SALU_CYCLE_1) | instskip(SKIP_1) | instid1(SALU_CYCLE_1)
	s_cmp_lg_u32 s0, 0
	s_add_co_ci_u32 s41, s41, s45
	s_mul_u64 s[42:43], s[42:43], s[40:41]
	s_delay_alu instid0(SALU_CYCLE_1)
	s_mul_hi_u32 s45, s40, s43
	s_mul_i32 s44, s40, s43
	s_mul_hi_u32 s2, s40, s42
	s_mul_i32 s35, s41, s42
	s_add_nc_u64 s[44:45], s[2:3], s[44:45]
	s_mul_hi_u32 s0, s41, s42
	s_mul_hi_u32 s39, s41, s43
	s_add_co_u32 s2, s44, s35
	s_add_co_ci_u32 s2, s45, s0
	s_mul_i32 s42, s41, s43
	s_add_co_ci_u32 s43, s39, 0
	s_delay_alu instid0(SALU_CYCLE_1) | instskip(NEXT) | instid1(SALU_CYCLE_1)
	s_add_nc_u64 s[42:43], s[2:3], s[42:43]
	s_add_co_u32 s0, s40, s42
	s_cselect_b32 s2, -1, 0
	v_mul_hi_u32 v22, v14, s0
	s_cmp_lg_u32 s2, 0
	s_add_co_ci_u32 s2, s41, s43
	s_and_b64 s[40:41], s[0:1], s[26:27]
	v_mul_u64_e32 v[16:17], s[2:3], v[14:15]
	v_mul_u64_e32 v[12:13], s[40:41], v[18:19]
	;; [unrolled: 1-line block ×3, first 2 shown]
	s_delay_alu instid0(VALU_DEP_3) | instskip(NEXT) | instid1(VALU_DEP_1)
	v_add_nc_u64_e32 v[16:17], v[22:23], v[16:17]
	v_add_co_u32 v3, vcc_lo, v16, v12
	s_delay_alu instid0(VALU_DEP_2) | instskip(NEXT) | instid1(VALU_DEP_4)
	v_add_co_ci_u32_e32 v22, vcc_lo, v17, v13, vcc_lo
	v_add_co_ci_u32_e32 v21, vcc_lo, 0, v21, vcc_lo
	s_delay_alu instid0(VALU_DEP_1) | instskip(NEXT) | instid1(VALU_DEP_1)
	v_add_nc_u64_e32 v[12:13], v[22:23], v[20:21]
	v_mul_u64_e32 v[16:17], s[36:37], v[12:13]
	s_delay_alu instid0(VALU_DEP_1) | instskip(NEXT) | instid1(VALU_DEP_2)
	v_sub_nc_u32_e32 v3, v18, v17
	v_sub_co_u32 v9, vcc_lo, v14, v16
	s_delay_alu instid0(VALU_DEP_1) | instskip(NEXT) | instid1(VALU_DEP_3)
	v_sub_co_ci_u32_e64 v18, null, v18, v17, vcc_lo
	v_subrev_co_ci_u32_e64 v3, null, s37, v3, vcc_lo
	s_delay_alu instid0(VALU_DEP_3) | instskip(SKIP_1) | instid1(VALU_DEP_3)
	v_sub_co_u32 v11, s0, v9, s36
	v_add_nc_u64_e32 v[16:17], 1, v[12:13]
	v_subrev_co_ci_u32_e64 v3, null, 0, v3, s0
	s_delay_alu instid0(VALU_DEP_3) | instskip(SKIP_1) | instid1(VALU_DEP_3)
	v_cmp_le_u32_e32 vcc_lo, s36, v11
	v_cndmask_b32_e64 v11, 0, -1, vcc_lo
	v_cmp_le_u32_e32 vcc_lo, s37, v3
	v_cndmask_b32_e64 v14, 0, -1, vcc_lo
	;; [unrolled: 2-line block ×4, first 2 shown]
	v_cmp_eq_u32_e32 vcc_lo, s37, v3
	v_cndmask_b32_e32 v3, v14, v11, vcc_lo
	v_cmp_eq_u32_e32 vcc_lo, s37, v18
	v_add_nc_u64_e32 v[14:15], 2, v[12:13]
	v_cndmask_b32_e32 v9, v19, v9, vcc_lo
	s_delay_alu instid0(VALU_DEP_4) | instskip(NEXT) | instid1(VALU_DEP_3)
	v_cmp_ne_u32_e32 vcc_lo, 0, v3
	v_cndmask_b32_e32 v3, v17, v15, vcc_lo
	s_delay_alu instid0(VALU_DEP_3) | instskip(SKIP_1) | instid1(VALU_DEP_1)
	v_cmp_ne_u32_e64 s0, 0, v9
	v_dual_cndmask_b32 v9, v16, v14, vcc_lo :: v_dual_bitop2_b32 v8, s34, v8 bitop3:0x14
	v_dual_cndmask_b32 v3, v13, v3, s0 :: v_dual_cndmask_b32 v11, v12, v9, s0
	s_delay_alu instid0(VALU_DEP_1) | instskip(NEXT) | instid1(VALU_DEP_2)
	v_dual_mov_b32 v9, v8 :: v_dual_bitop2_b32 v13, v3, v8 bitop3:0x14
	v_xor_b32_e32 v12, v11, v8
	s_delay_alu instid0(VALU_DEP_1)
	v_sub_nc_u64_e32 v[8:9], v[12:13], v[8:9]
.LBB58_5:                               ;   in Loop: Header=BB58_3 Depth=1
	s_and_not1_saveexec_b32 s0, s38
	s_cbranch_execz .LBB58_2
; %bb.6:                                ;   in Loop: Header=BB58_3 Depth=1
	v_mul_hi_u32 v3, v0, v10
	s_delay_alu instid0(VALU_DEP_1) | instskip(NEXT) | instid1(VALU_DEP_1)
	v_mul_lo_u32 v8, v3, s4
	v_dual_add_nc_u32 v9, 1, v3 :: v_dual_sub_nc_u32 v8, v0, v8
	s_delay_alu instid0(VALU_DEP_1) | instskip(SKIP_1) | instid1(VALU_DEP_2)
	v_subrev_nc_u32_e32 v11, s4, v8
	v_cmp_le_u32_e32 vcc_lo, s4, v8
	v_dual_cndmask_b32 v8, v8, v11 :: v_dual_cndmask_b32 v3, v3, v9
	s_delay_alu instid0(VALU_DEP_1) | instskip(NEXT) | instid1(VALU_DEP_2)
	v_cmp_le_u32_e32 vcc_lo, s4, v8
	v_add_nc_u32_e32 v9, 1, v3
	s_delay_alu instid0(VALU_DEP_1)
	v_dual_cndmask_b32 v8, v3, v9 :: v_dual_mov_b32 v9, v2
	s_branch .LBB58_2
.LBB58_7:
	s_endpgm
	.section	.rodata,"a",@progbits
	.p2align	6, 0x0
	.amdhsa_kernel _ZN2at6native12_GLOBAL__N_16kernel17gru_cell_backwardIN3c104HalfEflLi1EEEvNS_4cuda6detail10TensorInfoIT_T1_EESB_SB_SB_SB_SA_SA_
		.amdhsa_group_segment_fixed_size 0
		.amdhsa_private_segment_fixed_size 0
		.amdhsa_kernarg_size 2352
		.amdhsa_user_sgpr_count 2
		.amdhsa_user_sgpr_dispatch_ptr 0
		.amdhsa_user_sgpr_queue_ptr 0
		.amdhsa_user_sgpr_kernarg_segment_ptr 1
		.amdhsa_user_sgpr_dispatch_id 0
		.amdhsa_user_sgpr_kernarg_preload_length 0
		.amdhsa_user_sgpr_kernarg_preload_offset 0
		.amdhsa_user_sgpr_private_segment_size 0
		.amdhsa_wavefront_size32 1
		.amdhsa_uses_dynamic_stack 0
		.amdhsa_enable_private_segment 0
		.amdhsa_system_sgpr_workgroup_id_x 1
		.amdhsa_system_sgpr_workgroup_id_y 0
		.amdhsa_system_sgpr_workgroup_id_z 0
		.amdhsa_system_sgpr_workgroup_info 0
		.amdhsa_system_vgpr_workitem_id 0
		.amdhsa_next_free_vgpr 32
		.amdhsa_next_free_sgpr 48
		.amdhsa_named_barrier_count 0
		.amdhsa_reserve_vcc 1
		.amdhsa_float_round_mode_32 0
		.amdhsa_float_round_mode_16_64 0
		.amdhsa_float_denorm_mode_32 3
		.amdhsa_float_denorm_mode_16_64 3
		.amdhsa_fp16_overflow 0
		.amdhsa_memory_ordered 1
		.amdhsa_forward_progress 1
		.amdhsa_inst_pref_size 15
		.amdhsa_round_robin_scheduling 0
		.amdhsa_exception_fp_ieee_invalid_op 0
		.amdhsa_exception_fp_denorm_src 0
		.amdhsa_exception_fp_ieee_div_zero 0
		.amdhsa_exception_fp_ieee_overflow 0
		.amdhsa_exception_fp_ieee_underflow 0
		.amdhsa_exception_fp_ieee_inexact 0
		.amdhsa_exception_int_div_zero 0
	.end_amdhsa_kernel
	.section	.text._ZN2at6native12_GLOBAL__N_16kernel17gru_cell_backwardIN3c104HalfEflLi1EEEvNS_4cuda6detail10TensorInfoIT_T1_EESB_SB_SB_SB_SA_SA_,"axG",@progbits,_ZN2at6native12_GLOBAL__N_16kernel17gru_cell_backwardIN3c104HalfEflLi1EEEvNS_4cuda6detail10TensorInfoIT_T1_EESB_SB_SB_SB_SA_SA_,comdat
.Lfunc_end58:
	.size	_ZN2at6native12_GLOBAL__N_16kernel17gru_cell_backwardIN3c104HalfEflLi1EEEvNS_4cuda6detail10TensorInfoIT_T1_EESB_SB_SB_SB_SA_SA_, .Lfunc_end58-_ZN2at6native12_GLOBAL__N_16kernel17gru_cell_backwardIN3c104HalfEflLi1EEEvNS_4cuda6detail10TensorInfoIT_T1_EESB_SB_SB_SB_SA_SA_
                                        ; -- End function
	.set _ZN2at6native12_GLOBAL__N_16kernel17gru_cell_backwardIN3c104HalfEflLi1EEEvNS_4cuda6detail10TensorInfoIT_T1_EESB_SB_SB_SB_SA_SA_.num_vgpr, 32
	.set _ZN2at6native12_GLOBAL__N_16kernel17gru_cell_backwardIN3c104HalfEflLi1EEEvNS_4cuda6detail10TensorInfoIT_T1_EESB_SB_SB_SB_SA_SA_.num_agpr, 0
	.set _ZN2at6native12_GLOBAL__N_16kernel17gru_cell_backwardIN3c104HalfEflLi1EEEvNS_4cuda6detail10TensorInfoIT_T1_EESB_SB_SB_SB_SA_SA_.numbered_sgpr, 48
	.set _ZN2at6native12_GLOBAL__N_16kernel17gru_cell_backwardIN3c104HalfEflLi1EEEvNS_4cuda6detail10TensorInfoIT_T1_EESB_SB_SB_SB_SA_SA_.num_named_barrier, 0
	.set _ZN2at6native12_GLOBAL__N_16kernel17gru_cell_backwardIN3c104HalfEflLi1EEEvNS_4cuda6detail10TensorInfoIT_T1_EESB_SB_SB_SB_SA_SA_.private_seg_size, 0
	.set _ZN2at6native12_GLOBAL__N_16kernel17gru_cell_backwardIN3c104HalfEflLi1EEEvNS_4cuda6detail10TensorInfoIT_T1_EESB_SB_SB_SB_SA_SA_.uses_vcc, 1
	.set _ZN2at6native12_GLOBAL__N_16kernel17gru_cell_backwardIN3c104HalfEflLi1EEEvNS_4cuda6detail10TensorInfoIT_T1_EESB_SB_SB_SB_SA_SA_.uses_flat_scratch, 0
	.set _ZN2at6native12_GLOBAL__N_16kernel17gru_cell_backwardIN3c104HalfEflLi1EEEvNS_4cuda6detail10TensorInfoIT_T1_EESB_SB_SB_SB_SA_SA_.has_dyn_sized_stack, 0
	.set _ZN2at6native12_GLOBAL__N_16kernel17gru_cell_backwardIN3c104HalfEflLi1EEEvNS_4cuda6detail10TensorInfoIT_T1_EESB_SB_SB_SB_SA_SA_.has_recursion, 0
	.set _ZN2at6native12_GLOBAL__N_16kernel17gru_cell_backwardIN3c104HalfEflLi1EEEvNS_4cuda6detail10TensorInfoIT_T1_EESB_SB_SB_SB_SA_SA_.has_indirect_call, 0
	.section	.AMDGPU.csdata,"",@progbits
; Kernel info:
; codeLenInByte = 1812
; TotalNumSgprs: 50
; NumVgprs: 32
; ScratchSize: 0
; MemoryBound: 0
; FloatMode: 240
; IeeeMode: 1
; LDSByteSize: 0 bytes/workgroup (compile time only)
; SGPRBlocks: 0
; VGPRBlocks: 1
; NumSGPRsForWavesPerEU: 50
; NumVGPRsForWavesPerEU: 32
; NamedBarCnt: 0
; Occupancy: 16
; WaveLimiterHint : 1
; COMPUTE_PGM_RSRC2:SCRATCH_EN: 0
; COMPUTE_PGM_RSRC2:USER_SGPR: 2
; COMPUTE_PGM_RSRC2:TRAP_HANDLER: 0
; COMPUTE_PGM_RSRC2:TGID_X_EN: 1
; COMPUTE_PGM_RSRC2:TGID_Y_EN: 0
; COMPUTE_PGM_RSRC2:TGID_Z_EN: 0
; COMPUTE_PGM_RSRC2:TIDIG_COMP_CNT: 0
	.section	.text._ZN2at6native12_GLOBAL__N_16kernel17gru_cell_backwardIN3c104HalfEflLi2EEEvNS_4cuda6detail10TensorInfoIT_T1_EESB_SB_SB_SB_SA_SA_,"axG",@progbits,_ZN2at6native12_GLOBAL__N_16kernel17gru_cell_backwardIN3c104HalfEflLi2EEEvNS_4cuda6detail10TensorInfoIT_T1_EESB_SB_SB_SB_SA_SA_,comdat
	.globl	_ZN2at6native12_GLOBAL__N_16kernel17gru_cell_backwardIN3c104HalfEflLi2EEEvNS_4cuda6detail10TensorInfoIT_T1_EESB_SB_SB_SB_SA_SA_ ; -- Begin function _ZN2at6native12_GLOBAL__N_16kernel17gru_cell_backwardIN3c104HalfEflLi2EEEvNS_4cuda6detail10TensorInfoIT_T1_EESB_SB_SB_SB_SA_SA_
	.p2align	8
	.type	_ZN2at6native12_GLOBAL__N_16kernel17gru_cell_backwardIN3c104HalfEflLi2EEEvNS_4cuda6detail10TensorInfoIT_T1_EESB_SB_SB_SB_SA_SA_,@function
_ZN2at6native12_GLOBAL__N_16kernel17gru_cell_backwardIN3c104HalfEflLi2EEEvNS_4cuda6detail10TensorInfoIT_T1_EESB_SB_SB_SB_SA_SA_: ; @_ZN2at6native12_GLOBAL__N_16kernel17gru_cell_backwardIN3c104HalfEflLi2EEEvNS_4cuda6detail10TensorInfoIT_T1_EESB_SB_SB_SB_SA_SA_
; %bb.0:
	s_clause 0x1
	s_load_b32 s2, s[0:1], 0x83c
	s_load_b128 s[4:7], s[0:1], 0x820
	s_bfe_u32 s3, ttmp6, 0x4000c
	s_and_b32 s8, ttmp6, 15
	s_add_co_i32 s3, s3, 1
	s_getreg_b32 s9, hwreg(HW_REG_IB_STS2, 6, 4)
	s_mul_i32 s3, ttmp9, s3
	v_mov_b32_e32 v2, 0
	s_add_co_i32 s8, s8, s3
	s_delay_alu instid0(VALU_DEP_1)
	v_mov_b32_e32 v1, v2
	s_wait_kmcnt 0x0
	s_and_b32 s2, s2, 0xffff
	s_cmp_eq_u32 s9, 0
	s_cselect_b32 s3, ttmp9, s8
	s_mov_b32 s8, exec_lo
	v_mad_u32 v0, s3, s2, v0
	s_mov_b32 s3, 0
	s_delay_alu instid0(VALU_DEP_1)
	v_cmpx_gt_i64_e64 s[6:7], v[0:1]
	s_cbranch_execz .LBB59_59
; %bb.1:
	s_add_nc_u64 s[24:25], s[0:1], 0x830
	v_cvt_f32_u32_e32 v3, s4
	s_clause 0x3
	s_load_b64 s[28:29], s[0:1], 0x0
	s_load_b64 s[30:31], s[0:1], 0x10
	s_load_b128 s[8:11], s[0:1], 0xd0
	s_load_b64 s[34:35], s[0:1], 0x1a0
	s_load_b32 s33, s[24:25], 0x0
	s_clause 0x9
	s_load_b64 s[36:37], s[0:1], 0x340
	s_load_b64 s[38:39], s[0:1], 0x350
	;; [unrolled: 1-line block ×3, first 2 shown]
	s_load_b128 s[12:15], s[0:1], 0x270
	s_load_b64 s[42:43], s[0:1], 0x4f0
	s_load_b128 s[16:19], s[0:1], 0x410
	s_load_b64 s[44:45], s[0:1], 0x4e0
	;; [unrolled: 2-line block ×3, first 2 shown]
	s_load_b64 s[48:49], s[0:1], 0x690
	s_wait_xcnt 0x0
	s_load_b128 s[24:27], s[0:1], 0x750
	s_mov_b32 s51, s3
	s_lshl_b64 s[52:53], s[4:5], 2
	v_rcp_iflag_f32_e32 v3, v3
	s_lshl_b64 s[54:55], s[4:5], 1
	s_mov_b64 s[58:59], 0xffffffff
	s_wait_xcnt 0x0
	s_mov_b32 s1, 1.0
	s_ashr_i32 s62, s5, 31
	v_nop
	v_mul_f32_e32 v3, 0x4f7ffffe, v3
	s_wait_kmcnt 0x0
	s_mul_i32 s50, s33, s2
	s_mov_b32 s33, 0
	s_sub_nc_u64 s[56:57], 0, s[38:39]
	v_cvt_u32_f32_e32 v26, v3
	s_sub_nc_u64 s[60:61], 0, s[42:43]
	s_branch .LBB59_3
.LBB59_2:                               ;   in Loop: Header=BB59_3 Depth=1
	s_or_b32 exec_lo, exec_lo, s0
	s_delay_alu instid0(VALU_DEP_1) | instskip(SKIP_1) | instid1(VALU_DEP_1)
	v_mad_nc_u64_u32 v[4:5], s60, v6, v[0:1]
	v_add_nc_u64_e32 v[0:1], s[50:51], v[0:1]
	v_cmp_le_i64_e32 vcc_lo, s[6:7], v[0:1]
	s_delay_alu instid0(VALU_DEP_3) | instskip(SKIP_1) | instid1(VALU_DEP_1)
	v_mad_u32 v3, s61, v6, v5
	s_or_b32 s33, vcc_lo, s33
	v_mad_u32 v5, s60, v7, v3
	v_mul_u64_e32 v[6:7], s[20:21], v[6:7]
	v_mul_f16_e32 v3, v27, v28
	s_delay_alu instid0(VALU_DEP_3) | instskip(NEXT) | instid1(VALU_DEP_3)
	v_mul_u64_e32 v[4:5], s[22:23], v[4:5]
	v_lshl_add_u64 v[6:7], v[6:7], 1, s[44:45]
	s_delay_alu instid0(VALU_DEP_1)
	v_lshl_add_u64 v[4:5], v[4:5], 1, v[6:7]
	global_store_b16 v[4:5], v3, off
	s_wait_xcnt 0x0
	s_and_not1_b32 exec_lo, exec_lo, s33
	s_cbranch_execz .LBB59_59
.LBB59_3:                               ; =>This Inner Loop Header: Depth=1
	v_dual_ashrrev_i32 v4, 31, v1 :: v_dual_bitop2_b32 v3, s5, v1 bitop3:0x54
                                        ; implicit-def: $vgpr6_vgpr7
	s_mov_b32 s0, exec_lo
	s_delay_alu instid0(VALU_DEP_1)
	v_cmpx_ne_u64_e32 0, v[2:3]
	s_xor_b32 s66, exec_lo, s0
	s_cbranch_execz .LBB59_5
; %bb.4:                                ;   in Loop: Header=BB59_3 Depth=1
	s_mov_b32 s63, s62
	v_dual_mov_b32 v5, v4 :: v_dual_mov_b32 v9, v2
	s_add_nc_u64 s[64:65], s[4:5], s[62:63]
	v_mov_b32_e32 v17, v2
	s_xor_b64 s[64:65], s[64:65], s[62:63]
	s_delay_alu instid0(VALU_DEP_2) | instskip(SKIP_4) | instid1(SALU_CYCLE_1)
	v_add_nc_u64_e32 v[6:7], v[0:1], v[4:5]
	s_cvt_f32_u32 s0, s64
	s_cvt_f32_u32 s2, s65
	s_sub_nc_u64 s[70:71], 0, s[64:65]
	v_mov_b32_e32 v13, v2
	s_fmamk_f32 s0, s2, 0x4f800000, s0
	s_delay_alu instid0(VALU_DEP_2) | instskip(SKIP_1) | instid1(SALU_CYCLE_1)
	v_xor_b32_e32 v12, v7, v4
	v_xor_b32_e32 v8, v6, v4
	v_s_rcp_f32 s0, s0
	s_delay_alu instid0(TRANS32_DEP_1) | instskip(NEXT) | instid1(SALU_CYCLE_3)
	s_mul_f32 s0, s0, 0x5f7ffffc
	s_mul_f32 s2, s0, 0x2f800000
	s_delay_alu instid0(SALU_CYCLE_3) | instskip(NEXT) | instid1(SALU_CYCLE_3)
	s_trunc_f32 s2, s2
	s_fmamk_f32 s0, s2, 0xcf800000, s0
	s_cvt_u32_f32 s69, s2
	s_delay_alu instid0(SALU_CYCLE_2) | instskip(NEXT) | instid1(SALU_CYCLE_3)
	s_cvt_u32_f32 s68, s0
	s_mul_u64 s[72:73], s[70:71], s[68:69]
	s_delay_alu instid0(SALU_CYCLE_1)
	s_mul_hi_u32 s75, s68, s73
	s_mul_i32 s74, s68, s73
	s_mul_hi_u32 s2, s68, s72
	s_mul_i32 s63, s69, s72
	s_add_nc_u64 s[74:75], s[2:3], s[74:75]
	s_mul_hi_u32 s0, s69, s72
	s_mul_hi_u32 s67, s69, s73
	s_add_co_u32 s2, s74, s63
	s_add_co_ci_u32 s2, s75, s0
	s_mul_i32 s72, s69, s73
	s_add_co_ci_u32 s73, s67, 0
	s_delay_alu instid0(SALU_CYCLE_1) | instskip(NEXT) | instid1(SALU_CYCLE_1)
	s_add_nc_u64 s[72:73], s[2:3], s[72:73]
	s_add_co_u32 s68, s68, s72
	s_cselect_b32 s0, -1, 0
	s_delay_alu instid0(SALU_CYCLE_1) | instskip(SKIP_1) | instid1(SALU_CYCLE_1)
	s_cmp_lg_u32 s0, 0
	s_add_co_ci_u32 s69, s69, s73
	s_mul_u64 s[70:71], s[70:71], s[68:69]
	s_delay_alu instid0(SALU_CYCLE_1)
	s_mul_hi_u32 s73, s68, s71
	s_mul_i32 s72, s68, s71
	s_mul_hi_u32 s2, s68, s70
	s_mul_i32 s63, s69, s70
	s_add_nc_u64 s[72:73], s[2:3], s[72:73]
	s_mul_hi_u32 s0, s69, s70
	s_mul_hi_u32 s67, s69, s71
	s_add_co_u32 s2, s72, s63
	s_add_co_ci_u32 s2, s73, s0
	s_mul_i32 s70, s69, s71
	s_add_co_ci_u32 s71, s67, 0
	s_delay_alu instid0(SALU_CYCLE_1) | instskip(NEXT) | instid1(SALU_CYCLE_1)
	s_add_nc_u64 s[70:71], s[2:3], s[70:71]
	s_add_co_u32 s0, s68, s70
	s_cselect_b32 s2, -1, 0
	v_nop
	v_mul_hi_u32 v16, v8, s0
	s_cmp_lg_u32 s2, 0
	s_add_co_ci_u32 s2, s69, s71
	s_and_b64 s[68:69], s[0:1], s[58:59]
	v_mul_u64_e32 v[10:11], s[2:3], v[8:9]
	v_mul_u64_e32 v[6:7], s[68:69], v[12:13]
	;; [unrolled: 1-line block ×3, first 2 shown]
	s_delay_alu instid0(VALU_DEP_3) | instskip(NEXT) | instid1(VALU_DEP_1)
	v_add_nc_u64_e32 v[10:11], v[16:17], v[10:11]
	v_add_co_u32 v3, vcc_lo, v10, v6
	s_delay_alu instid0(VALU_DEP_2) | instskip(NEXT) | instid1(VALU_DEP_4)
	v_add_co_ci_u32_e32 v16, vcc_lo, v11, v7, vcc_lo
	v_add_co_ci_u32_e32 v15, vcc_lo, 0, v15, vcc_lo
	s_delay_alu instid0(VALU_DEP_1) | instskip(NEXT) | instid1(VALU_DEP_1)
	v_add_nc_u64_e32 v[6:7], v[16:17], v[14:15]
	v_mul_u64_e32 v[10:11], s[64:65], v[6:7]
	s_delay_alu instid0(VALU_DEP_1) | instskip(NEXT) | instid1(VALU_DEP_2)
	v_sub_nc_u32_e32 v3, v12, v11
	v_sub_co_u32 v5, vcc_lo, v8, v10
	s_delay_alu instid0(VALU_DEP_1) | instskip(NEXT) | instid1(VALU_DEP_3)
	v_sub_co_ci_u32_e64 v12, null, v12, v11, vcc_lo
	v_subrev_co_ci_u32_e64 v3, null, s65, v3, vcc_lo
	s_delay_alu instid0(VALU_DEP_3) | instskip(SKIP_1) | instid1(VALU_DEP_3)
	v_sub_co_u32 v8, s0, v5, s64
	v_add_nc_u64_e32 v[10:11], 1, v[6:7]
	v_subrev_co_ci_u32_e64 v3, null, 0, v3, s0
	s_delay_alu instid0(VALU_DEP_3) | instskip(SKIP_1) | instid1(VALU_DEP_3)
	v_cmp_le_u32_e32 vcc_lo, s64, v8
	v_cndmask_b32_e64 v8, 0, -1, vcc_lo
	v_cmp_le_u32_e32 vcc_lo, s65, v3
	v_cndmask_b32_e64 v9, 0, -1, vcc_lo
	;; [unrolled: 2-line block ×4, first 2 shown]
	v_cmp_eq_u32_e32 vcc_lo, s65, v3
	v_cndmask_b32_e32 v3, v9, v8, vcc_lo
	v_cmp_eq_u32_e32 vcc_lo, s65, v12
	v_add_nc_u64_e32 v[8:9], 2, v[6:7]
	v_cndmask_b32_e32 v5, v13, v5, vcc_lo
	s_delay_alu instid0(VALU_DEP_4) | instskip(NEXT) | instid1(VALU_DEP_2)
	v_cmp_ne_u32_e32 vcc_lo, 0, v3
	v_cmp_ne_u32_e64 s0, 0, v5
	s_delay_alu instid0(VALU_DEP_4) | instskip(NEXT) | instid1(VALU_DEP_1)
	v_dual_cndmask_b32 v3, v11, v9, vcc_lo :: v_dual_cndmask_b32 v5, v10, v8, vcc_lo
	v_dual_cndmask_b32 v3, v7, v3, s0 :: v_dual_bitop2_b32 v8, s62, v4 bitop3:0x14
	s_delay_alu instid0(VALU_DEP_1) | instskip(NEXT) | instid1(VALU_DEP_2)
	v_dual_cndmask_b32 v5, v6, v5, s0 :: v_dual_mov_b32 v9, v8
	v_xor_b32_e32 v7, v3, v8
	s_delay_alu instid0(VALU_DEP_2) | instskip(NEXT) | instid1(VALU_DEP_1)
	v_xor_b32_e32 v6, v5, v8
	v_sub_nc_u64_e32 v[6:7], v[6:7], v[8:9]
.LBB59_5:                               ;   in Loop: Header=BB59_3 Depth=1
	s_and_not1_saveexec_b32 s0, s66
	s_cbranch_execz .LBB59_7
; %bb.6:                                ;   in Loop: Header=BB59_3 Depth=1
	s_sub_co_i32 s2, 0, s4
	s_delay_alu instid0(SALU_CYCLE_1) | instskip(NEXT) | instid1(VALU_DEP_1)
	v_mul_lo_u32 v3, s2, v26
	v_mul_hi_u32 v3, v26, v3
	s_delay_alu instid0(VALU_DEP_1) | instskip(NEXT) | instid1(VALU_DEP_1)
	v_add_nc_u32_e32 v3, v26, v3
	v_mul_hi_u32 v3, v0, v3
	s_delay_alu instid0(VALU_DEP_1) | instskip(NEXT) | instid1(VALU_DEP_1)
	v_mul_lo_u32 v5, v3, s4
	v_dual_add_nc_u32 v6, 1, v3 :: v_dual_sub_nc_u32 v5, v0, v5
	s_delay_alu instid0(VALU_DEP_1) | instskip(SKIP_1) | instid1(VALU_DEP_2)
	v_subrev_nc_u32_e32 v7, s4, v5
	v_cmp_le_u32_e32 vcc_lo, s4, v5
	v_dual_cndmask_b32 v5, v5, v7, vcc_lo :: v_dual_mov_b32 v7, v2
	s_delay_alu instid0(VALU_DEP_4) | instskip(NEXT) | instid1(VALU_DEP_2)
	v_cndmask_b32_e32 v3, v3, v6, vcc_lo
	v_cmp_le_u32_e32 vcc_lo, s4, v5
	s_delay_alu instid0(VALU_DEP_2) | instskip(NEXT) | instid1(VALU_DEP_1)
	v_add_nc_u32_e32 v6, 1, v3
	v_cndmask_b32_e32 v6, v3, v6, vcc_lo
.LBB59_7:                               ;   in Loop: Header=BB59_3 Depth=1
	s_or_b32 exec_lo, exec_lo, s0
	s_delay_alu instid0(VALU_DEP_1) | instskip(SKIP_1) | instid1(VALU_DEP_1)
	v_mul_u64_e32 v[8:9], s[52:53], v[6:7]
                                        ; implicit-def: $vgpr12_vgpr13
	s_mov_b32 s0, exec_lo
	v_add_nc_u64_e32 v[10:11], v[0:1], v[8:9]
	s_delay_alu instid0(VALU_DEP_1) | instskip(NEXT) | instid1(VALU_DEP_1)
	v_or_b32_e32 v3, s49, v11
	v_cmpx_ne_u64_e32 0, v[2:3]
	s_xor_b32 s63, exec_lo, s0
	s_cbranch_execz .LBB59_9
; %bb.8:                                ;   in Loop: Header=BB59_3 Depth=1
	s_ashr_i32 s64, s49, 31
	v_dual_mov_b32 v15, v2 :: v_dual_ashrrev_i32 v12, 31, v11
	s_mov_b32 s65, s64
	v_mov_b32_e32 v23, v2
	s_add_nc_u64 s[66:67], s[48:49], s[64:65]
	s_delay_alu instid0(VALU_DEP_2) | instskip(SKIP_1) | instid1(SALU_CYCLE_1)
	v_mov_b32_e32 v13, v12
	s_xor_b64 s[66:67], s[66:67], s[64:65]
	s_cvt_f32_u32 s0, s66
	s_cvt_f32_u32 s2, s67
	s_sub_nc_u64 s[70:71], 0, s[66:67]
	v_add_nc_u64_e32 v[10:11], v[10:11], v[12:13]
	v_mov_b32_e32 v19, v2
	s_fmamk_f32 s0, s2, 0x4f800000, s0
	s_delay_alu instid0(SALU_CYCLE_3) | instskip(NEXT) | instid1(VALU_DEP_2)
	v_s_rcp_f32 s0, s0
	v_xor_b32_e32 v14, v10, v12
	s_delay_alu instid0(VALU_DEP_3) | instskip(SKIP_1) | instid1(TRANS32_DEP_1)
	v_xor_b32_e32 v18, v11, v12
	v_xor_b32_e32 v12, s64, v12
	s_mul_f32 s0, s0, 0x5f7ffffc
	s_delay_alu instid0(SALU_CYCLE_3) | instskip(NEXT) | instid1(SALU_CYCLE_3)
	s_mul_f32 s2, s0, 0x2f800000
	s_trunc_f32 s2, s2
	s_delay_alu instid0(SALU_CYCLE_3) | instskip(SKIP_1) | instid1(SALU_CYCLE_2)
	s_fmamk_f32 s0, s2, 0xcf800000, s0
	s_cvt_u32_f32 s69, s2
	s_cvt_u32_f32 s68, s0
	s_delay_alu instid0(SALU_CYCLE_3) | instskip(NEXT) | instid1(SALU_CYCLE_1)
	s_mul_u64 s[72:73], s[70:71], s[68:69]
	s_mul_hi_u32 s75, s68, s73
	s_mul_i32 s74, s68, s73
	s_mul_hi_u32 s2, s68, s72
	s_mul_i32 s65, s69, s72
	s_add_nc_u64 s[74:75], s[2:3], s[74:75]
	s_mul_hi_u32 s0, s69, s72
	s_mul_hi_u32 s76, s69, s73
	s_add_co_u32 s2, s74, s65
	s_add_co_ci_u32 s2, s75, s0
	s_mul_i32 s72, s69, s73
	s_add_co_ci_u32 s73, s76, 0
	s_delay_alu instid0(SALU_CYCLE_1) | instskip(NEXT) | instid1(SALU_CYCLE_1)
	s_add_nc_u64 s[72:73], s[2:3], s[72:73]
	s_add_co_u32 s68, s68, s72
	s_cselect_b32 s0, -1, 0
	s_delay_alu instid0(SALU_CYCLE_1) | instskip(SKIP_1) | instid1(SALU_CYCLE_1)
	s_cmp_lg_u32 s0, 0
	s_add_co_ci_u32 s69, s69, s73
	s_mul_u64 s[70:71], s[70:71], s[68:69]
	s_delay_alu instid0(SALU_CYCLE_1)
	s_mul_hi_u32 s73, s68, s71
	s_mul_i32 s72, s68, s71
	s_mul_hi_u32 s2, s68, s70
	s_mul_i32 s65, s69, s70
	s_add_nc_u64 s[72:73], s[2:3], s[72:73]
	s_mul_hi_u32 s0, s69, s70
	s_mul_hi_u32 s74, s69, s71
	s_add_co_u32 s2, s72, s65
	s_add_co_ci_u32 s2, s73, s0
	s_mul_i32 s70, s69, s71
	s_add_co_ci_u32 s71, s74, 0
	s_delay_alu instid0(SALU_CYCLE_1) | instskip(NEXT) | instid1(SALU_CYCLE_1)
	s_add_nc_u64 s[70:71], s[2:3], s[70:71]
	s_add_co_u32 s0, s68, s70
	s_cselect_b32 s2, -1, 0
	v_mul_hi_u32 v22, v14, s0
	s_cmp_lg_u32 s2, 0
	s_add_co_ci_u32 s2, s69, s71
	s_and_b64 s[68:69], s[0:1], s[58:59]
	v_mul_u64_e32 v[16:17], s[2:3], v[14:15]
	v_mul_u64_e32 v[10:11], s[68:69], v[18:19]
	;; [unrolled: 1-line block ×3, first 2 shown]
	s_delay_alu instid0(VALU_DEP_3) | instskip(NEXT) | instid1(VALU_DEP_1)
	v_add_nc_u64_e32 v[16:17], v[22:23], v[16:17]
	v_add_co_u32 v3, vcc_lo, v16, v10
	s_delay_alu instid0(VALU_DEP_2) | instskip(NEXT) | instid1(VALU_DEP_4)
	v_add_co_ci_u32_e32 v22, vcc_lo, v17, v11, vcc_lo
	v_add_co_ci_u32_e32 v21, vcc_lo, 0, v21, vcc_lo
	s_delay_alu instid0(VALU_DEP_1) | instskip(NEXT) | instid1(VALU_DEP_1)
	v_add_nc_u64_e32 v[10:11], v[22:23], v[20:21]
	v_mul_u64_e32 v[16:17], s[66:67], v[10:11]
	s_delay_alu instid0(VALU_DEP_1) | instskip(NEXT) | instid1(VALU_DEP_2)
	v_sub_nc_u32_e32 v3, v18, v17
	v_sub_co_u32 v5, vcc_lo, v14, v16
	s_delay_alu instid0(VALU_DEP_1) | instskip(NEXT) | instid1(VALU_DEP_3)
	v_sub_co_ci_u32_e64 v18, null, v18, v17, vcc_lo
	v_subrev_co_ci_u32_e64 v3, null, s67, v3, vcc_lo
	s_delay_alu instid0(VALU_DEP_3) | instskip(SKIP_1) | instid1(VALU_DEP_3)
	v_sub_co_u32 v13, s0, v5, s66
	v_add_nc_u64_e32 v[16:17], 1, v[10:11]
	v_subrev_co_ci_u32_e64 v3, null, 0, v3, s0
	s_delay_alu instid0(VALU_DEP_3) | instskip(SKIP_1) | instid1(VALU_DEP_3)
	v_cmp_le_u32_e32 vcc_lo, s66, v13
	v_cndmask_b32_e64 v13, 0, -1, vcc_lo
	v_cmp_le_u32_e32 vcc_lo, s67, v3
	v_cndmask_b32_e64 v14, 0, -1, vcc_lo
	;; [unrolled: 2-line block ×4, first 2 shown]
	v_cmp_eq_u32_e32 vcc_lo, s67, v3
	v_cndmask_b32_e32 v3, v14, v13, vcc_lo
	v_cmp_eq_u32_e32 vcc_lo, s67, v18
	v_add_nc_u64_e32 v[14:15], 2, v[10:11]
	v_dual_mov_b32 v13, v12 :: v_dual_cndmask_b32 v5, v19, v5, vcc_lo
	s_delay_alu instid0(VALU_DEP_4) | instskip(NEXT) | instid1(VALU_DEP_2)
	v_cmp_ne_u32_e32 vcc_lo, 0, v3
	v_cmp_ne_u32_e64 s0, 0, v5
	s_delay_alu instid0(VALU_DEP_4) | instskip(NEXT) | instid1(VALU_DEP_1)
	v_dual_cndmask_b32 v5, v16, v14, vcc_lo :: v_dual_cndmask_b32 v3, v17, v15, vcc_lo
	v_dual_cndmask_b32 v5, v10, v5, s0 :: v_dual_cndmask_b32 v3, v11, v3, s0
	s_delay_alu instid0(VALU_DEP_1) | instskip(NEXT) | instid1(VALU_DEP_2)
	v_xor_b32_e32 v10, v5, v12
	v_xor_b32_e32 v11, v3, v12
	s_delay_alu instid0(VALU_DEP_1)
	v_sub_nc_u64_e32 v[12:13], v[10:11], v[12:13]
                                        ; implicit-def: $vgpr10_vgpr11
.LBB59_9:                               ;   in Loop: Header=BB59_3 Depth=1
	s_or_saveexec_b32 s0, s63
	v_cvt_f32_u32_e32 v5, s48
	s_xor_b32 exec_lo, exec_lo, s0
	s_cbranch_execz .LBB59_11
; %bb.10:                               ;   in Loop: Header=BB59_3 Depth=1
	s_delay_alu instid0(VALU_DEP_1) | instskip(SKIP_2) | instid1(TRANS32_DEP_1)
	v_rcp_iflag_f32_e32 v3, v5
	s_sub_co_i32 s2, 0, s48
	v_mov_b32_e32 v13, v2
	v_mul_f32_e32 v3, 0x4f7ffffe, v3
	s_delay_alu instid0(VALU_DEP_1) | instskip(NEXT) | instid1(VALU_DEP_1)
	v_cvt_u32_f32_e32 v3, v3
	v_mul_lo_u32 v11, s2, v3
	s_delay_alu instid0(VALU_DEP_1) | instskip(NEXT) | instid1(VALU_DEP_1)
	v_mul_hi_u32 v11, v3, v11
	v_add_nc_u32_e32 v3, v3, v11
	s_delay_alu instid0(VALU_DEP_1) | instskip(NEXT) | instid1(VALU_DEP_1)
	v_mul_hi_u32 v3, v10, v3
	v_mul_lo_u32 v11, v3, s48
	s_delay_alu instid0(VALU_DEP_1) | instskip(SKIP_1) | instid1(VALU_DEP_2)
	v_sub_nc_u32_e32 v10, v10, v11
	v_add_nc_u32_e32 v11, 1, v3
	v_subrev_nc_u32_e32 v12, s48, v10
	v_cmp_le_u32_e32 vcc_lo, s48, v10
	s_delay_alu instid0(VALU_DEP_2) | instskip(NEXT) | instid1(VALU_DEP_1)
	v_dual_cndmask_b32 v10, v10, v12 :: v_dual_cndmask_b32 v3, v3, v11
	v_cmp_le_u32_e32 vcc_lo, s48, v10
	s_delay_alu instid0(VALU_DEP_2) | instskip(NEXT) | instid1(VALU_DEP_1)
	v_add_nc_u32_e32 v11, 1, v3
	v_cndmask_b32_e32 v12, v3, v11, vcc_lo
.LBB59_11:                              ;   in Loop: Header=BB59_3 Depth=1
	s_or_b32 exec_lo, exec_lo, s0
	s_delay_alu instid0(VALU_DEP_1) | instskip(SKIP_1) | instid1(VALU_DEP_1)
	v_mul_u64_e32 v[10:11], s[48:49], v[12:13]
                                        ; implicit-def: $vgpr14_vgpr15
	s_mov_b32 s0, exec_lo
	v_sub_nc_u64_e32 v[8:9], v[8:9], v[10:11]
	v_mul_u64_e32 v[10:11], s[24:25], v[12:13]
	s_delay_alu instid0(VALU_DEP_2) | instskip(NEXT) | instid1(VALU_DEP_1)
	v_add_nc_u64_e32 v[8:9], v[0:1], v[8:9]
	v_mul_u64_e32 v[8:9], s[26:27], v[8:9]
	s_delay_alu instid0(VALU_DEP_3) | instskip(NEXT) | instid1(VALU_DEP_1)
	v_lshl_add_u64 v[10:11], v[10:11], 1, s[46:47]
	v_lshl_add_u64 v[8:9], v[8:9], 1, v[10:11]
	global_load_u16 v22, v[8:9], off
	s_wait_xcnt 0x0
	v_lshlrev_b64_e32 v[8:9], 2, v[6:7]
	s_delay_alu instid0(VALU_DEP_1) | instskip(NEXT) | instid1(VALU_DEP_1)
	v_mad_nc_u64_u32 v[10:11], s4, v8, s[4:5]
	v_mad_u32 v3, s5, v8, v11
	v_alignbit_b32 v11, v7, v6, 30
	s_delay_alu instid0(VALU_DEP_1) | instskip(NEXT) | instid1(VALU_DEP_1)
	v_mad_u32 v11, s4, v11, v3
	v_add_nc_u64_e32 v[12:13], v[0:1], v[10:11]
	s_delay_alu instid0(VALU_DEP_1) | instskip(NEXT) | instid1(VALU_DEP_1)
	v_or_b32_e32 v3, s49, v13
	v_cmpx_ne_u64_e32 0, v[2:3]
	s_xor_b32 s63, exec_lo, s0
	s_cbranch_execz .LBB59_13
; %bb.12:                               ;   in Loop: Header=BB59_3 Depth=1
	s_ashr_i32 s64, s49, 31
	v_dual_mov_b32 v17, v2 :: v_dual_ashrrev_i32 v14, 31, v13
	s_mov_b32 s65, s64
	s_delay_alu instid0(SALU_CYCLE_1) | instskip(NEXT) | instid1(VALU_DEP_1)
	s_add_nc_u64 s[66:67], s[48:49], s[64:65]
	v_mov_b32_e32 v15, v14
	s_xor_b64 s[66:67], s[66:67], s[64:65]
	s_delay_alu instid0(SALU_CYCLE_1)
	s_cvt_f32_u32 s0, s66
	s_cvt_f32_u32 s2, s67
	s_sub_nc_u64 s[70:71], 0, s[66:67]
	v_add_nc_u64_e32 v[12:13], v[12:13], v[14:15]
	v_mov_b32_e32 v21, v2
	s_fmamk_f32 s0, s2, 0x4f800000, s0
	s_delay_alu instid0(SALU_CYCLE_3) | instskip(NEXT) | instid1(VALU_DEP_2)
	v_s_rcp_f32 s0, s0
	v_xor_b32_e32 v16, v12, v14
	s_delay_alu instid0(VALU_DEP_3) | instskip(NEXT) | instid1(TRANS32_DEP_1)
	v_dual_mov_b32 v29, v2 :: v_dual_bitop2_b32 v20, v13, v14 bitop3:0x14
	s_mul_f32 s0, s0, 0x5f7ffffc
	s_delay_alu instid0(SALU_CYCLE_3) | instskip(NEXT) | instid1(SALU_CYCLE_3)
	s_mul_f32 s2, s0, 0x2f800000
	s_trunc_f32 s2, s2
	s_delay_alu instid0(SALU_CYCLE_3) | instskip(SKIP_1) | instid1(SALU_CYCLE_2)
	s_fmamk_f32 s0, s2, 0xcf800000, s0
	s_cvt_u32_f32 s69, s2
	s_cvt_u32_f32 s68, s0
	s_delay_alu instid0(SALU_CYCLE_3) | instskip(NEXT) | instid1(SALU_CYCLE_1)
	s_mul_u64 s[72:73], s[70:71], s[68:69]
	s_mul_hi_u32 s75, s68, s73
	s_mul_i32 s74, s68, s73
	s_mul_hi_u32 s2, s68, s72
	s_mul_i32 s65, s69, s72
	s_add_nc_u64 s[74:75], s[2:3], s[74:75]
	s_mul_hi_u32 s0, s69, s72
	s_mul_hi_u32 s76, s69, s73
	s_add_co_u32 s2, s74, s65
	s_add_co_ci_u32 s2, s75, s0
	s_mul_i32 s72, s69, s73
	s_add_co_ci_u32 s73, s76, 0
	s_delay_alu instid0(SALU_CYCLE_1) | instskip(NEXT) | instid1(SALU_CYCLE_1)
	s_add_nc_u64 s[72:73], s[2:3], s[72:73]
	s_add_co_u32 s68, s68, s72
	s_cselect_b32 s0, -1, 0
	s_delay_alu instid0(SALU_CYCLE_1) | instskip(SKIP_1) | instid1(SALU_CYCLE_1)
	s_cmp_lg_u32 s0, 0
	s_add_co_ci_u32 s69, s69, s73
	s_mul_u64 s[70:71], s[70:71], s[68:69]
	s_delay_alu instid0(SALU_CYCLE_1)
	s_mul_hi_u32 s73, s68, s71
	s_mul_i32 s72, s68, s71
	s_mul_hi_u32 s2, s68, s70
	s_mul_i32 s65, s69, s70
	s_add_nc_u64 s[72:73], s[2:3], s[72:73]
	s_mul_hi_u32 s0, s69, s70
	s_mul_hi_u32 s74, s69, s71
	s_add_co_u32 s2, s72, s65
	s_add_co_ci_u32 s2, s73, s0
	s_mul_i32 s70, s69, s71
	s_add_co_ci_u32 s71, s74, 0
	s_delay_alu instid0(SALU_CYCLE_1) | instskip(NEXT) | instid1(SALU_CYCLE_1)
	s_add_nc_u64 s[70:71], s[2:3], s[70:71]
	s_add_co_u32 s0, s68, s70
	s_cselect_b32 s2, -1, 0
	v_mul_hi_u32 v28, v16, s0
	s_cmp_lg_u32 s2, 0
	s_add_co_ci_u32 s2, s69, s71
	s_and_b64 s[68:69], s[0:1], s[58:59]
	v_mul_u64_e32 v[18:19], s[2:3], v[16:17]
	v_mul_u64_e32 v[12:13], s[68:69], v[20:21]
	v_mul_u64_e32 v[24:25], s[2:3], v[20:21]
	s_delay_alu instid0(VALU_DEP_3) | instskip(NEXT) | instid1(VALU_DEP_1)
	v_add_nc_u64_e32 v[18:19], v[28:29], v[18:19]
	v_add_co_u32 v3, vcc_lo, v18, v12
	s_delay_alu instid0(VALU_DEP_2) | instskip(NEXT) | instid1(VALU_DEP_4)
	v_add_co_ci_u32_e32 v28, vcc_lo, v19, v13, vcc_lo
	v_add_co_ci_u32_e32 v25, vcc_lo, 0, v25, vcc_lo
	s_delay_alu instid0(VALU_DEP_1) | instskip(NEXT) | instid1(VALU_DEP_1)
	v_add_nc_u64_e32 v[12:13], v[28:29], v[24:25]
	v_mul_u64_e32 v[18:19], s[66:67], v[12:13]
	s_delay_alu instid0(VALU_DEP_1) | instskip(NEXT) | instid1(VALU_DEP_2)
	v_sub_nc_u32_e32 v3, v20, v19
	v_sub_co_u32 v15, vcc_lo, v16, v18
	s_delay_alu instid0(VALU_DEP_1) | instskip(NEXT) | instid1(VALU_DEP_3)
	v_sub_co_ci_u32_e64 v20, null, v20, v19, vcc_lo
	v_subrev_co_ci_u32_e64 v3, null, s67, v3, vcc_lo
	s_delay_alu instid0(VALU_DEP_3) | instskip(SKIP_1) | instid1(VALU_DEP_3)
	v_sub_co_u32 v16, s0, v15, s66
	v_add_nc_u64_e32 v[18:19], 1, v[12:13]
	v_subrev_co_ci_u32_e64 v3, null, 0, v3, s0
	s_delay_alu instid0(VALU_DEP_3) | instskip(SKIP_1) | instid1(VALU_DEP_3)
	v_cmp_le_u32_e32 vcc_lo, s66, v16
	v_cndmask_b32_e64 v16, 0, -1, vcc_lo
	v_cmp_le_u32_e32 vcc_lo, s67, v3
	v_cndmask_b32_e64 v17, 0, -1, vcc_lo
	;; [unrolled: 2-line block ×4, first 2 shown]
	v_cmp_eq_u32_e32 vcc_lo, s67, v3
	v_cndmask_b32_e32 v3, v17, v16, vcc_lo
	v_cmp_eq_u32_e32 vcc_lo, s67, v20
	v_add_nc_u64_e32 v[16:17], 2, v[12:13]
	v_cndmask_b32_e32 v15, v21, v15, vcc_lo
	s_delay_alu instid0(VALU_DEP_4) | instskip(NEXT) | instid1(VALU_DEP_3)
	v_cmp_ne_u32_e32 vcc_lo, 0, v3
	v_cndmask_b32_e32 v3, v19, v17, vcc_lo
	s_delay_alu instid0(VALU_DEP_3) | instskip(SKIP_1) | instid1(VALU_DEP_2)
	v_cmp_ne_u32_e64 s0, 0, v15
	v_dual_cndmask_b32 v15, v18, v16, vcc_lo :: v_dual_bitop2_b32 v14, s64, v14 bitop3:0x14
	v_cndmask_b32_e64 v3, v13, v3, s0
	s_delay_alu instid0(VALU_DEP_2) | instskip(NEXT) | instid1(VALU_DEP_2)
	v_dual_cndmask_b32 v12, v12, v15, s0 :: v_dual_mov_b32 v15, v14
	v_xor_b32_e32 v13, v3, v14
	s_delay_alu instid0(VALU_DEP_2) | instskip(NEXT) | instid1(VALU_DEP_1)
	v_xor_b32_e32 v12, v12, v14
	v_sub_nc_u64_e32 v[14:15], v[12:13], v[14:15]
                                        ; implicit-def: $vgpr12_vgpr13
.LBB59_13:                              ;   in Loop: Header=BB59_3 Depth=1
	s_and_not1_saveexec_b32 s0, s63
	s_cbranch_execz .LBB59_15
; %bb.14:                               ;   in Loop: Header=BB59_3 Depth=1
	v_rcp_iflag_f32_e32 v3, v5
	s_sub_co_i32 s2, 0, s48
	v_mov_b32_e32 v15, v2
	s_delay_alu instid0(TRANS32_DEP_1) | instskip(NEXT) | instid1(VALU_DEP_1)
	v_mul_f32_e32 v3, 0x4f7ffffe, v3
	v_cvt_u32_f32_e32 v3, v3
	s_delay_alu instid0(VALU_DEP_1) | instskip(NEXT) | instid1(VALU_DEP_1)
	v_mul_lo_u32 v13, s2, v3
	v_mul_hi_u32 v13, v3, v13
	s_delay_alu instid0(VALU_DEP_1) | instskip(NEXT) | instid1(VALU_DEP_1)
	v_add_nc_u32_e32 v3, v3, v13
	v_mul_hi_u32 v3, v12, v3
	s_delay_alu instid0(VALU_DEP_1) | instskip(NEXT) | instid1(VALU_DEP_1)
	v_mul_lo_u32 v13, v3, s48
	v_dual_sub_nc_u32 v12, v12, v13 :: v_dual_add_nc_u32 v13, 1, v3
	s_delay_alu instid0(VALU_DEP_1) | instskip(SKIP_1) | instid1(VALU_DEP_2)
	v_subrev_nc_u32_e32 v14, s48, v12
	v_cmp_le_u32_e32 vcc_lo, s48, v12
	v_dual_cndmask_b32 v12, v12, v14 :: v_dual_cndmask_b32 v3, v3, v13
	s_delay_alu instid0(VALU_DEP_1) | instskip(NEXT) | instid1(VALU_DEP_2)
	v_cmp_le_u32_e32 vcc_lo, s48, v12
	v_add_nc_u32_e32 v13, 1, v3
	s_delay_alu instid0(VALU_DEP_1)
	v_cndmask_b32_e32 v14, v3, v13, vcc_lo
.LBB59_15:                              ;   in Loop: Header=BB59_3 Depth=1
	s_or_b32 exec_lo, exec_lo, s0
	s_delay_alu instid0(VALU_DEP_1) | instskip(SKIP_1) | instid1(VALU_DEP_1)
	v_mul_u64_e32 v[12:13], s[48:49], v[14:15]
	s_mov_b32 s0, exec_lo
	v_sub_nc_u64_e32 v[10:11], v[10:11], v[12:13]
	v_mul_u64_e32 v[12:13], s[24:25], v[14:15]
                                        ; implicit-def: $vgpr14_vgpr15
	s_delay_alu instid0(VALU_DEP_2) | instskip(NEXT) | instid1(VALU_DEP_1)
	v_add_nc_u64_e32 v[10:11], v[0:1], v[10:11]
	v_mul_u64_e32 v[10:11], s[26:27], v[10:11]
	s_delay_alu instid0(VALU_DEP_3) | instskip(NEXT) | instid1(VALU_DEP_1)
	v_lshl_add_u64 v[12:13], v[12:13], 1, s[46:47]
	v_lshl_add_u64 v[10:11], v[10:11], 1, v[12:13]
	global_load_u16 v27, v[10:11], off
	s_wait_xcnt 0x0
	v_add_nc_u64_e32 v[10:11], 2, v[8:9]
	s_delay_alu instid0(VALU_DEP_1) | instskip(NEXT) | instid1(VALU_DEP_1)
	v_mul_u64_e32 v[10:11], s[4:5], v[10:11]
	v_add_nc_u64_e32 v[12:13], v[0:1], v[10:11]
	s_delay_alu instid0(VALU_DEP_1) | instskip(NEXT) | instid1(VALU_DEP_1)
	v_or_b32_e32 v3, s49, v13
	v_cmpx_ne_u64_e32 0, v[2:3]
	s_xor_b32 s63, exec_lo, s0
	s_cbranch_execz .LBB59_17
; %bb.16:                               ;   in Loop: Header=BB59_3 Depth=1
	s_ashr_i32 s64, s49, 31
	v_dual_mov_b32 v17, v2 :: v_dual_ashrrev_i32 v14, 31, v13
	s_mov_b32 s65, s64
	s_delay_alu instid0(SALU_CYCLE_1) | instskip(NEXT) | instid1(VALU_DEP_1)
	s_add_nc_u64 s[66:67], s[48:49], s[64:65]
	v_mov_b32_e32 v15, v14
	s_xor_b64 s[66:67], s[66:67], s[64:65]
	s_delay_alu instid0(SALU_CYCLE_1)
	s_cvt_f32_u32 s0, s66
	s_cvt_f32_u32 s2, s67
	s_sub_nc_u64 s[70:71], 0, s[66:67]
	v_add_nc_u64_e32 v[12:13], v[12:13], v[14:15]
	v_mov_b32_e32 v21, v2
	s_fmamk_f32 s0, s2, 0x4f800000, s0
	s_delay_alu instid0(SALU_CYCLE_3) | instskip(NEXT) | instid1(VALU_DEP_2)
	v_s_rcp_f32 s0, s0
	v_xor_b32_e32 v16, v12, v14
	s_delay_alu instid0(VALU_DEP_3) | instskip(NEXT) | instid1(TRANS32_DEP_1)
	v_dual_mov_b32 v29, v2 :: v_dual_bitop2_b32 v20, v13, v14 bitop3:0x14
	s_mul_f32 s0, s0, 0x5f7ffffc
	s_delay_alu instid0(SALU_CYCLE_3) | instskip(NEXT) | instid1(SALU_CYCLE_3)
	s_mul_f32 s2, s0, 0x2f800000
	s_trunc_f32 s2, s2
	s_delay_alu instid0(SALU_CYCLE_3) | instskip(SKIP_1) | instid1(SALU_CYCLE_2)
	s_fmamk_f32 s0, s2, 0xcf800000, s0
	s_cvt_u32_f32 s69, s2
	s_cvt_u32_f32 s68, s0
	s_delay_alu instid0(SALU_CYCLE_3) | instskip(NEXT) | instid1(SALU_CYCLE_1)
	s_mul_u64 s[72:73], s[70:71], s[68:69]
	s_mul_hi_u32 s75, s68, s73
	s_mul_i32 s74, s68, s73
	s_mul_hi_u32 s2, s68, s72
	s_mul_i32 s65, s69, s72
	s_add_nc_u64 s[74:75], s[2:3], s[74:75]
	s_mul_hi_u32 s0, s69, s72
	s_mul_hi_u32 s76, s69, s73
	s_add_co_u32 s2, s74, s65
	s_add_co_ci_u32 s2, s75, s0
	s_mul_i32 s72, s69, s73
	s_add_co_ci_u32 s73, s76, 0
	s_delay_alu instid0(SALU_CYCLE_1) | instskip(NEXT) | instid1(SALU_CYCLE_1)
	s_add_nc_u64 s[72:73], s[2:3], s[72:73]
	s_add_co_u32 s68, s68, s72
	s_cselect_b32 s0, -1, 0
	s_delay_alu instid0(SALU_CYCLE_1) | instskip(SKIP_1) | instid1(SALU_CYCLE_1)
	s_cmp_lg_u32 s0, 0
	s_add_co_ci_u32 s69, s69, s73
	s_mul_u64 s[70:71], s[70:71], s[68:69]
	s_delay_alu instid0(SALU_CYCLE_1)
	s_mul_hi_u32 s73, s68, s71
	s_mul_i32 s72, s68, s71
	s_mul_hi_u32 s2, s68, s70
	s_mul_i32 s65, s69, s70
	s_add_nc_u64 s[72:73], s[2:3], s[72:73]
	s_mul_hi_u32 s0, s69, s70
	s_mul_hi_u32 s74, s69, s71
	s_add_co_u32 s2, s72, s65
	s_add_co_ci_u32 s2, s73, s0
	s_mul_i32 s70, s69, s71
	s_add_co_ci_u32 s71, s74, 0
	s_delay_alu instid0(SALU_CYCLE_1) | instskip(NEXT) | instid1(SALU_CYCLE_1)
	s_add_nc_u64 s[70:71], s[2:3], s[70:71]
	s_add_co_u32 s0, s68, s70
	s_cselect_b32 s2, -1, 0
	v_mul_hi_u32 v28, v16, s0
	s_cmp_lg_u32 s2, 0
	s_add_co_ci_u32 s2, s69, s71
	s_and_b64 s[68:69], s[0:1], s[58:59]
	v_mul_u64_e32 v[18:19], s[2:3], v[16:17]
	v_mul_u64_e32 v[12:13], s[68:69], v[20:21]
	;; [unrolled: 1-line block ×3, first 2 shown]
	s_delay_alu instid0(VALU_DEP_3) | instskip(NEXT) | instid1(VALU_DEP_1)
	v_add_nc_u64_e32 v[18:19], v[28:29], v[18:19]
	v_add_co_u32 v3, vcc_lo, v18, v12
	s_delay_alu instid0(VALU_DEP_2) | instskip(NEXT) | instid1(VALU_DEP_4)
	v_add_co_ci_u32_e32 v28, vcc_lo, v19, v13, vcc_lo
	v_add_co_ci_u32_e32 v25, vcc_lo, 0, v25, vcc_lo
	s_delay_alu instid0(VALU_DEP_1) | instskip(NEXT) | instid1(VALU_DEP_1)
	v_add_nc_u64_e32 v[12:13], v[28:29], v[24:25]
	v_mul_u64_e32 v[18:19], s[66:67], v[12:13]
	s_delay_alu instid0(VALU_DEP_1) | instskip(NEXT) | instid1(VALU_DEP_2)
	v_sub_nc_u32_e32 v3, v20, v19
	v_sub_co_u32 v15, vcc_lo, v16, v18
	s_delay_alu instid0(VALU_DEP_1) | instskip(NEXT) | instid1(VALU_DEP_3)
	v_sub_co_ci_u32_e64 v20, null, v20, v19, vcc_lo
	v_subrev_co_ci_u32_e64 v3, null, s67, v3, vcc_lo
	s_delay_alu instid0(VALU_DEP_3) | instskip(SKIP_1) | instid1(VALU_DEP_3)
	v_sub_co_u32 v16, s0, v15, s66
	v_add_nc_u64_e32 v[18:19], 1, v[12:13]
	v_subrev_co_ci_u32_e64 v3, null, 0, v3, s0
	s_delay_alu instid0(VALU_DEP_3) | instskip(SKIP_1) | instid1(VALU_DEP_3)
	v_cmp_le_u32_e32 vcc_lo, s66, v16
	v_cndmask_b32_e64 v16, 0, -1, vcc_lo
	v_cmp_le_u32_e32 vcc_lo, s67, v3
	v_cndmask_b32_e64 v17, 0, -1, vcc_lo
	;; [unrolled: 2-line block ×4, first 2 shown]
	v_cmp_eq_u32_e32 vcc_lo, s67, v3
	v_cndmask_b32_e32 v3, v17, v16, vcc_lo
	v_cmp_eq_u32_e32 vcc_lo, s67, v20
	v_add_nc_u64_e32 v[16:17], 2, v[12:13]
	v_cndmask_b32_e32 v15, v21, v15, vcc_lo
	s_delay_alu instid0(VALU_DEP_4) | instskip(NEXT) | instid1(VALU_DEP_3)
	v_cmp_ne_u32_e32 vcc_lo, 0, v3
	v_cndmask_b32_e32 v3, v19, v17, vcc_lo
	s_delay_alu instid0(VALU_DEP_3) | instskip(SKIP_1) | instid1(VALU_DEP_2)
	v_cmp_ne_u32_e64 s0, 0, v15
	v_dual_cndmask_b32 v15, v18, v16, vcc_lo :: v_dual_bitop2_b32 v14, s64, v14 bitop3:0x14
	v_cndmask_b32_e64 v3, v13, v3, s0
	s_delay_alu instid0(VALU_DEP_2) | instskip(NEXT) | instid1(VALU_DEP_2)
	v_dual_cndmask_b32 v12, v12, v15, s0 :: v_dual_mov_b32 v15, v14
	v_xor_b32_e32 v13, v3, v14
	s_delay_alu instid0(VALU_DEP_2) | instskip(NEXT) | instid1(VALU_DEP_1)
	v_xor_b32_e32 v12, v12, v14
	v_sub_nc_u64_e32 v[14:15], v[12:13], v[14:15]
                                        ; implicit-def: $vgpr12_vgpr13
.LBB59_17:                              ;   in Loop: Header=BB59_3 Depth=1
	s_and_not1_saveexec_b32 s0, s63
	s_cbranch_execz .LBB59_19
; %bb.18:                               ;   in Loop: Header=BB59_3 Depth=1
	v_rcp_iflag_f32_e32 v3, v5
	s_sub_co_i32 s2, 0, s48
	v_mov_b32_e32 v15, v2
	s_delay_alu instid0(TRANS32_DEP_1) | instskip(NEXT) | instid1(VALU_DEP_1)
	v_mul_f32_e32 v3, 0x4f7ffffe, v3
	v_cvt_u32_f32_e32 v3, v3
	s_delay_alu instid0(VALU_DEP_1) | instskip(NEXT) | instid1(VALU_DEP_1)
	v_mul_lo_u32 v13, s2, v3
	v_mul_hi_u32 v13, v3, v13
	s_delay_alu instid0(VALU_DEP_1) | instskip(NEXT) | instid1(VALU_DEP_1)
	v_add_nc_u32_e32 v3, v3, v13
	v_mul_hi_u32 v3, v12, v3
	s_delay_alu instid0(VALU_DEP_1) | instskip(NEXT) | instid1(VALU_DEP_1)
	v_mul_lo_u32 v13, v3, s48
	v_dual_sub_nc_u32 v12, v12, v13 :: v_dual_add_nc_u32 v13, 1, v3
	s_delay_alu instid0(VALU_DEP_1) | instskip(SKIP_1) | instid1(VALU_DEP_2)
	v_subrev_nc_u32_e32 v14, s48, v12
	v_cmp_le_u32_e32 vcc_lo, s48, v12
	v_dual_cndmask_b32 v12, v12, v14 :: v_dual_cndmask_b32 v3, v3, v13
	s_delay_alu instid0(VALU_DEP_1) | instskip(NEXT) | instid1(VALU_DEP_2)
	v_cmp_le_u32_e32 vcc_lo, s48, v12
	v_add_nc_u32_e32 v13, 1, v3
	s_delay_alu instid0(VALU_DEP_1)
	v_cndmask_b32_e32 v14, v3, v13, vcc_lo
.LBB59_19:                              ;   in Loop: Header=BB59_3 Depth=1
	s_or_b32 exec_lo, exec_lo, s0
	s_delay_alu instid0(VALU_DEP_1) | instskip(SKIP_1) | instid1(VALU_DEP_1)
	v_mul_u64_e32 v[12:13], s[48:49], v[14:15]
	s_mov_b32 s0, exec_lo
	v_sub_nc_u64_e32 v[10:11], v[10:11], v[12:13]
	v_mul_u64_e32 v[12:13], s[24:25], v[14:15]
                                        ; implicit-def: $vgpr14_vgpr15
	s_delay_alu instid0(VALU_DEP_2) | instskip(NEXT) | instid1(VALU_DEP_1)
	v_add_nc_u64_e32 v[10:11], v[0:1], v[10:11]
	v_mul_u64_e32 v[10:11], s[26:27], v[10:11]
	s_delay_alu instid0(VALU_DEP_3) | instskip(NEXT) | instid1(VALU_DEP_1)
	v_lshl_add_u64 v[12:13], v[12:13], 1, s[46:47]
	v_lshl_add_u64 v[10:11], v[10:11], 1, v[12:13]
	global_load_u16 v24, v[10:11], off
	s_wait_xcnt 0x0
	v_add_nc_u64_e32 v[10:11], 3, v[8:9]
	s_delay_alu instid0(VALU_DEP_1) | instskip(NEXT) | instid1(VALU_DEP_1)
	v_mul_u64_e32 v[10:11], s[4:5], v[10:11]
	v_add_nc_u64_e32 v[12:13], v[0:1], v[10:11]
	s_delay_alu instid0(VALU_DEP_1) | instskip(NEXT) | instid1(VALU_DEP_1)
	v_or_b32_e32 v3, s49, v13
	v_cmpx_ne_u64_e32 0, v[2:3]
	s_xor_b32 s63, exec_lo, s0
	s_cbranch_execz .LBB59_21
; %bb.20:                               ;   in Loop: Header=BB59_3 Depth=1
	s_ashr_i32 s64, s49, 31
	v_dual_mov_b32 v17, v2 :: v_dual_ashrrev_i32 v14, 31, v13
	s_mov_b32 s65, s64
	s_delay_alu instid0(SALU_CYCLE_1) | instskip(NEXT) | instid1(VALU_DEP_1)
	s_add_nc_u64 s[66:67], s[48:49], s[64:65]
	v_mov_b32_e32 v15, v14
	s_xor_b64 s[66:67], s[66:67], s[64:65]
	s_delay_alu instid0(SALU_CYCLE_1)
	s_cvt_f32_u32 s0, s66
	s_cvt_f32_u32 s2, s67
	s_sub_nc_u64 s[70:71], 0, s[66:67]
	v_add_nc_u64_e32 v[12:13], v[12:13], v[14:15]
	v_mov_b32_e32 v21, v2
	s_fmamk_f32 s0, s2, 0x4f800000, s0
	s_delay_alu instid0(SALU_CYCLE_3) | instskip(NEXT) | instid1(VALU_DEP_2)
	v_s_rcp_f32 s0, s0
	v_xor_b32_e32 v16, v12, v14
	s_delay_alu instid0(VALU_DEP_3) | instskip(NEXT) | instid1(TRANS32_DEP_1)
	v_dual_mov_b32 v31, v2 :: v_dual_bitop2_b32 v20, v13, v14 bitop3:0x14
	s_mul_f32 s0, s0, 0x5f7ffffc
	s_delay_alu instid0(SALU_CYCLE_3) | instskip(NEXT) | instid1(SALU_CYCLE_3)
	s_mul_f32 s2, s0, 0x2f800000
	s_trunc_f32 s2, s2
	s_delay_alu instid0(SALU_CYCLE_3) | instskip(SKIP_1) | instid1(SALU_CYCLE_2)
	s_fmamk_f32 s0, s2, 0xcf800000, s0
	s_cvt_u32_f32 s69, s2
	s_cvt_u32_f32 s68, s0
	s_delay_alu instid0(SALU_CYCLE_3) | instskip(NEXT) | instid1(SALU_CYCLE_1)
	s_mul_u64 s[72:73], s[70:71], s[68:69]
	s_mul_hi_u32 s75, s68, s73
	s_mul_i32 s74, s68, s73
	s_mul_hi_u32 s2, s68, s72
	s_mul_i32 s65, s69, s72
	s_add_nc_u64 s[74:75], s[2:3], s[74:75]
	s_mul_hi_u32 s0, s69, s72
	s_mul_hi_u32 s76, s69, s73
	s_add_co_u32 s2, s74, s65
	s_add_co_ci_u32 s2, s75, s0
	s_mul_i32 s72, s69, s73
	s_add_co_ci_u32 s73, s76, 0
	s_delay_alu instid0(SALU_CYCLE_1) | instskip(NEXT) | instid1(SALU_CYCLE_1)
	s_add_nc_u64 s[72:73], s[2:3], s[72:73]
	s_add_co_u32 s68, s68, s72
	s_cselect_b32 s0, -1, 0
	s_delay_alu instid0(SALU_CYCLE_1) | instskip(SKIP_1) | instid1(SALU_CYCLE_1)
	s_cmp_lg_u32 s0, 0
	s_add_co_ci_u32 s69, s69, s73
	s_mul_u64 s[70:71], s[70:71], s[68:69]
	s_delay_alu instid0(SALU_CYCLE_1)
	s_mul_hi_u32 s73, s68, s71
	s_mul_i32 s72, s68, s71
	s_mul_hi_u32 s2, s68, s70
	s_mul_i32 s65, s69, s70
	s_add_nc_u64 s[72:73], s[2:3], s[72:73]
	s_mul_hi_u32 s0, s69, s70
	s_mul_hi_u32 s74, s69, s71
	s_add_co_u32 s2, s72, s65
	s_add_co_ci_u32 s2, s73, s0
	s_mul_i32 s70, s69, s71
	s_add_co_ci_u32 s71, s74, 0
	s_delay_alu instid0(SALU_CYCLE_1) | instskip(NEXT) | instid1(SALU_CYCLE_1)
	s_add_nc_u64 s[70:71], s[2:3], s[70:71]
	s_add_co_u32 s0, s68, s70
	s_cselect_b32 s2, -1, 0
	v_mul_hi_u32 v30, v16, s0
	s_cmp_lg_u32 s2, 0
	s_add_co_ci_u32 s2, s69, s71
	s_and_b64 s[68:69], s[0:1], s[58:59]
	v_mul_u64_e32 v[18:19], s[2:3], v[16:17]
	v_mul_u64_e32 v[12:13], s[68:69], v[20:21]
	;; [unrolled: 1-line block ×3, first 2 shown]
	s_delay_alu instid0(VALU_DEP_3) | instskip(NEXT) | instid1(VALU_DEP_1)
	v_add_nc_u64_e32 v[18:19], v[30:31], v[18:19]
	v_add_co_u32 v3, vcc_lo, v18, v12
	s_delay_alu instid0(VALU_DEP_2) | instskip(NEXT) | instid1(VALU_DEP_4)
	v_add_co_ci_u32_e32 v30, vcc_lo, v19, v13, vcc_lo
	v_add_co_ci_u32_e32 v29, vcc_lo, 0, v29, vcc_lo
	s_delay_alu instid0(VALU_DEP_1) | instskip(NEXT) | instid1(VALU_DEP_1)
	v_add_nc_u64_e32 v[12:13], v[30:31], v[28:29]
	v_mul_u64_e32 v[18:19], s[66:67], v[12:13]
	s_delay_alu instid0(VALU_DEP_1) | instskip(NEXT) | instid1(VALU_DEP_2)
	v_sub_nc_u32_e32 v3, v20, v19
	v_sub_co_u32 v15, vcc_lo, v16, v18
	s_delay_alu instid0(VALU_DEP_1) | instskip(NEXT) | instid1(VALU_DEP_3)
	v_sub_co_ci_u32_e64 v20, null, v20, v19, vcc_lo
	v_subrev_co_ci_u32_e64 v3, null, s67, v3, vcc_lo
	s_delay_alu instid0(VALU_DEP_3) | instskip(SKIP_1) | instid1(VALU_DEP_3)
	v_sub_co_u32 v16, s0, v15, s66
	v_add_nc_u64_e32 v[18:19], 1, v[12:13]
	v_subrev_co_ci_u32_e64 v3, null, 0, v3, s0
	s_delay_alu instid0(VALU_DEP_3) | instskip(SKIP_1) | instid1(VALU_DEP_3)
	v_cmp_le_u32_e32 vcc_lo, s66, v16
	v_cndmask_b32_e64 v16, 0, -1, vcc_lo
	v_cmp_le_u32_e32 vcc_lo, s67, v3
	v_cndmask_b32_e64 v17, 0, -1, vcc_lo
	;; [unrolled: 2-line block ×4, first 2 shown]
	v_cmp_eq_u32_e32 vcc_lo, s67, v3
	v_cndmask_b32_e32 v3, v17, v16, vcc_lo
	v_cmp_eq_u32_e32 vcc_lo, s67, v20
	v_add_nc_u64_e32 v[16:17], 2, v[12:13]
	v_cndmask_b32_e32 v15, v21, v15, vcc_lo
	s_delay_alu instid0(VALU_DEP_4) | instskip(NEXT) | instid1(VALU_DEP_3)
	v_cmp_ne_u32_e32 vcc_lo, 0, v3
	v_cndmask_b32_e32 v3, v19, v17, vcc_lo
	s_delay_alu instid0(VALU_DEP_3) | instskip(SKIP_1) | instid1(VALU_DEP_2)
	v_cmp_ne_u32_e64 s0, 0, v15
	v_dual_cndmask_b32 v15, v18, v16, vcc_lo :: v_dual_bitop2_b32 v14, s64, v14 bitop3:0x14
	v_cndmask_b32_e64 v3, v13, v3, s0
	s_delay_alu instid0(VALU_DEP_2) | instskip(NEXT) | instid1(VALU_DEP_2)
	v_dual_cndmask_b32 v12, v12, v15, s0 :: v_dual_mov_b32 v15, v14
	v_xor_b32_e32 v13, v3, v14
	s_delay_alu instid0(VALU_DEP_2) | instskip(NEXT) | instid1(VALU_DEP_1)
	v_xor_b32_e32 v12, v12, v14
	v_sub_nc_u64_e32 v[14:15], v[12:13], v[14:15]
                                        ; implicit-def: $vgpr12_vgpr13
.LBB59_21:                              ;   in Loop: Header=BB59_3 Depth=1
	s_and_not1_saveexec_b32 s0, s63
	s_cbranch_execz .LBB59_23
; %bb.22:                               ;   in Loop: Header=BB59_3 Depth=1
	v_rcp_iflag_f32_e32 v3, v5
	s_sub_co_i32 s2, 0, s48
	v_mov_b32_e32 v15, v2
	s_delay_alu instid0(TRANS32_DEP_1) | instskip(NEXT) | instid1(VALU_DEP_1)
	v_mul_f32_e32 v3, 0x4f7ffffe, v3
	v_cvt_u32_f32_e32 v3, v3
	s_delay_alu instid0(VALU_DEP_1) | instskip(NEXT) | instid1(VALU_DEP_1)
	v_mul_lo_u32 v13, s2, v3
	v_mul_hi_u32 v13, v3, v13
	s_delay_alu instid0(VALU_DEP_1) | instskip(NEXT) | instid1(VALU_DEP_1)
	v_add_nc_u32_e32 v3, v3, v13
	v_mul_hi_u32 v3, v12, v3
	s_delay_alu instid0(VALU_DEP_1) | instskip(NEXT) | instid1(VALU_DEP_1)
	v_mul_lo_u32 v13, v3, s48
	v_dual_sub_nc_u32 v12, v12, v13 :: v_dual_add_nc_u32 v13, 1, v3
	s_delay_alu instid0(VALU_DEP_1) | instskip(SKIP_1) | instid1(VALU_DEP_2)
	v_subrev_nc_u32_e32 v14, s48, v12
	v_cmp_le_u32_e32 vcc_lo, s48, v12
	v_dual_cndmask_b32 v12, v12, v14 :: v_dual_cndmask_b32 v3, v3, v13
	s_delay_alu instid0(VALU_DEP_1) | instskip(NEXT) | instid1(VALU_DEP_2)
	v_cmp_le_u32_e32 vcc_lo, s48, v12
	v_add_nc_u32_e32 v13, 1, v3
	s_delay_alu instid0(VALU_DEP_1)
	v_cndmask_b32_e32 v14, v3, v13, vcc_lo
.LBB59_23:                              ;   in Loop: Header=BB59_3 Depth=1
	s_or_b32 exec_lo, exec_lo, s0
	s_delay_alu instid0(VALU_DEP_1) | instskip(SKIP_2) | instid1(VALU_DEP_1)
	v_mul_u64_e32 v[12:13], s[48:49], v[14:15]
	v_add_nc_u64_e32 v[8:9], 4, v[8:9]
	s_mov_b32 s0, exec_lo
	v_mul_u64_e32 v[8:9], s[4:5], v[8:9]
	s_delay_alu instid0(VALU_DEP_3) | instskip(SKIP_1) | instid1(VALU_DEP_2)
	v_sub_nc_u64_e32 v[10:11], v[10:11], v[12:13]
	v_mul_u64_e32 v[12:13], s[24:25], v[14:15]
	v_add_nc_u64_e32 v[10:11], v[0:1], v[10:11]
	s_delay_alu instid0(VALU_DEP_1) | instskip(NEXT) | instid1(VALU_DEP_3)
	v_mul_u64_e32 v[10:11], s[26:27], v[10:11]
	v_lshl_add_u64 v[12:13], v[12:13], 1, s[46:47]
	s_delay_alu instid0(VALU_DEP_1) | instskip(SKIP_3) | instid1(VALU_DEP_1)
	v_lshl_add_u64 v[10:11], v[10:11], 1, v[12:13]
                                        ; implicit-def: $vgpr12_vgpr13
	global_load_u16 v25, v[10:11], off
	s_wait_xcnt 0x0
	v_add_nc_u64_e32 v[10:11], v[0:1], v[8:9]
	v_or_b32_e32 v3, s49, v11
	s_delay_alu instid0(VALU_DEP_1)
	v_cmpx_ne_u64_e32 0, v[2:3]
	s_xor_b32 s63, exec_lo, s0
	s_cbranch_execz .LBB59_25
; %bb.24:                               ;   in Loop: Header=BB59_3 Depth=1
	s_ashr_i32 s64, s49, 31
	v_dual_mov_b32 v15, v2 :: v_dual_ashrrev_i32 v12, 31, v11
	s_mov_b32 s65, s64
	v_mov_b32_e32 v29, v2
	s_add_nc_u64 s[66:67], s[48:49], s[64:65]
	s_delay_alu instid0(VALU_DEP_2) | instskip(SKIP_1) | instid1(SALU_CYCLE_1)
	v_mov_b32_e32 v13, v12
	s_xor_b64 s[66:67], s[66:67], s[64:65]
	s_cvt_f32_u32 s0, s66
	s_cvt_f32_u32 s2, s67
	s_sub_nc_u64 s[70:71], 0, s[66:67]
	v_add_nc_u64_e32 v[10:11], v[10:11], v[12:13]
	v_mov_b32_e32 v19, v2
	s_fmamk_f32 s0, s2, 0x4f800000, s0
	s_delay_alu instid0(SALU_CYCLE_3) | instskip(NEXT) | instid1(VALU_DEP_2)
	v_s_rcp_f32 s0, s0
	v_xor_b32_e32 v14, v10, v12
	s_delay_alu instid0(VALU_DEP_3) | instskip(SKIP_1) | instid1(TRANS32_DEP_1)
	v_xor_b32_e32 v18, v11, v12
	v_xor_b32_e32 v12, s64, v12
	s_mul_f32 s0, s0, 0x5f7ffffc
	s_delay_alu instid0(SALU_CYCLE_3) | instskip(NEXT) | instid1(SALU_CYCLE_3)
	s_mul_f32 s2, s0, 0x2f800000
	s_trunc_f32 s2, s2
	s_delay_alu instid0(SALU_CYCLE_3) | instskip(SKIP_1) | instid1(SALU_CYCLE_2)
	s_fmamk_f32 s0, s2, 0xcf800000, s0
	s_cvt_u32_f32 s69, s2
	s_cvt_u32_f32 s68, s0
	s_delay_alu instid0(SALU_CYCLE_3) | instskip(NEXT) | instid1(SALU_CYCLE_1)
	s_mul_u64 s[72:73], s[70:71], s[68:69]
	s_mul_hi_u32 s75, s68, s73
	s_mul_i32 s74, s68, s73
	s_mul_hi_u32 s2, s68, s72
	s_mul_i32 s65, s69, s72
	s_add_nc_u64 s[74:75], s[2:3], s[74:75]
	s_mul_hi_u32 s0, s69, s72
	s_mul_hi_u32 s76, s69, s73
	s_add_co_u32 s2, s74, s65
	s_add_co_ci_u32 s2, s75, s0
	s_mul_i32 s72, s69, s73
	s_add_co_ci_u32 s73, s76, 0
	s_delay_alu instid0(SALU_CYCLE_1) | instskip(NEXT) | instid1(SALU_CYCLE_1)
	s_add_nc_u64 s[72:73], s[2:3], s[72:73]
	s_add_co_u32 s68, s68, s72
	s_cselect_b32 s0, -1, 0
	s_delay_alu instid0(SALU_CYCLE_1) | instskip(SKIP_1) | instid1(SALU_CYCLE_1)
	s_cmp_lg_u32 s0, 0
	s_add_co_ci_u32 s69, s69, s73
	s_mul_u64 s[70:71], s[70:71], s[68:69]
	s_delay_alu instid0(SALU_CYCLE_1)
	s_mul_hi_u32 s73, s68, s71
	s_mul_i32 s72, s68, s71
	s_mul_hi_u32 s2, s68, s70
	s_mul_i32 s65, s69, s70
	s_add_nc_u64 s[72:73], s[2:3], s[72:73]
	s_mul_hi_u32 s0, s69, s70
	s_mul_hi_u32 s74, s69, s71
	s_add_co_u32 s2, s72, s65
	s_add_co_ci_u32 s2, s73, s0
	s_mul_i32 s70, s69, s71
	s_add_co_ci_u32 s71, s74, 0
	s_delay_alu instid0(SALU_CYCLE_1) | instskip(NEXT) | instid1(SALU_CYCLE_1)
	s_add_nc_u64 s[70:71], s[2:3], s[70:71]
	s_add_co_u32 s0, s68, s70
	s_cselect_b32 s2, -1, 0
	v_mul_hi_u32 v28, v14, s0
	s_cmp_lg_u32 s2, 0
	s_add_co_ci_u32 s2, s69, s71
	s_and_b64 s[68:69], s[0:1], s[58:59]
	v_mul_u64_e32 v[16:17], s[2:3], v[14:15]
	v_mul_u64_e32 v[10:11], s[68:69], v[18:19]
	;; [unrolled: 1-line block ×3, first 2 shown]
	s_delay_alu instid0(VALU_DEP_3) | instskip(NEXT) | instid1(VALU_DEP_1)
	v_add_nc_u64_e32 v[16:17], v[28:29], v[16:17]
	v_add_co_u32 v3, vcc_lo, v16, v10
	s_delay_alu instid0(VALU_DEP_2) | instskip(NEXT) | instid1(VALU_DEP_4)
	v_add_co_ci_u32_e32 v28, vcc_lo, v17, v11, vcc_lo
	v_add_co_ci_u32_e32 v21, vcc_lo, 0, v21, vcc_lo
	s_delay_alu instid0(VALU_DEP_1) | instskip(NEXT) | instid1(VALU_DEP_1)
	v_add_nc_u64_e32 v[10:11], v[28:29], v[20:21]
	v_mul_u64_e32 v[16:17], s[66:67], v[10:11]
	s_delay_alu instid0(VALU_DEP_1) | instskip(NEXT) | instid1(VALU_DEP_2)
	v_sub_nc_u32_e32 v3, v18, v17
	v_sub_co_u32 v5, vcc_lo, v14, v16
	s_delay_alu instid0(VALU_DEP_1) | instskip(NEXT) | instid1(VALU_DEP_3)
	v_sub_co_ci_u32_e64 v18, null, v18, v17, vcc_lo
	v_subrev_co_ci_u32_e64 v3, null, s67, v3, vcc_lo
	s_delay_alu instid0(VALU_DEP_3) | instskip(SKIP_1) | instid1(VALU_DEP_3)
	v_sub_co_u32 v13, s0, v5, s66
	v_add_nc_u64_e32 v[16:17], 1, v[10:11]
	v_subrev_co_ci_u32_e64 v3, null, 0, v3, s0
	s_delay_alu instid0(VALU_DEP_3) | instskip(SKIP_1) | instid1(VALU_DEP_3)
	v_cmp_le_u32_e32 vcc_lo, s66, v13
	v_cndmask_b32_e64 v13, 0, -1, vcc_lo
	v_cmp_le_u32_e32 vcc_lo, s67, v3
	v_cndmask_b32_e64 v14, 0, -1, vcc_lo
	;; [unrolled: 2-line block ×4, first 2 shown]
	v_cmp_eq_u32_e32 vcc_lo, s67, v3
	v_cndmask_b32_e32 v3, v14, v13, vcc_lo
	v_cmp_eq_u32_e32 vcc_lo, s67, v18
	v_add_nc_u64_e32 v[14:15], 2, v[10:11]
	v_dual_mov_b32 v13, v12 :: v_dual_cndmask_b32 v5, v19, v5, vcc_lo
	s_delay_alu instid0(VALU_DEP_4) | instskip(NEXT) | instid1(VALU_DEP_2)
	v_cmp_ne_u32_e32 vcc_lo, 0, v3
	v_cmp_ne_u32_e64 s0, 0, v5
	s_delay_alu instid0(VALU_DEP_4) | instskip(NEXT) | instid1(VALU_DEP_1)
	v_dual_cndmask_b32 v5, v16, v14, vcc_lo :: v_dual_cndmask_b32 v3, v17, v15, vcc_lo
	v_dual_cndmask_b32 v5, v10, v5, s0 :: v_dual_cndmask_b32 v3, v11, v3, s0
	s_delay_alu instid0(VALU_DEP_1) | instskip(NEXT) | instid1(VALU_DEP_2)
	v_xor_b32_e32 v10, v5, v12
	v_xor_b32_e32 v11, v3, v12
                                        ; implicit-def: $vgpr5
	s_delay_alu instid0(VALU_DEP_1)
	v_sub_nc_u64_e32 v[12:13], v[10:11], v[12:13]
                                        ; implicit-def: $vgpr10_vgpr11
.LBB59_25:                              ;   in Loop: Header=BB59_3 Depth=1
	s_and_not1_saveexec_b32 s0, s63
	s_cbranch_execz .LBB59_27
; %bb.26:                               ;   in Loop: Header=BB59_3 Depth=1
	v_rcp_iflag_f32_e32 v3, v5
	s_sub_co_i32 s2, 0, s48
	v_mov_b32_e32 v13, v2
	s_delay_alu instid0(TRANS32_DEP_1) | instskip(NEXT) | instid1(VALU_DEP_1)
	v_mul_f32_e32 v3, 0x4f7ffffe, v3
	v_cvt_u32_f32_e32 v3, v3
	s_delay_alu instid0(VALU_DEP_1) | instskip(NEXT) | instid1(VALU_DEP_1)
	v_mul_lo_u32 v5, s2, v3
	v_mul_hi_u32 v5, v3, v5
	s_delay_alu instid0(VALU_DEP_1) | instskip(NEXT) | instid1(VALU_DEP_1)
	v_add_nc_u32_e32 v3, v3, v5
	v_mul_hi_u32 v3, v10, v3
	s_delay_alu instid0(VALU_DEP_1) | instskip(NEXT) | instid1(VALU_DEP_1)
	v_mul_lo_u32 v5, v3, s48
	v_dual_sub_nc_u32 v5, v10, v5 :: v_dual_add_nc_u32 v10, 1, v3
	s_delay_alu instid0(VALU_DEP_1) | instskip(SKIP_1) | instid1(VALU_DEP_2)
	v_subrev_nc_u32_e32 v11, s48, v5
	v_cmp_le_u32_e32 vcc_lo, s48, v5
	v_dual_cndmask_b32 v5, v5, v11, vcc_lo :: v_dual_cndmask_b32 v3, v3, v10, vcc_lo
	s_delay_alu instid0(VALU_DEP_1) | instskip(NEXT) | instid1(VALU_DEP_2)
	v_cmp_le_u32_e32 vcc_lo, s48, v5
	v_add_nc_u32_e32 v10, 1, v3
	s_delay_alu instid0(VALU_DEP_1)
	v_cndmask_b32_e32 v12, v3, v10, vcc_lo
.LBB59_27:                              ;   in Loop: Header=BB59_3 Depth=1
	s_or_b32 exec_lo, exec_lo, s0
	s_delay_alu instid0(VALU_DEP_1) | instskip(SKIP_2) | instid1(VALU_DEP_2)
	v_mul_u64_e32 v[10:11], s[48:49], v[12:13]
	v_or_b32_e32 v3, s39, v1
	s_mov_b32 s0, exec_lo
	v_sub_nc_u64_e32 v[8:9], v[8:9], v[10:11]
	v_mul_u64_e32 v[10:11], s[24:25], v[12:13]
	s_delay_alu instid0(VALU_DEP_2) | instskip(NEXT) | instid1(VALU_DEP_1)
	v_add_nc_u64_e32 v[8:9], v[0:1], v[8:9]
	v_mul_u64_e32 v[8:9], s[26:27], v[8:9]
	s_delay_alu instid0(VALU_DEP_3) | instskip(NEXT) | instid1(VALU_DEP_1)
	v_lshl_add_u64 v[10:11], v[10:11], 1, s[46:47]
	v_lshl_add_u64 v[8:9], v[8:9], 1, v[10:11]
	global_load_u16 v20, v[8:9], off
                                        ; implicit-def: $vgpr8_vgpr9
	s_wait_xcnt 0x0
	v_cmpx_ne_u64_e32 0, v[2:3]
	s_xor_b32 s63, exec_lo, s0
	s_cbranch_execz .LBB59_29
; %bb.28:                               ;   in Loop: Header=BB59_3 Depth=1
	s_ashr_i32 s64, s39, 31
	v_dual_mov_b32 v5, v4 :: v_dual_mov_b32 v11, v2
	s_mov_b32 s65, s64
	v_mov_b32_e32 v15, v2
	s_add_nc_u64 s[66:67], s[38:39], s[64:65]
	s_delay_alu instid0(VALU_DEP_2)
	v_add_nc_u64_e32 v[8:9], v[0:1], v[4:5]
	s_xor_b64 s[66:67], s[66:67], s[64:65]
	v_mov_b32_e32 v19, v2
	s_cvt_f32_u32 s0, s66
	s_cvt_f32_u32 s2, s67
	s_sub_nc_u64 s[70:71], 0, s[66:67]
	s_delay_alu instid0(VALU_DEP_2) | instskip(NEXT) | instid1(SALU_CYCLE_1)
	v_xor_b32_e32 v10, v8, v4
	s_fmamk_f32 s0, s2, 0x4f800000, s0
	v_xor_b32_e32 v14, v9, v4
	s_delay_alu instid0(SALU_CYCLE_2) | instskip(NEXT) | instid1(TRANS32_DEP_1)
	v_s_rcp_f32 s0, s0
	s_mul_f32 s0, s0, 0x5f7ffffc
	s_delay_alu instid0(SALU_CYCLE_3) | instskip(NEXT) | instid1(SALU_CYCLE_3)
	s_mul_f32 s2, s0, 0x2f800000
	s_trunc_f32 s2, s2
	s_delay_alu instid0(SALU_CYCLE_3) | instskip(SKIP_1) | instid1(SALU_CYCLE_2)
	s_fmamk_f32 s0, s2, 0xcf800000, s0
	s_cvt_u32_f32 s69, s2
	s_cvt_u32_f32 s68, s0
	s_delay_alu instid0(SALU_CYCLE_3) | instskip(NEXT) | instid1(SALU_CYCLE_1)
	s_mul_u64 s[72:73], s[70:71], s[68:69]
	s_mul_hi_u32 s75, s68, s73
	s_mul_i32 s74, s68, s73
	s_mul_hi_u32 s2, s68, s72
	s_mul_i32 s65, s69, s72
	s_add_nc_u64 s[74:75], s[2:3], s[74:75]
	s_mul_hi_u32 s0, s69, s72
	s_mul_hi_u32 s76, s69, s73
	s_add_co_u32 s2, s74, s65
	s_add_co_ci_u32 s2, s75, s0
	s_mul_i32 s72, s69, s73
	s_add_co_ci_u32 s73, s76, 0
	s_delay_alu instid0(SALU_CYCLE_1) | instskip(NEXT) | instid1(SALU_CYCLE_1)
	s_add_nc_u64 s[72:73], s[2:3], s[72:73]
	s_add_co_u32 s68, s68, s72
	s_cselect_b32 s0, -1, 0
	s_delay_alu instid0(SALU_CYCLE_1) | instskip(SKIP_1) | instid1(SALU_CYCLE_1)
	s_cmp_lg_u32 s0, 0
	s_add_co_ci_u32 s69, s69, s73
	s_mul_u64 s[70:71], s[70:71], s[68:69]
	s_delay_alu instid0(SALU_CYCLE_1)
	s_mul_hi_u32 s73, s68, s71
	s_mul_i32 s72, s68, s71
	s_mul_hi_u32 s2, s68, s70
	s_mul_i32 s65, s69, s70
	s_add_nc_u64 s[72:73], s[2:3], s[72:73]
	s_mul_hi_u32 s0, s69, s70
	s_mul_hi_u32 s74, s69, s71
	s_add_co_u32 s2, s72, s65
	s_add_co_ci_u32 s2, s73, s0
	s_mul_i32 s70, s69, s71
	s_add_co_ci_u32 s71, s74, 0
	s_delay_alu instid0(SALU_CYCLE_1) | instskip(NEXT) | instid1(SALU_CYCLE_1)
	s_add_nc_u64 s[70:71], s[2:3], s[70:71]
	s_add_co_u32 s0, s68, s70
	s_cselect_b32 s2, -1, 0
	v_nop
	v_mul_hi_u32 v18, v10, s0
	s_cmp_lg_u32 s2, 0
	s_add_co_ci_u32 s2, s69, s71
	s_and_b64 s[68:69], s[0:1], s[58:59]
	v_mul_u64_e32 v[12:13], s[2:3], v[10:11]
	v_mul_u64_e32 v[8:9], s[68:69], v[14:15]
	;; [unrolled: 1-line block ×3, first 2 shown]
	s_delay_alu instid0(VALU_DEP_3) | instskip(NEXT) | instid1(VALU_DEP_1)
	v_add_nc_u64_e32 v[12:13], v[18:19], v[12:13]
	v_add_co_u32 v3, vcc_lo, v12, v8
	s_delay_alu instid0(VALU_DEP_2) | instskip(NEXT) | instid1(VALU_DEP_4)
	v_add_co_ci_u32_e32 v18, vcc_lo, v13, v9, vcc_lo
	v_add_co_ci_u32_e32 v17, vcc_lo, 0, v17, vcc_lo
	s_delay_alu instid0(VALU_DEP_1) | instskip(NEXT) | instid1(VALU_DEP_1)
	v_add_nc_u64_e32 v[8:9], v[18:19], v[16:17]
	v_mul_u64_e32 v[12:13], s[66:67], v[8:9]
	s_delay_alu instid0(VALU_DEP_1) | instskip(NEXT) | instid1(VALU_DEP_2)
	v_sub_nc_u32_e32 v3, v14, v13
	v_sub_co_u32 v5, vcc_lo, v10, v12
	s_delay_alu instid0(VALU_DEP_1) | instskip(NEXT) | instid1(VALU_DEP_3)
	v_sub_co_ci_u32_e64 v14, null, v14, v13, vcc_lo
	v_subrev_co_ci_u32_e64 v3, null, s67, v3, vcc_lo
	s_delay_alu instid0(VALU_DEP_3) | instskip(SKIP_1) | instid1(VALU_DEP_3)
	v_sub_co_u32 v10, s0, v5, s66
	v_add_nc_u64_e32 v[12:13], 1, v[8:9]
	v_subrev_co_ci_u32_e64 v3, null, 0, v3, s0
	s_delay_alu instid0(VALU_DEP_3) | instskip(SKIP_1) | instid1(VALU_DEP_3)
	v_cmp_le_u32_e32 vcc_lo, s66, v10
	v_cndmask_b32_e64 v10, 0, -1, vcc_lo
	v_cmp_le_u32_e32 vcc_lo, s67, v3
	v_cndmask_b32_e64 v11, 0, -1, vcc_lo
	;; [unrolled: 2-line block ×4, first 2 shown]
	v_cmp_eq_u32_e32 vcc_lo, s67, v3
	v_cndmask_b32_e32 v3, v11, v10, vcc_lo
	v_cmp_eq_u32_e32 vcc_lo, s67, v14
	v_add_nc_u64_e32 v[10:11], 2, v[8:9]
	v_cndmask_b32_e32 v5, v15, v5, vcc_lo
	s_delay_alu instid0(VALU_DEP_4) | instskip(NEXT) | instid1(VALU_DEP_3)
	v_cmp_ne_u32_e32 vcc_lo, 0, v3
	v_cndmask_b32_e32 v3, v13, v11, vcc_lo
	s_delay_alu instid0(VALU_DEP_3) | instskip(SKIP_1) | instid1(VALU_DEP_1)
	v_cmp_ne_u32_e64 s0, 0, v5
	v_dual_cndmask_b32 v5, v12, v10, vcc_lo :: v_dual_bitop2_b32 v10, s64, v4 bitop3:0x14
	v_dual_cndmask_b32 v3, v9, v3, s0 :: v_dual_cndmask_b32 v5, v8, v5, s0
	s_delay_alu instid0(VALU_DEP_1) | instskip(NEXT) | instid1(VALU_DEP_2)
	v_dual_mov_b32 v11, v10 :: v_dual_bitop2_b32 v9, v3, v10 bitop3:0x14
	v_xor_b32_e32 v8, v5, v10
	s_delay_alu instid0(VALU_DEP_1)
	v_sub_nc_u64_e32 v[8:9], v[8:9], v[10:11]
.LBB59_29:                              ;   in Loop: Header=BB59_3 Depth=1
	s_and_not1_saveexec_b32 s0, s63
	s_cbranch_execz .LBB59_31
; %bb.30:                               ;   in Loop: Header=BB59_3 Depth=1
	v_cvt_f32_u32_e32 v3, s38
	s_sub_co_i32 s2, 0, s38
	s_delay_alu instid0(VALU_DEP_1) | instskip(SKIP_1) | instid1(TRANS32_DEP_1)
	v_rcp_iflag_f32_e32 v3, v3
	v_nop
	v_mul_f32_e32 v3, 0x4f7ffffe, v3
	s_delay_alu instid0(VALU_DEP_1) | instskip(NEXT) | instid1(VALU_DEP_1)
	v_cvt_u32_f32_e32 v3, v3
	v_mul_lo_u32 v5, s2, v3
	s_delay_alu instid0(VALU_DEP_1) | instskip(NEXT) | instid1(VALU_DEP_1)
	v_mul_hi_u32 v5, v3, v5
	v_add_nc_u32_e32 v3, v3, v5
	s_delay_alu instid0(VALU_DEP_1) | instskip(NEXT) | instid1(VALU_DEP_1)
	v_mul_hi_u32 v3, v0, v3
	v_mul_lo_u32 v5, v3, s38
	s_delay_alu instid0(VALU_DEP_1) | instskip(NEXT) | instid1(VALU_DEP_1)
	v_sub_nc_u32_e32 v5, v0, v5
	v_subrev_nc_u32_e32 v9, s38, v5
	v_cmp_le_u32_e32 vcc_lo, s38, v5
	s_delay_alu instid0(VALU_DEP_2) | instskip(NEXT) | instid1(VALU_DEP_1)
	v_dual_cndmask_b32 v5, v5, v9 :: v_dual_add_nc_u32 v8, 1, v3
	v_dual_cndmask_b32 v3, v3, v8, vcc_lo :: v_dual_mov_b32 v9, v2
	s_delay_alu instid0(VALU_DEP_2) | instskip(NEXT) | instid1(VALU_DEP_2)
	v_cmp_le_u32_e32 vcc_lo, s38, v5
	v_add_nc_u32_e32 v8, 1, v3
	s_delay_alu instid0(VALU_DEP_1)
	v_cndmask_b32_e32 v8, v3, v8, vcc_lo
.LBB59_31:                              ;   in Loop: Header=BB59_3 Depth=1
	s_or_b32 exec_lo, exec_lo, s0
	s_delay_alu instid0(VALU_DEP_1) | instskip(SKIP_1) | instid1(VALU_DEP_1)
	v_mad_nc_u64_u32 v[10:11], s56, v8, v[0:1]
                                        ; implicit-def: $vgpr14_vgpr15
	s_mov_b32 s0, exec_lo
	v_mad_u32 v3, s57, v8, v11
	s_delay_alu instid0(VALU_DEP_1) | instskip(SKIP_1) | instid1(VALU_DEP_2)
	v_mad_u32 v11, s56, v9, v3
	v_mul_u64_e32 v[8:9], s[16:17], v[8:9]
	v_mul_u64_e32 v[10:11], s[18:19], v[10:11]
	s_delay_alu instid0(VALU_DEP_2) | instskip(NEXT) | instid1(VALU_DEP_1)
	v_lshl_add_u64 v[8:9], v[8:9], 1, s[36:37]
	v_lshl_add_u64 v[8:9], v[10:11], 1, v[8:9]
	global_load_u16 v28, v[8:9], off
	s_wait_xcnt 0x0
	v_mul_u64_e32 v[8:9], s[54:55], v[6:7]
	s_delay_alu instid0(VALU_DEP_1) | instskip(NEXT) | instid1(VALU_DEP_1)
	v_add_nc_u64_e32 v[18:19], v[0:1], v[8:9]
	v_dual_ashrrev_i32 v12, 31, v19 :: v_dual_bitop2_b32 v3, s31, v19 bitop3:0x54
	s_delay_alu instid0(VALU_DEP_1)
	v_cmpx_ne_u64_e32 0, v[2:3]
	s_xor_b32 s63, exec_lo, s0
	s_cbranch_execz .LBB59_33
; %bb.32:                               ;   in Loop: Header=BB59_3 Depth=1
	s_ashr_i32 s64, s31, 31
	v_dual_mov_b32 v13, v12 :: v_dual_mov_b32 v15, v2
	s_mov_b32 s65, s64
	v_mov_b32_e32 v35, v2
	s_add_nc_u64 s[66:67], s[30:31], s[64:65]
	s_delay_alu instid0(VALU_DEP_2)
	v_add_nc_u64_e32 v[10:11], v[18:19], v[12:13]
	s_xor_b64 s[66:67], s[66:67], s[64:65]
	v_mov_b32_e32 v31, v2
	s_cvt_f32_u32 s0, s66
	s_cvt_f32_u32 s2, s67
	s_sub_nc_u64 s[70:71], 0, s[66:67]
	s_delay_alu instid0(VALU_DEP_2) | instskip(NEXT) | instid1(SALU_CYCLE_1)
	v_xor_b32_e32 v14, v10, v12
	s_fmamk_f32 s0, s2, 0x4f800000, s0
	v_xor_b32_e32 v30, v11, v12
	s_delay_alu instid0(SALU_CYCLE_2) | instskip(NEXT) | instid1(TRANS32_DEP_1)
	v_s_rcp_f32 s0, s0
	s_mul_f32 s0, s0, 0x5f7ffffc
	s_delay_alu instid0(SALU_CYCLE_3) | instskip(NEXT) | instid1(SALU_CYCLE_3)
	s_mul_f32 s2, s0, 0x2f800000
	s_trunc_f32 s2, s2
	s_delay_alu instid0(SALU_CYCLE_3) | instskip(SKIP_1) | instid1(SALU_CYCLE_2)
	s_fmamk_f32 s0, s2, 0xcf800000, s0
	s_cvt_u32_f32 s69, s2
	s_cvt_u32_f32 s68, s0
	s_delay_alu instid0(SALU_CYCLE_3) | instskip(NEXT) | instid1(SALU_CYCLE_1)
	s_mul_u64 s[72:73], s[70:71], s[68:69]
	s_mul_hi_u32 s75, s68, s73
	s_mul_i32 s74, s68, s73
	s_mul_hi_u32 s2, s68, s72
	s_mul_i32 s65, s69, s72
	s_add_nc_u64 s[74:75], s[2:3], s[74:75]
	s_mul_hi_u32 s0, s69, s72
	s_mul_hi_u32 s76, s69, s73
	s_add_co_u32 s2, s74, s65
	s_add_co_ci_u32 s2, s75, s0
	s_mul_i32 s72, s69, s73
	s_add_co_ci_u32 s73, s76, 0
	s_delay_alu instid0(SALU_CYCLE_1) | instskip(NEXT) | instid1(SALU_CYCLE_1)
	s_add_nc_u64 s[72:73], s[2:3], s[72:73]
	s_add_co_u32 s68, s68, s72
	s_cselect_b32 s0, -1, 0
	s_delay_alu instid0(SALU_CYCLE_1) | instskip(SKIP_1) | instid1(SALU_CYCLE_1)
	s_cmp_lg_u32 s0, 0
	s_add_co_ci_u32 s69, s69, s73
	s_mul_u64 s[70:71], s[70:71], s[68:69]
	s_delay_alu instid0(SALU_CYCLE_1)
	s_mul_hi_u32 s73, s68, s71
	s_mul_i32 s72, s68, s71
	s_mul_hi_u32 s2, s68, s70
	s_mul_i32 s65, s69, s70
	s_add_nc_u64 s[72:73], s[2:3], s[72:73]
	s_mul_hi_u32 s0, s69, s70
	s_mul_hi_u32 s74, s69, s71
	s_add_co_u32 s2, s72, s65
	s_add_co_ci_u32 s2, s73, s0
	s_mul_i32 s70, s69, s71
	s_add_co_ci_u32 s71, s74, 0
	s_delay_alu instid0(SALU_CYCLE_1) | instskip(NEXT) | instid1(SALU_CYCLE_1)
	s_add_nc_u64 s[70:71], s[2:3], s[70:71]
	s_add_co_u32 s0, s68, s70
	s_cselect_b32 s2, -1, 0
	v_nop
	v_mul_hi_u32 v34, v14, s0
	s_cmp_lg_u32 s2, 0
	s_add_co_ci_u32 s2, s69, s71
	s_and_b64 s[68:69], s[0:1], s[58:59]
	v_mul_u64_e32 v[16:17], s[2:3], v[14:15]
	v_mul_u64_e32 v[10:11], s[68:69], v[30:31]
	;; [unrolled: 1-line block ×3, first 2 shown]
	s_delay_alu instid0(VALU_DEP_3) | instskip(NEXT) | instid1(VALU_DEP_1)
	v_add_nc_u64_e32 v[16:17], v[34:35], v[16:17]
	v_add_co_u32 v3, vcc_lo, v16, v10
	s_delay_alu instid0(VALU_DEP_2) | instskip(NEXT) | instid1(VALU_DEP_4)
	v_add_co_ci_u32_e32 v34, vcc_lo, v17, v11, vcc_lo
	v_add_co_ci_u32_e32 v33, vcc_lo, 0, v33, vcc_lo
	s_delay_alu instid0(VALU_DEP_1) | instskip(NEXT) | instid1(VALU_DEP_1)
	v_add_nc_u64_e32 v[10:11], v[34:35], v[32:33]
	v_mul_u64_e32 v[16:17], s[66:67], v[10:11]
	s_delay_alu instid0(VALU_DEP_1) | instskip(NEXT) | instid1(VALU_DEP_2)
	v_sub_nc_u32_e32 v3, v30, v17
	v_sub_co_u32 v5, vcc_lo, v14, v16
	s_delay_alu instid0(VALU_DEP_1) | instskip(NEXT) | instid1(VALU_DEP_3)
	v_sub_co_ci_u32_e64 v21, null, v30, v17, vcc_lo
	v_subrev_co_ci_u32_e64 v3, null, s67, v3, vcc_lo
	s_delay_alu instid0(VALU_DEP_3) | instskip(SKIP_1) | instid1(VALU_DEP_3)
	v_sub_co_u32 v13, s0, v5, s66
	v_add_nc_u64_e32 v[16:17], 1, v[10:11]
	v_subrev_co_ci_u32_e64 v3, null, 0, v3, s0
	s_delay_alu instid0(VALU_DEP_3) | instskip(SKIP_1) | instid1(VALU_DEP_3)
	v_cmp_le_u32_e32 vcc_lo, s66, v13
	v_cndmask_b32_e64 v13, 0, -1, vcc_lo
	v_cmp_le_u32_e32 vcc_lo, s67, v3
	v_cndmask_b32_e64 v14, 0, -1, vcc_lo
	;; [unrolled: 2-line block ×4, first 2 shown]
	v_cmp_eq_u32_e32 vcc_lo, s67, v3
	v_cndmask_b32_e32 v3, v14, v13, vcc_lo
	v_cmp_eq_u32_e32 vcc_lo, s67, v21
	v_add_nc_u64_e32 v[14:15], 2, v[10:11]
	v_cndmask_b32_e32 v5, v23, v5, vcc_lo
	s_delay_alu instid0(VALU_DEP_4) | instskip(NEXT) | instid1(VALU_DEP_2)
	v_cmp_ne_u32_e32 vcc_lo, 0, v3
	v_cmp_ne_u32_e64 s0, 0, v5
	s_delay_alu instid0(VALU_DEP_4) | instskip(NEXT) | instid1(VALU_DEP_1)
	v_dual_cndmask_b32 v3, v17, v15, vcc_lo :: v_dual_cndmask_b32 v5, v16, v14, vcc_lo
	v_dual_cndmask_b32 v3, v11, v3, s0 :: v_dual_bitop2_b32 v14, s64, v12 bitop3:0x14
	s_delay_alu instid0(VALU_DEP_2) | instskip(NEXT) | instid1(VALU_DEP_2)
	v_cndmask_b32_e64 v5, v10, v5, s0
	v_dual_mov_b32 v15, v14 :: v_dual_bitop2_b32 v11, v3, v14 bitop3:0x14
	s_delay_alu instid0(VALU_DEP_2) | instskip(NEXT) | instid1(VALU_DEP_1)
	v_xor_b32_e32 v10, v5, v14
	v_sub_nc_u64_e32 v[14:15], v[10:11], v[14:15]
.LBB59_33:                              ;   in Loop: Header=BB59_3 Depth=1
	s_or_saveexec_b32 s0, s63
	v_cvt_f32_u32_e32 v13, s30
	s_xor_b32 exec_lo, exec_lo, s0
	s_cbranch_execz .LBB59_35
; %bb.34:                               ;   in Loop: Header=BB59_3 Depth=1
	s_delay_alu instid0(VALU_DEP_1) | instskip(SKIP_2) | instid1(TRANS32_DEP_1)
	v_rcp_iflag_f32_e32 v3, v13
	s_sub_co_i32 s2, 0, s30
	v_mov_b32_e32 v15, v2
	v_mul_f32_e32 v3, 0x4f7ffffe, v3
	s_delay_alu instid0(VALU_DEP_1) | instskip(NEXT) | instid1(VALU_DEP_1)
	v_cvt_u32_f32_e32 v3, v3
	v_mul_lo_u32 v5, s2, v3
	s_delay_alu instid0(VALU_DEP_1) | instskip(NEXT) | instid1(VALU_DEP_1)
	v_mul_hi_u32 v5, v3, v5
	v_add_nc_u32_e32 v3, v3, v5
	s_delay_alu instid0(VALU_DEP_1) | instskip(NEXT) | instid1(VALU_DEP_1)
	v_mul_hi_u32 v3, v18, v3
	v_mul_lo_u32 v5, v3, s30
	s_delay_alu instid0(VALU_DEP_1) | instskip(NEXT) | instid1(VALU_DEP_1)
	v_dual_add_nc_u32 v10, 1, v3 :: v_dual_sub_nc_u32 v5, v18, v5
	v_subrev_nc_u32_e32 v11, s30, v5
	v_cmp_le_u32_e32 vcc_lo, s30, v5
	s_delay_alu instid0(VALU_DEP_2) | instskip(NEXT) | instid1(VALU_DEP_1)
	v_dual_cndmask_b32 v5, v5, v11, vcc_lo :: v_dual_cndmask_b32 v3, v3, v10, vcc_lo
	v_cmp_le_u32_e32 vcc_lo, s30, v5
	s_delay_alu instid0(VALU_DEP_2) | instskip(NEXT) | instid1(VALU_DEP_1)
	v_add_nc_u32_e32 v10, 1, v3
	v_cndmask_b32_e32 v14, v3, v10, vcc_lo
.LBB59_35:                              ;   in Loop: Header=BB59_3 Depth=1
	s_or_b32 exec_lo, exec_lo, s0
	s_delay_alu instid0(VALU_DEP_1)
	v_mul_u64_e32 v[10:11], s[30:31], v[14:15]
	v_lshlrev_b64_e32 v[16:17], 1, v[6:7]
	v_mul_u64_e32 v[14:15], s[8:9], v[14:15]
	v_alignbit_b32 v5, v7, v6, 31
	s_wait_loadcnt 0x0
	v_cvt_f32_f16_e32 v32, v28
	v_fma_mix_f32 v7, -v24, v24, s1 op_sel_hi:[1,1,0]
	v_cvt_f32_f16_e32 v29, v22
	s_mov_b32 s0, exec_lo
	v_sub_nc_u64_e32 v[30:31], v[8:9], v[10:11]
	v_mad_nc_u64_u32 v[10:11], s4, v16, s[4:5]
	s_delay_alu instid0(VALU_DEP_2) | instskip(SKIP_1) | instid1(VALU_DEP_3)
	v_add_nc_u64_e32 v[34:35], v[0:1], v[30:31]
	v_cvt_f32_f16_e32 v31, v27
	v_mad_u32 v3, s5, v16, v11
	s_delay_alu instid0(VALU_DEP_2) | instskip(NEXT) | instid1(VALU_DEP_4)
	v_sub_f32_e32 v33, 1.0, v31
	v_mul_u64_e32 v[34:35], s[10:11], v[34:35]
	s_delay_alu instid0(VALU_DEP_3) | instskip(SKIP_1) | instid1(VALU_DEP_2)
	v_mad_u32 v11, s4, v5, v3
	v_cvt_f32_f16_e32 v3, v20
	v_add_nc_u64_e32 v[20:21], v[0:1], v[10:11]
	v_mul_f32_e32 v6, v33, v32
	s_delay_alu instid0(VALU_DEP_1) | instskip(NEXT) | instid1(VALU_DEP_1)
	v_dual_mul_f32 v5, v7, v6 :: v_dual_sub_f32 v6, 1.0, v29
	v_mul_f32_e32 v3, v5, v3
	s_delay_alu instid0(VALU_DEP_1) | instskip(SKIP_2) | instid1(VALU_DEP_3)
	v_mul_f32_e32 v23, v6, v3
	v_lshl_add_u64 v[6:7], v[14:15], 1, s[28:29]
	v_dual_ashrrev_i32 v14, 31, v21 :: v_dual_bitop2_b32 v3, s31, v21 bitop3:0x54
	v_fma_mixlo_f16 v30, v23, v22, 0 op_sel_hi:[0,1,0]
	s_delay_alu instid0(VALU_DEP_3)
	v_lshl_add_u64 v[6:7], v[34:35], 1, v[6:7]
                                        ; implicit-def: $vgpr22_vgpr23
	global_store_b16 v[6:7], v30, off
	s_wait_xcnt 0x0
	v_cmpx_ne_u64_e32 0, v[2:3]
	s_xor_b32 s63, exec_lo, s0
	s_cbranch_execz .LBB59_37
; %bb.36:                               ;   in Loop: Header=BB59_3 Depth=1
	s_ashr_i32 s64, s31, 31
	v_dual_mov_b32 v15, v14 :: v_dual_mov_b32 v23, v2
	s_mov_b32 s65, s64
	v_mov_b32_e32 v41, v2
	s_add_nc_u64 s[66:67], s[30:31], s[64:65]
	s_delay_alu instid0(VALU_DEP_2)
	v_add_nc_u64_e32 v[6:7], v[20:21], v[14:15]
	s_xor_b64 s[66:67], s[66:67], s[64:65]
	v_mov_b32_e32 v37, v2
	s_cvt_f32_u32 s0, s66
	s_cvt_f32_u32 s2, s67
	s_sub_nc_u64 s[70:71], 0, s[66:67]
	s_delay_alu instid0(VALU_DEP_2) | instskip(NEXT) | instid1(SALU_CYCLE_1)
	v_xor_b32_e32 v36, v7, v14
	s_fmamk_f32 s0, s2, 0x4f800000, s0
	v_xor_b32_e32 v22, v6, v14
	s_delay_alu instid0(SALU_CYCLE_2) | instskip(NEXT) | instid1(TRANS32_DEP_1)
	v_s_rcp_f32 s0, s0
	s_mul_f32 s0, s0, 0x5f7ffffc
	s_delay_alu instid0(SALU_CYCLE_3) | instskip(NEXT) | instid1(SALU_CYCLE_3)
	s_mul_f32 s2, s0, 0x2f800000
	s_trunc_f32 s2, s2
	s_delay_alu instid0(SALU_CYCLE_3) | instskip(SKIP_1) | instid1(SALU_CYCLE_2)
	s_fmamk_f32 s0, s2, 0xcf800000, s0
	s_cvt_u32_f32 s69, s2
	s_cvt_u32_f32 s68, s0
	s_delay_alu instid0(SALU_CYCLE_3) | instskip(NEXT) | instid1(SALU_CYCLE_1)
	s_mul_u64 s[72:73], s[70:71], s[68:69]
	s_mul_hi_u32 s75, s68, s73
	s_mul_i32 s74, s68, s73
	s_mul_hi_u32 s2, s68, s72
	s_mul_i32 s65, s69, s72
	s_add_nc_u64 s[74:75], s[2:3], s[74:75]
	s_mul_hi_u32 s0, s69, s72
	s_mul_hi_u32 s76, s69, s73
	s_add_co_u32 s2, s74, s65
	s_add_co_ci_u32 s2, s75, s0
	s_mul_i32 s72, s69, s73
	s_add_co_ci_u32 s73, s76, 0
	s_delay_alu instid0(SALU_CYCLE_1) | instskip(NEXT) | instid1(SALU_CYCLE_1)
	s_add_nc_u64 s[72:73], s[2:3], s[72:73]
	s_add_co_u32 s68, s68, s72
	s_cselect_b32 s0, -1, 0
	s_delay_alu instid0(SALU_CYCLE_1) | instskip(SKIP_1) | instid1(SALU_CYCLE_1)
	s_cmp_lg_u32 s0, 0
	s_add_co_ci_u32 s69, s69, s73
	s_mul_u64 s[70:71], s[70:71], s[68:69]
	s_delay_alu instid0(SALU_CYCLE_1)
	s_mul_hi_u32 s73, s68, s71
	s_mul_i32 s72, s68, s71
	s_mul_hi_u32 s2, s68, s70
	s_mul_i32 s65, s69, s70
	s_add_nc_u64 s[72:73], s[2:3], s[72:73]
	s_mul_hi_u32 s0, s69, s70
	s_mul_hi_u32 s74, s69, s71
	s_add_co_u32 s2, s72, s65
	s_add_co_ci_u32 s2, s73, s0
	s_mul_i32 s70, s69, s71
	s_add_co_ci_u32 s71, s74, 0
	s_delay_alu instid0(SALU_CYCLE_1) | instskip(NEXT) | instid1(SALU_CYCLE_1)
	s_add_nc_u64 s[70:71], s[2:3], s[70:71]
	s_add_co_u32 s0, s68, s70
	s_cselect_b32 s2, -1, 0
	v_nop
	v_mul_hi_u32 v40, v22, s0
	s_cmp_lg_u32 s2, 0
	s_add_co_ci_u32 s2, s69, s71
	s_and_b64 s[68:69], s[0:1], s[58:59]
	v_mul_u64_e32 v[34:35], s[2:3], v[22:23]
	v_mul_u64_e32 v[6:7], s[68:69], v[36:37]
	;; [unrolled: 1-line block ×3, first 2 shown]
	s_delay_alu instid0(VALU_DEP_3) | instskip(NEXT) | instid1(VALU_DEP_1)
	v_add_nc_u64_e32 v[34:35], v[40:41], v[34:35]
	v_add_co_u32 v3, vcc_lo, v34, v6
	s_delay_alu instid0(VALU_DEP_2) | instskip(NEXT) | instid1(VALU_DEP_4)
	v_add_co_ci_u32_e32 v40, vcc_lo, v35, v7, vcc_lo
	v_add_co_ci_u32_e32 v39, vcc_lo, 0, v39, vcc_lo
	s_delay_alu instid0(VALU_DEP_1) | instskip(NEXT) | instid1(VALU_DEP_1)
	v_add_nc_u64_e32 v[6:7], v[40:41], v[38:39]
	v_mul_u64_e32 v[34:35], s[66:67], v[6:7]
	s_delay_alu instid0(VALU_DEP_1) | instskip(NEXT) | instid1(VALU_DEP_2)
	v_sub_nc_u32_e32 v3, v36, v35
	v_sub_co_u32 v15, vcc_lo, v22, v34
	s_delay_alu instid0(VALU_DEP_1) | instskip(NEXT) | instid1(VALU_DEP_3)
	v_sub_co_ci_u32_e64 v36, null, v36, v35, vcc_lo
	v_subrev_co_ci_u32_e64 v3, null, s67, v3, vcc_lo
	s_delay_alu instid0(VALU_DEP_3) | instskip(SKIP_1) | instid1(VALU_DEP_3)
	v_sub_co_u32 v22, s0, v15, s66
	v_add_nc_u64_e32 v[34:35], 1, v[6:7]
	v_subrev_co_ci_u32_e64 v3, null, 0, v3, s0
	s_delay_alu instid0(VALU_DEP_3) | instskip(SKIP_1) | instid1(VALU_DEP_3)
	v_cmp_le_u32_e32 vcc_lo, s66, v22
	v_cndmask_b32_e64 v22, 0, -1, vcc_lo
	v_cmp_le_u32_e32 vcc_lo, s67, v3
	v_cndmask_b32_e64 v23, 0, -1, vcc_lo
	;; [unrolled: 2-line block ×4, first 2 shown]
	v_cmp_eq_u32_e32 vcc_lo, s67, v3
	v_cndmask_b32_e32 v3, v23, v22, vcc_lo
	v_cmp_eq_u32_e32 vcc_lo, s67, v36
	v_add_nc_u64_e32 v[22:23], 2, v[6:7]
	v_cndmask_b32_e32 v15, v37, v15, vcc_lo
	s_delay_alu instid0(VALU_DEP_4) | instskip(NEXT) | instid1(VALU_DEP_2)
	v_cmp_ne_u32_e32 vcc_lo, 0, v3
	v_cmp_ne_u32_e64 s0, 0, v15
	s_delay_alu instid0(VALU_DEP_4) | instskip(NEXT) | instid1(VALU_DEP_1)
	v_dual_cndmask_b32 v3, v35, v23, vcc_lo :: v_dual_cndmask_b32 v15, v34, v22, vcc_lo
	v_dual_cndmask_b32 v3, v7, v3, s0 :: v_dual_bitop2_b32 v22, s64, v14 bitop3:0x14
	s_delay_alu instid0(VALU_DEP_1) | instskip(NEXT) | instid1(VALU_DEP_2)
	v_mov_b32_e32 v23, v22
	v_dual_cndmask_b32 v6, v6, v15, s0 :: v_dual_bitop2_b32 v7, v3, v22 bitop3:0x14
	s_delay_alu instid0(VALU_DEP_1) | instskip(NEXT) | instid1(VALU_DEP_1)
	v_xor_b32_e32 v6, v6, v22
	v_sub_nc_u64_e32 v[22:23], v[6:7], v[22:23]
.LBB59_37:                              ;   in Loop: Header=BB59_3 Depth=1
	s_and_not1_saveexec_b32 s0, s63
	s_cbranch_execz .LBB59_39
; %bb.38:                               ;   in Loop: Header=BB59_3 Depth=1
	v_rcp_iflag_f32_e32 v3, v13
	s_sub_co_i32 s2, 0, s30
	v_mov_b32_e32 v23, v2
	s_delay_alu instid0(TRANS32_DEP_1) | instskip(NEXT) | instid1(VALU_DEP_1)
	v_mul_f32_e32 v3, 0x4f7ffffe, v3
	v_cvt_u32_f32_e32 v3, v3
	s_delay_alu instid0(VALU_DEP_1) | instskip(NEXT) | instid1(VALU_DEP_1)
	v_mul_lo_u32 v6, s2, v3
	v_mul_hi_u32 v6, v3, v6
	s_delay_alu instid0(VALU_DEP_1) | instskip(NEXT) | instid1(VALU_DEP_1)
	v_add_nc_u32_e32 v3, v3, v6
	v_mul_hi_u32 v3, v20, v3
	s_delay_alu instid0(VALU_DEP_1) | instskip(NEXT) | instid1(VALU_DEP_1)
	v_mul_lo_u32 v6, v3, s30
	v_dual_add_nc_u32 v7, 1, v3 :: v_dual_sub_nc_u32 v6, v20, v6
	s_delay_alu instid0(VALU_DEP_1) | instskip(SKIP_1) | instid1(VALU_DEP_2)
	v_subrev_nc_u32_e32 v15, s30, v6
	v_cmp_le_u32_e32 vcc_lo, s30, v6
	v_cndmask_b32_e32 v6, v6, v15, vcc_lo
	s_delay_alu instid0(VALU_DEP_4) | instskip(NEXT) | instid1(VALU_DEP_2)
	v_cndmask_b32_e32 v3, v3, v7, vcc_lo
	v_cmp_le_u32_e32 vcc_lo, s30, v6
	s_delay_alu instid0(VALU_DEP_2) | instskip(NEXT) | instid1(VALU_DEP_1)
	v_add_nc_u32_e32 v7, 1, v3
	v_cndmask_b32_e32 v22, v3, v7, vcc_lo
.LBB59_39:                              ;   in Loop: Header=BB59_3 Depth=1
	s_or_b32 exec_lo, exec_lo, s0
	s_delay_alu instid0(VALU_DEP_1) | instskip(SKIP_4) | instid1(VALU_DEP_1)
	v_mul_u64_e32 v[6:7], s[30:31], v[22:23]
	v_add_nc_u64_e32 v[16:17], 2, v[16:17]
	v_cvt_f32_f16_e32 v3, v24
	v_cvt_f32_f16_e32 v15, v25
	s_mov_b32 s0, exec_lo
	v_sub_f32_e32 v3, v15, v3
	v_sub_nc_u64_e32 v[34:35], v[10:11], v[6:7]
	v_mul_u64_e32 v[6:7], s[4:5], v[16:17]
	s_delay_alu instid0(VALU_DEP_2) | instskip(SKIP_1) | instid1(VALU_DEP_2)
	v_add_nc_u64_e32 v[16:17], v[0:1], v[34:35]
	v_mul_u64_e32 v[34:35], s[8:9], v[22:23]
	v_mul_u64_e32 v[16:17], s[10:11], v[16:17]
	s_delay_alu instid0(VALU_DEP_4) | instskip(SKIP_1) | instid1(VALU_DEP_4)
	v_add_nc_u64_e32 v[22:23], v[0:1], v[6:7]
	v_mul_f32_e32 v3, v3, v32
	v_lshl_add_u64 v[24:25], v[34:35], 1, s[28:29]
	s_delay_alu instid0(VALU_DEP_1) | instskip(NEXT) | instid1(VALU_DEP_4)
	v_lshl_add_u64 v[24:25], v[16:17], 1, v[24:25]
	v_ashrrev_i32_e32 v16, 31, v23
	s_delay_alu instid0(VALU_DEP_4) | instskip(SKIP_1) | instid1(VALU_DEP_2)
	v_mul_f32_e32 v15, v33, v3
	v_or_b32_e32 v3, s31, v23
	v_fma_mixlo_f16 v31, v15, v31, 0
	global_store_b16 v[24:25], v31, off
                                        ; implicit-def: $vgpr24_vgpr25
	s_wait_xcnt 0x0
	v_cmpx_ne_u64_e32 0, v[2:3]
	s_xor_b32 s63, exec_lo, s0
	s_cbranch_execz .LBB59_41
; %bb.40:                               ;   in Loop: Header=BB59_3 Depth=1
	s_ashr_i32 s64, s31, 31
	v_dual_mov_b32 v17, v16 :: v_dual_mov_b32 v33, v2
	s_mov_b32 s65, s64
	v_mov_b32_e32 v37, v2
	s_add_nc_u64 s[66:67], s[30:31], s[64:65]
	s_delay_alu instid0(VALU_DEP_2)
	v_add_nc_u64_e32 v[24:25], v[22:23], v[16:17]
	s_xor_b64 s[66:67], s[66:67], s[64:65]
	v_mov_b32_e32 v41, v2
	s_cvt_f32_u32 s0, s66
	s_cvt_f32_u32 s2, s67
	s_sub_nc_u64 s[70:71], 0, s[66:67]
	s_delay_alu instid0(VALU_DEP_2) | instskip(NEXT) | instid1(SALU_CYCLE_1)
	v_xor_b32_e32 v32, v24, v16
	s_fmamk_f32 s0, s2, 0x4f800000, s0
	v_xor_b32_e32 v36, v25, v16
	s_delay_alu instid0(SALU_CYCLE_2) | instskip(NEXT) | instid1(TRANS32_DEP_1)
	v_s_rcp_f32 s0, s0
	s_mul_f32 s0, s0, 0x5f7ffffc
	s_delay_alu instid0(SALU_CYCLE_3) | instskip(NEXT) | instid1(SALU_CYCLE_3)
	s_mul_f32 s2, s0, 0x2f800000
	s_trunc_f32 s2, s2
	s_delay_alu instid0(SALU_CYCLE_3) | instskip(SKIP_1) | instid1(SALU_CYCLE_2)
	s_fmamk_f32 s0, s2, 0xcf800000, s0
	s_cvt_u32_f32 s69, s2
	s_cvt_u32_f32 s68, s0
	s_delay_alu instid0(SALU_CYCLE_3) | instskip(NEXT) | instid1(SALU_CYCLE_1)
	s_mul_u64 s[72:73], s[70:71], s[68:69]
	s_mul_hi_u32 s75, s68, s73
	s_mul_i32 s74, s68, s73
	s_mul_hi_u32 s2, s68, s72
	s_mul_i32 s65, s69, s72
	s_add_nc_u64 s[74:75], s[2:3], s[74:75]
	s_mul_hi_u32 s0, s69, s72
	s_mul_hi_u32 s76, s69, s73
	s_add_co_u32 s2, s74, s65
	s_add_co_ci_u32 s2, s75, s0
	s_mul_i32 s72, s69, s73
	s_add_co_ci_u32 s73, s76, 0
	s_delay_alu instid0(SALU_CYCLE_1) | instskip(NEXT) | instid1(SALU_CYCLE_1)
	s_add_nc_u64 s[72:73], s[2:3], s[72:73]
	s_add_co_u32 s68, s68, s72
	s_cselect_b32 s0, -1, 0
	s_delay_alu instid0(SALU_CYCLE_1) | instskip(SKIP_1) | instid1(SALU_CYCLE_1)
	s_cmp_lg_u32 s0, 0
	s_add_co_ci_u32 s69, s69, s73
	s_mul_u64 s[70:71], s[70:71], s[68:69]
	s_delay_alu instid0(SALU_CYCLE_1)
	s_mul_hi_u32 s73, s68, s71
	s_mul_i32 s72, s68, s71
	s_mul_hi_u32 s2, s68, s70
	s_mul_i32 s65, s69, s70
	s_add_nc_u64 s[72:73], s[2:3], s[72:73]
	s_mul_hi_u32 s0, s69, s70
	s_mul_hi_u32 s74, s69, s71
	s_add_co_u32 s2, s72, s65
	s_add_co_ci_u32 s2, s73, s0
	s_mul_i32 s70, s69, s71
	s_add_co_ci_u32 s71, s74, 0
	s_delay_alu instid0(SALU_CYCLE_1) | instskip(NEXT) | instid1(SALU_CYCLE_1)
	s_add_nc_u64 s[70:71], s[2:3], s[70:71]
	s_add_co_u32 s0, s68, s70
	s_cselect_b32 s2, -1, 0
	v_nop
	v_mul_hi_u32 v40, v32, s0
	s_cmp_lg_u32 s2, 0
	s_add_co_ci_u32 s2, s69, s71
	s_and_b64 s[68:69], s[0:1], s[58:59]
	v_mul_u64_e32 v[34:35], s[2:3], v[32:33]
	v_mul_u64_e32 v[24:25], s[68:69], v[36:37]
	;; [unrolled: 1-line block ×3, first 2 shown]
	s_delay_alu instid0(VALU_DEP_3) | instskip(NEXT) | instid1(VALU_DEP_1)
	v_add_nc_u64_e32 v[34:35], v[40:41], v[34:35]
	v_add_co_u32 v3, vcc_lo, v34, v24
	s_delay_alu instid0(VALU_DEP_2) | instskip(NEXT) | instid1(VALU_DEP_4)
	v_add_co_ci_u32_e32 v40, vcc_lo, v35, v25, vcc_lo
	v_add_co_ci_u32_e32 v39, vcc_lo, 0, v39, vcc_lo
	s_delay_alu instid0(VALU_DEP_1) | instskip(NEXT) | instid1(VALU_DEP_1)
	v_add_nc_u64_e32 v[24:25], v[40:41], v[38:39]
	v_mul_u64_e32 v[34:35], s[66:67], v[24:25]
	s_delay_alu instid0(VALU_DEP_1) | instskip(NEXT) | instid1(VALU_DEP_2)
	v_sub_nc_u32_e32 v3, v36, v35
	v_sub_co_u32 v13, vcc_lo, v32, v34
	s_delay_alu instid0(VALU_DEP_1) | instskip(NEXT) | instid1(VALU_DEP_3)
	v_sub_co_ci_u32_e64 v17, null, v36, v35, vcc_lo
	v_subrev_co_ci_u32_e64 v3, null, s67, v3, vcc_lo
	s_delay_alu instid0(VALU_DEP_3) | instskip(SKIP_1) | instid1(VALU_DEP_3)
	v_sub_co_u32 v15, s0, v13, s66
	v_add_nc_u64_e32 v[34:35], 1, v[24:25]
	v_subrev_co_ci_u32_e64 v3, null, 0, v3, s0
	s_delay_alu instid0(VALU_DEP_3) | instskip(SKIP_1) | instid1(VALU_DEP_3)
	v_cmp_le_u32_e32 vcc_lo, s66, v15
	v_cndmask_b32_e64 v15, 0, -1, vcc_lo
	v_cmp_le_u32_e32 vcc_lo, s67, v3
	v_cndmask_b32_e64 v32, 0, -1, vcc_lo
	;; [unrolled: 2-line block ×4, first 2 shown]
	v_cmp_eq_u32_e32 vcc_lo, s67, v3
	v_cndmask_b32_e32 v3, v32, v15, vcc_lo
	v_cmp_eq_u32_e32 vcc_lo, s67, v17
	v_add_nc_u64_e32 v[32:33], 2, v[24:25]
	v_cndmask_b32_e32 v13, v36, v13, vcc_lo
	s_delay_alu instid0(VALU_DEP_4) | instskip(NEXT) | instid1(VALU_DEP_2)
	v_cmp_ne_u32_e32 vcc_lo, 0, v3
	v_cmp_ne_u32_e64 s0, 0, v13
	s_delay_alu instid0(VALU_DEP_4) | instskip(NEXT) | instid1(VALU_DEP_1)
	v_dual_cndmask_b32 v3, v35, v33, vcc_lo :: v_dual_cndmask_b32 v13, v34, v32, vcc_lo
	v_dual_cndmask_b32 v3, v25, v3, s0 :: v_dual_bitop2_b32 v32, s64, v16 bitop3:0x14
	s_delay_alu instid0(VALU_DEP_2) | instskip(NEXT) | instid1(VALU_DEP_2)
	v_cndmask_b32_e64 v13, v24, v13, s0
	v_dual_mov_b32 v33, v32 :: v_dual_bitop2_b32 v25, v3, v32 bitop3:0x14
	s_delay_alu instid0(VALU_DEP_2) | instskip(NEXT) | instid1(VALU_DEP_1)
	v_xor_b32_e32 v24, v13, v32
                                        ; implicit-def: $vgpr13
	v_sub_nc_u64_e32 v[24:25], v[24:25], v[32:33]
.LBB59_41:                              ;   in Loop: Header=BB59_3 Depth=1
	s_and_not1_saveexec_b32 s0, s63
	s_cbranch_execz .LBB59_43
; %bb.42:                               ;   in Loop: Header=BB59_3 Depth=1
	v_rcp_iflag_f32_e32 v3, v13
	s_sub_co_i32 s2, 0, s30
	v_mov_b32_e32 v25, v2
	s_delay_alu instid0(TRANS32_DEP_1) | instskip(NEXT) | instid1(VALU_DEP_1)
	v_mul_f32_e32 v3, 0x4f7ffffe, v3
	v_cvt_u32_f32_e32 v3, v3
	s_delay_alu instid0(VALU_DEP_1) | instskip(NEXT) | instid1(VALU_DEP_1)
	v_mul_lo_u32 v13, s2, v3
	v_mul_hi_u32 v13, v3, v13
	s_delay_alu instid0(VALU_DEP_1) | instskip(NEXT) | instid1(VALU_DEP_1)
	v_add_nc_u32_e32 v3, v3, v13
	v_mul_hi_u32 v3, v22, v3
	s_delay_alu instid0(VALU_DEP_1) | instskip(NEXT) | instid1(VALU_DEP_1)
	v_mul_lo_u32 v13, v3, s30
	v_sub_nc_u32_e32 v13, v22, v13
	s_delay_alu instid0(VALU_DEP_1) | instskip(SKIP_1) | instid1(VALU_DEP_2)
	v_subrev_nc_u32_e32 v17, s30, v13
	v_cmp_le_u32_e32 vcc_lo, s30, v13
	v_dual_add_nc_u32 v15, 1, v3 :: v_dual_cndmask_b32 v13, v13, v17, vcc_lo
	s_delay_alu instid0(VALU_DEP_1) | instskip(NEXT) | instid1(VALU_DEP_2)
	v_cndmask_b32_e32 v3, v3, v15, vcc_lo
	v_cmp_le_u32_e32 vcc_lo, s30, v13
	s_delay_alu instid0(VALU_DEP_2) | instskip(NEXT) | instid1(VALU_DEP_1)
	v_add_nc_u32_e32 v15, 1, v3
	v_cndmask_b32_e32 v24, v3, v15, vcc_lo
.LBB59_43:                              ;   in Loop: Header=BB59_3 Depth=1
	s_or_b32 exec_lo, exec_lo, s0
	s_delay_alu instid0(VALU_DEP_1) | instskip(SKIP_4) | instid1(VALU_DEP_4)
	v_mul_u64_e32 v[32:33], s[30:31], v[24:25]
	v_mul_u64_e32 v[24:25], s[8:9], v[24:25]
	v_or_b32_e32 v3, s41, v19
	v_cvt_f16_f32_e32 v13, v5
	s_mov_b32 s0, exec_lo
	v_sub_nc_u64_e32 v[32:33], v[6:7], v[32:33]
	s_delay_alu instid0(VALU_DEP_4) | instskip(NEXT) | instid1(VALU_DEP_2)
	v_lshl_add_u64 v[24:25], v[24:25], 1, s[28:29]
	v_add_nc_u64_e32 v[32:33], v[0:1], v[32:33]
	s_delay_alu instid0(VALU_DEP_1) | instskip(NEXT) | instid1(VALU_DEP_1)
	v_mul_u64_e32 v[32:33], s[10:11], v[32:33]
	v_lshl_add_u64 v[24:25], v[32:33], 1, v[24:25]
	global_store_b16 v[24:25], v13, off
                                        ; implicit-def: $vgpr24_vgpr25
	s_wait_xcnt 0x0
	v_cmpx_ne_u64_e32 0, v[2:3]
	s_xor_b32 s63, exec_lo, s0
	s_cbranch_execz .LBB59_45
; %bb.44:                               ;   in Loop: Header=BB59_3 Depth=1
	s_ashr_i32 s64, s41, 31
	v_dual_mov_b32 v13, v12 :: v_dual_mov_b32 v25, v2
	s_mov_b32 s65, s64
	v_mov_b32_e32 v39, v2
	s_add_nc_u64 s[66:67], s[40:41], s[64:65]
	s_delay_alu instid0(VALU_DEP_2)
	v_add_nc_u64_e32 v[18:19], v[18:19], v[12:13]
	s_xor_b64 s[66:67], s[66:67], s[64:65]
	v_mov_b32_e32 v35, v2
	s_cvt_f32_u32 s0, s66
	s_cvt_f32_u32 s2, s67
	s_sub_nc_u64 s[70:71], 0, s[66:67]
	s_delay_alu instid0(VALU_DEP_2) | instskip(NEXT) | instid1(SALU_CYCLE_1)
	v_xor_b32_e32 v24, v18, v12
	s_fmamk_f32 s0, s2, 0x4f800000, s0
	v_xor_b32_e32 v34, v19, v12
	v_xor_b32_e32 v12, s64, v12
	s_delay_alu instid0(SALU_CYCLE_1) | instskip(NEXT) | instid1(TRANS32_DEP_1)
	v_s_rcp_f32 s0, s0
	s_mul_f32 s0, s0, 0x5f7ffffc
	s_delay_alu instid0(SALU_CYCLE_3) | instskip(NEXT) | instid1(SALU_CYCLE_3)
	s_mul_f32 s2, s0, 0x2f800000
	s_trunc_f32 s2, s2
	s_delay_alu instid0(SALU_CYCLE_3) | instskip(SKIP_1) | instid1(SALU_CYCLE_2)
	s_fmamk_f32 s0, s2, 0xcf800000, s0
	s_cvt_u32_f32 s69, s2
	s_cvt_u32_f32 s68, s0
	s_delay_alu instid0(SALU_CYCLE_3) | instskip(NEXT) | instid1(SALU_CYCLE_1)
	s_mul_u64 s[72:73], s[70:71], s[68:69]
	s_mul_hi_u32 s75, s68, s73
	s_mul_i32 s74, s68, s73
	s_mul_hi_u32 s2, s68, s72
	s_mul_i32 s65, s69, s72
	s_add_nc_u64 s[74:75], s[2:3], s[74:75]
	s_mul_hi_u32 s0, s69, s72
	s_mul_hi_u32 s76, s69, s73
	s_add_co_u32 s2, s74, s65
	s_add_co_ci_u32 s2, s75, s0
	s_mul_i32 s72, s69, s73
	s_add_co_ci_u32 s73, s76, 0
	s_delay_alu instid0(SALU_CYCLE_1) | instskip(NEXT) | instid1(SALU_CYCLE_1)
	s_add_nc_u64 s[72:73], s[2:3], s[72:73]
	s_add_co_u32 s68, s68, s72
	s_cselect_b32 s0, -1, 0
	s_delay_alu instid0(SALU_CYCLE_1) | instskip(SKIP_1) | instid1(SALU_CYCLE_1)
	s_cmp_lg_u32 s0, 0
	s_add_co_ci_u32 s69, s69, s73
	s_mul_u64 s[70:71], s[70:71], s[68:69]
	s_delay_alu instid0(SALU_CYCLE_1)
	s_mul_hi_u32 s73, s68, s71
	s_mul_i32 s72, s68, s71
	s_mul_hi_u32 s2, s68, s70
	s_mul_i32 s65, s69, s70
	s_add_nc_u64 s[72:73], s[2:3], s[72:73]
	s_mul_hi_u32 s0, s69, s70
	s_mul_hi_u32 s74, s69, s71
	s_add_co_u32 s2, s72, s65
	s_add_co_ci_u32 s2, s73, s0
	s_mul_i32 s70, s69, s71
	s_add_co_ci_u32 s71, s74, 0
	s_delay_alu instid0(SALU_CYCLE_1) | instskip(NEXT) | instid1(SALU_CYCLE_1)
	s_add_nc_u64 s[70:71], s[2:3], s[70:71]
	s_add_co_u32 s0, s68, s70
	s_cselect_b32 s2, -1, 0
	v_nop
	v_mul_hi_u32 v38, v24, s0
	s_cmp_lg_u32 s2, 0
	s_add_co_ci_u32 s2, s69, s71
	s_and_b64 s[68:69], s[0:1], s[58:59]
	v_mul_u64_e32 v[32:33], s[2:3], v[24:25]
	v_mul_u64_e32 v[18:19], s[68:69], v[34:35]
	;; [unrolled: 1-line block ×3, first 2 shown]
	s_delay_alu instid0(VALU_DEP_3) | instskip(NEXT) | instid1(VALU_DEP_1)
	v_add_nc_u64_e32 v[32:33], v[38:39], v[32:33]
	v_add_co_u32 v3, vcc_lo, v32, v18
	s_delay_alu instid0(VALU_DEP_2) | instskip(NEXT) | instid1(VALU_DEP_4)
	v_add_co_ci_u32_e32 v38, vcc_lo, v33, v19, vcc_lo
	v_add_co_ci_u32_e32 v37, vcc_lo, 0, v37, vcc_lo
	s_delay_alu instid0(VALU_DEP_1) | instskip(NEXT) | instid1(VALU_DEP_1)
	v_add_nc_u64_e32 v[18:19], v[38:39], v[36:37]
	v_mul_u64_e32 v[32:33], s[66:67], v[18:19]
	s_delay_alu instid0(VALU_DEP_1) | instskip(NEXT) | instid1(VALU_DEP_2)
	v_sub_nc_u32_e32 v3, v34, v33
	v_sub_co_u32 v13, vcc_lo, v24, v32
	s_delay_alu instid0(VALU_DEP_1) | instskip(NEXT) | instid1(VALU_DEP_3)
	v_sub_co_ci_u32_e64 v17, null, v34, v33, vcc_lo
	v_subrev_co_ci_u32_e64 v3, null, s67, v3, vcc_lo
	s_delay_alu instid0(VALU_DEP_3) | instskip(SKIP_1) | instid1(VALU_DEP_3)
	v_sub_co_u32 v15, s0, v13, s66
	v_add_nc_u64_e32 v[32:33], 1, v[18:19]
	v_subrev_co_ci_u32_e64 v3, null, 0, v3, s0
	s_delay_alu instid0(VALU_DEP_3) | instskip(SKIP_1) | instid1(VALU_DEP_3)
	v_cmp_le_u32_e32 vcc_lo, s66, v15
	v_cndmask_b32_e64 v15, 0, -1, vcc_lo
	v_cmp_le_u32_e32 vcc_lo, s67, v3
	v_cndmask_b32_e64 v24, 0, -1, vcc_lo
	;; [unrolled: 2-line block ×4, first 2 shown]
	v_cmp_eq_u32_e32 vcc_lo, s67, v3
	v_cndmask_b32_e32 v3, v24, v15, vcc_lo
	v_cmp_eq_u32_e32 vcc_lo, s67, v17
	v_add_nc_u64_e32 v[24:25], 2, v[18:19]
	v_cndmask_b32_e32 v13, v34, v13, vcc_lo
	s_delay_alu instid0(VALU_DEP_4) | instskip(NEXT) | instid1(VALU_DEP_2)
	v_cmp_ne_u32_e32 vcc_lo, 0, v3
	v_cmp_ne_u32_e64 s0, 0, v13
	s_delay_alu instid0(VALU_DEP_4) | instskip(NEXT) | instid1(VALU_DEP_1)
	v_dual_cndmask_b32 v3, v33, v25, vcc_lo :: v_dual_cndmask_b32 v13, v32, v24, vcc_lo
	v_dual_cndmask_b32 v3, v19, v3, s0 :: v_dual_cndmask_b32 v15, v18, v13, s0
	s_delay_alu instid0(VALU_DEP_1) | instskip(NEXT) | instid1(VALU_DEP_2)
	v_dual_mov_b32 v13, v12 :: v_dual_bitop2_b32 v19, v3, v12 bitop3:0x14
	v_xor_b32_e32 v18, v15, v12
	s_delay_alu instid0(VALU_DEP_1)
	v_sub_nc_u64_e32 v[24:25], v[18:19], v[12:13]
                                        ; implicit-def: $vgpr18_vgpr19
.LBB59_45:                              ;   in Loop: Header=BB59_3 Depth=1
	s_or_saveexec_b32 s0, s63
	v_cvt_f32_u32_e32 v12, s40
	s_xor_b32 exec_lo, exec_lo, s0
	s_cbranch_execz .LBB59_47
; %bb.46:                               ;   in Loop: Header=BB59_3 Depth=1
	s_delay_alu instid0(VALU_DEP_1) | instskip(SKIP_2) | instid1(TRANS32_DEP_1)
	v_rcp_iflag_f32_e32 v3, v12
	s_sub_co_i32 s2, 0, s40
	v_mov_b32_e32 v25, v2
	v_mul_f32_e32 v3, 0x4f7ffffe, v3
	s_delay_alu instid0(VALU_DEP_1) | instskip(NEXT) | instid1(VALU_DEP_1)
	v_cvt_u32_f32_e32 v3, v3
	v_mul_lo_u32 v13, s2, v3
	s_delay_alu instid0(VALU_DEP_1) | instskip(NEXT) | instid1(VALU_DEP_1)
	v_mul_hi_u32 v13, v3, v13
	v_add_nc_u32_e32 v3, v3, v13
	s_delay_alu instid0(VALU_DEP_1) | instskip(NEXT) | instid1(VALU_DEP_1)
	v_mul_hi_u32 v3, v18, v3
	v_mul_lo_u32 v13, v3, s40
	s_delay_alu instid0(VALU_DEP_1) | instskip(NEXT) | instid1(VALU_DEP_1)
	v_sub_nc_u32_e32 v13, v18, v13
	v_subrev_nc_u32_e32 v17, s40, v13
	v_cmp_le_u32_e32 vcc_lo, s40, v13
	s_delay_alu instid0(VALU_DEP_2) | instskip(NEXT) | instid1(VALU_DEP_1)
	v_dual_add_nc_u32 v15, 1, v3 :: v_dual_cndmask_b32 v13, v13, v17, vcc_lo
	v_cndmask_b32_e32 v3, v3, v15, vcc_lo
	s_delay_alu instid0(VALU_DEP_2) | instskip(NEXT) | instid1(VALU_DEP_2)
	v_cmp_le_u32_e32 vcc_lo, s40, v13
	v_add_nc_u32_e32 v15, 1, v3
	s_delay_alu instid0(VALU_DEP_1)
	v_cndmask_b32_e32 v24, v3, v15, vcc_lo
.LBB59_47:                              ;   in Loop: Header=BB59_3 Depth=1
	s_or_b32 exec_lo, exec_lo, s0
	s_delay_alu instid0(VALU_DEP_1) | instskip(SKIP_2) | instid1(VALU_DEP_2)
	v_mul_u64_e32 v[18:19], s[40:41], v[24:25]
	v_or_b32_e32 v3, s41, v21
	s_mov_b32 s0, exec_lo
	v_sub_nc_u64_e32 v[8:9], v[8:9], v[18:19]
	v_mul_u64_e32 v[18:19], s[12:13], v[24:25]
	s_delay_alu instid0(VALU_DEP_2) | instskip(NEXT) | instid1(VALU_DEP_1)
	v_add_nc_u64_e32 v[8:9], v[0:1], v[8:9]
	v_mul_u64_e32 v[8:9], s[14:15], v[8:9]
	s_delay_alu instid0(VALU_DEP_3) | instskip(NEXT) | instid1(VALU_DEP_1)
	v_lshl_add_u64 v[18:19], v[18:19], 1, s[34:35]
	v_lshl_add_u64 v[8:9], v[8:9], 1, v[18:19]
	global_store_b16 v[8:9], v30, off
                                        ; implicit-def: $vgpr8_vgpr9
	s_wait_xcnt 0x0
	v_cmpx_ne_u64_e32 0, v[2:3]
	s_xor_b32 s63, exec_lo, s0
	s_cbranch_execz .LBB59_49
; %bb.48:                               ;   in Loop: Header=BB59_3 Depth=1
	s_ashr_i32 s64, s41, 31
	v_dual_mov_b32 v15, v14 :: v_dual_mov_b32 v19, v2
	s_mov_b32 s65, s64
	v_mov_b32_e32 v25, v2
	s_add_nc_u64 s[66:67], s[40:41], s[64:65]
	s_delay_alu instid0(VALU_DEP_2)
	v_add_nc_u64_e32 v[8:9], v[20:21], v[14:15]
	s_xor_b64 s[66:67], s[66:67], s[64:65]
	v_mov_b32_e32 v35, v2
	s_cvt_f32_u32 s0, s66
	s_cvt_f32_u32 s2, s67
	s_sub_nc_u64 s[70:71], 0, s[66:67]
	s_delay_alu instid0(VALU_DEP_2) | instskip(NEXT) | instid1(SALU_CYCLE_1)
	v_xor_b32_e32 v18, v8, v14
	s_fmamk_f32 s0, s2, 0x4f800000, s0
	v_xor_b32_e32 v24, v9, v14
	v_xor_b32_e32 v14, s64, v14
	s_delay_alu instid0(SALU_CYCLE_1) | instskip(NEXT) | instid1(TRANS32_DEP_1)
	v_s_rcp_f32 s0, s0
	s_mul_f32 s0, s0, 0x5f7ffffc
	s_delay_alu instid0(SALU_CYCLE_3) | instskip(NEXT) | instid1(SALU_CYCLE_3)
	s_mul_f32 s2, s0, 0x2f800000
	s_trunc_f32 s2, s2
	s_delay_alu instid0(SALU_CYCLE_3) | instskip(SKIP_1) | instid1(SALU_CYCLE_2)
	s_fmamk_f32 s0, s2, 0xcf800000, s0
	s_cvt_u32_f32 s69, s2
	s_cvt_u32_f32 s68, s0
	s_delay_alu instid0(SALU_CYCLE_3) | instskip(NEXT) | instid1(SALU_CYCLE_1)
	s_mul_u64 s[72:73], s[70:71], s[68:69]
	s_mul_hi_u32 s75, s68, s73
	s_mul_i32 s74, s68, s73
	s_mul_hi_u32 s2, s68, s72
	s_mul_i32 s65, s69, s72
	s_add_nc_u64 s[74:75], s[2:3], s[74:75]
	s_mul_hi_u32 s0, s69, s72
	s_mul_hi_u32 s76, s69, s73
	s_add_co_u32 s2, s74, s65
	s_add_co_ci_u32 s2, s75, s0
	s_mul_i32 s72, s69, s73
	s_add_co_ci_u32 s73, s76, 0
	s_delay_alu instid0(SALU_CYCLE_1) | instskip(NEXT) | instid1(SALU_CYCLE_1)
	s_add_nc_u64 s[72:73], s[2:3], s[72:73]
	s_add_co_u32 s68, s68, s72
	s_cselect_b32 s0, -1, 0
	s_delay_alu instid0(SALU_CYCLE_1) | instskip(SKIP_1) | instid1(SALU_CYCLE_1)
	s_cmp_lg_u32 s0, 0
	s_add_co_ci_u32 s69, s69, s73
	s_mul_u64 s[70:71], s[70:71], s[68:69]
	s_delay_alu instid0(SALU_CYCLE_1)
	s_mul_hi_u32 s73, s68, s71
	s_mul_i32 s72, s68, s71
	s_mul_hi_u32 s2, s68, s70
	s_mul_i32 s65, s69, s70
	s_add_nc_u64 s[72:73], s[2:3], s[72:73]
	s_mul_hi_u32 s0, s69, s70
	s_mul_hi_u32 s74, s69, s71
	s_add_co_u32 s2, s72, s65
	s_add_co_ci_u32 s2, s73, s0
	s_mul_i32 s70, s69, s71
	s_add_co_ci_u32 s71, s74, 0
	s_delay_alu instid0(SALU_CYCLE_1) | instskip(NEXT) | instid1(SALU_CYCLE_1)
	s_add_nc_u64 s[70:71], s[2:3], s[70:71]
	s_add_co_u32 s0, s68, s70
	s_cselect_b32 s2, -1, 0
	v_nop
	v_mul_hi_u32 v34, v18, s0
	s_cmp_lg_u32 s2, 0
	s_add_co_ci_u32 s2, s69, s71
	s_and_b64 s[68:69], s[0:1], s[58:59]
	v_mul_u64_e32 v[20:21], s[2:3], v[18:19]
	v_mul_u64_e32 v[8:9], s[68:69], v[24:25]
	;; [unrolled: 1-line block ×3, first 2 shown]
	s_delay_alu instid0(VALU_DEP_3) | instskip(NEXT) | instid1(VALU_DEP_1)
	v_add_nc_u64_e32 v[20:21], v[34:35], v[20:21]
	v_add_co_u32 v3, vcc_lo, v20, v8
	s_delay_alu instid0(VALU_DEP_2) | instskip(NEXT) | instid1(VALU_DEP_4)
	v_add_co_ci_u32_e32 v34, vcc_lo, v21, v9, vcc_lo
	v_add_co_ci_u32_e32 v33, vcc_lo, 0, v33, vcc_lo
	s_delay_alu instid0(VALU_DEP_1) | instskip(NEXT) | instid1(VALU_DEP_1)
	v_add_nc_u64_e32 v[8:9], v[34:35], v[32:33]
	v_mul_u64_e32 v[20:21], s[66:67], v[8:9]
	s_delay_alu instid0(VALU_DEP_1) | instskip(NEXT) | instid1(VALU_DEP_2)
	v_sub_nc_u32_e32 v3, v24, v21
	v_sub_co_u32 v13, vcc_lo, v18, v20
	s_delay_alu instid0(VALU_DEP_1) | instskip(NEXT) | instid1(VALU_DEP_3)
	v_sub_co_ci_u32_e64 v17, null, v24, v21, vcc_lo
	v_subrev_co_ci_u32_e64 v3, null, s67, v3, vcc_lo
	s_delay_alu instid0(VALU_DEP_3) | instskip(SKIP_1) | instid1(VALU_DEP_3)
	v_sub_co_u32 v15, s0, v13, s66
	v_add_nc_u64_e32 v[20:21], 1, v[8:9]
	v_subrev_co_ci_u32_e64 v3, null, 0, v3, s0
	s_delay_alu instid0(VALU_DEP_3) | instskip(SKIP_1) | instid1(VALU_DEP_3)
	v_cmp_le_u32_e32 vcc_lo, s66, v15
	v_cndmask_b32_e64 v15, 0, -1, vcc_lo
	v_cmp_le_u32_e32 vcc_lo, s67, v3
	v_cndmask_b32_e64 v18, 0, -1, vcc_lo
	;; [unrolled: 2-line block ×4, first 2 shown]
	v_cmp_eq_u32_e32 vcc_lo, s67, v3
	v_cndmask_b32_e32 v3, v18, v15, vcc_lo
	v_cmp_eq_u32_e32 vcc_lo, s67, v17
	v_add_nc_u64_e32 v[18:19], 2, v[8:9]
	v_cndmask_b32_e32 v13, v24, v13, vcc_lo
	s_delay_alu instid0(VALU_DEP_4) | instskip(NEXT) | instid1(VALU_DEP_2)
	v_cmp_ne_u32_e32 vcc_lo, 0, v3
	v_cmp_ne_u32_e64 s0, 0, v13
	s_delay_alu instid0(VALU_DEP_4) | instskip(NEXT) | instid1(VALU_DEP_1)
	v_dual_cndmask_b32 v3, v21, v19, vcc_lo :: v_dual_cndmask_b32 v13, v20, v18, vcc_lo
                                        ; implicit-def: $vgpr20_vgpr21
	v_dual_cndmask_b32 v3, v9, v3, s0 :: v_dual_cndmask_b32 v8, v8, v13, s0
	s_delay_alu instid0(VALU_DEP_1) | instskip(NEXT) | instid1(VALU_DEP_2)
	v_dual_mov_b32 v15, v14 :: v_dual_bitop2_b32 v9, v3, v14 bitop3:0x14
	v_xor_b32_e32 v8, v8, v14
	s_delay_alu instid0(VALU_DEP_1)
	v_sub_nc_u64_e32 v[8:9], v[8:9], v[14:15]
.LBB59_49:                              ;   in Loop: Header=BB59_3 Depth=1
	s_and_not1_saveexec_b32 s0, s63
	s_cbranch_execz .LBB59_51
; %bb.50:                               ;   in Loop: Header=BB59_3 Depth=1
	v_rcp_iflag_f32_e32 v3, v12
	s_sub_co_i32 s2, 0, s40
	v_nop
	s_delay_alu instid0(TRANS32_DEP_1) | instskip(NEXT) | instid1(VALU_DEP_1)
	v_mul_f32_e32 v3, 0x4f7ffffe, v3
	v_cvt_u32_f32_e32 v3, v3
	s_delay_alu instid0(VALU_DEP_1) | instskip(NEXT) | instid1(VALU_DEP_1)
	v_mul_lo_u32 v8, s2, v3
	v_mul_hi_u32 v8, v3, v8
	s_delay_alu instid0(VALU_DEP_1) | instskip(NEXT) | instid1(VALU_DEP_1)
	v_add_nc_u32_e32 v3, v3, v8
	v_mul_hi_u32 v3, v20, v3
	s_delay_alu instid0(VALU_DEP_1) | instskip(NEXT) | instid1(VALU_DEP_1)
	v_mul_lo_u32 v8, v3, s40
	v_dual_add_nc_u32 v9, 1, v3 :: v_dual_sub_nc_u32 v8, v20, v8
	s_delay_alu instid0(VALU_DEP_1) | instskip(SKIP_1) | instid1(VALU_DEP_2)
	v_subrev_nc_u32_e32 v13, s40, v8
	v_cmp_le_u32_e32 vcc_lo, s40, v8
	v_cndmask_b32_e32 v8, v8, v13, vcc_lo
	s_delay_alu instid0(VALU_DEP_4) | instskip(NEXT) | instid1(VALU_DEP_2)
	v_cndmask_b32_e32 v3, v3, v9, vcc_lo
	v_cmp_le_u32_e32 vcc_lo, s40, v8
	s_delay_alu instid0(VALU_DEP_2) | instskip(NEXT) | instid1(VALU_DEP_1)
	v_add_nc_u32_e32 v9, 1, v3
	v_dual_cndmask_b32 v8, v3, v9 :: v_dual_mov_b32 v9, v2
.LBB59_51:                              ;   in Loop: Header=BB59_3 Depth=1
	s_or_b32 exec_lo, exec_lo, s0
	s_delay_alu instid0(VALU_DEP_1) | instskip(SKIP_3) | instid1(VALU_DEP_3)
	v_mul_u64_e32 v[14:15], s[40:41], v[8:9]
	v_mul_u64_e32 v[8:9], s[12:13], v[8:9]
	v_or_b32_e32 v3, s41, v23
	s_mov_b32 s0, exec_lo
	v_sub_nc_u64_e32 v[10:11], v[10:11], v[14:15]
	s_delay_alu instid0(VALU_DEP_3) | instskip(NEXT) | instid1(VALU_DEP_2)
	v_lshl_add_u64 v[8:9], v[8:9], 1, s[34:35]
	v_add_nc_u64_e32 v[10:11], v[0:1], v[10:11]
	s_delay_alu instid0(VALU_DEP_1) | instskip(NEXT) | instid1(VALU_DEP_1)
	v_mul_u64_e32 v[10:11], s[14:15], v[10:11]
	v_lshl_add_u64 v[8:9], v[10:11], 1, v[8:9]
	global_store_b16 v[8:9], v31, off
                                        ; implicit-def: $vgpr8_vgpr9
	s_wait_xcnt 0x0
	v_cmpx_ne_u64_e32 0, v[2:3]
	s_xor_b32 s63, exec_lo, s0
	s_cbranch_execz .LBB59_53
; %bb.52:                               ;   in Loop: Header=BB59_3 Depth=1
	s_ashr_i32 s64, s41, 31
	v_dual_mov_b32 v17, v16 :: v_dual_mov_b32 v11, v2
	s_mov_b32 s65, s64
	v_mov_b32_e32 v15, v2
	s_add_nc_u64 s[66:67], s[40:41], s[64:65]
	s_delay_alu instid0(VALU_DEP_2)
	v_add_nc_u64_e32 v[8:9], v[22:23], v[16:17]
	s_xor_b64 s[66:67], s[66:67], s[64:65]
	v_mov_b32_e32 v21, v2
	s_cvt_f32_u32 s0, s66
	s_cvt_f32_u32 s2, s67
	s_sub_nc_u64 s[70:71], 0, s[66:67]
                                        ; implicit-def: $vgpr22_vgpr23
	s_delay_alu instid0(VALU_DEP_2) | instskip(NEXT) | instid1(SALU_CYCLE_1)
	v_xor_b32_e32 v10, v8, v16
	s_fmamk_f32 s0, s2, 0x4f800000, s0
	v_xor_b32_e32 v14, v9, v16
	s_delay_alu instid0(SALU_CYCLE_2) | instskip(NEXT) | instid1(TRANS32_DEP_1)
	v_s_rcp_f32 s0, s0
	s_mul_f32 s0, s0, 0x5f7ffffc
	s_delay_alu instid0(SALU_CYCLE_3) | instskip(NEXT) | instid1(SALU_CYCLE_3)
	s_mul_f32 s2, s0, 0x2f800000
	s_trunc_f32 s2, s2
	s_delay_alu instid0(SALU_CYCLE_3) | instskip(SKIP_1) | instid1(SALU_CYCLE_2)
	s_fmamk_f32 s0, s2, 0xcf800000, s0
	s_cvt_u32_f32 s69, s2
	s_cvt_u32_f32 s68, s0
	s_delay_alu instid0(SALU_CYCLE_3) | instskip(NEXT) | instid1(SALU_CYCLE_1)
	s_mul_u64 s[72:73], s[70:71], s[68:69]
	s_mul_hi_u32 s75, s68, s73
	s_mul_i32 s74, s68, s73
	s_mul_hi_u32 s2, s68, s72
	s_mul_i32 s65, s69, s72
	s_add_nc_u64 s[74:75], s[2:3], s[74:75]
	s_mul_hi_u32 s0, s69, s72
	s_mul_hi_u32 s76, s69, s73
	s_add_co_u32 s2, s74, s65
	s_add_co_ci_u32 s2, s75, s0
	s_mul_i32 s72, s69, s73
	s_add_co_ci_u32 s73, s76, 0
	s_delay_alu instid0(SALU_CYCLE_1) | instskip(NEXT) | instid1(SALU_CYCLE_1)
	s_add_nc_u64 s[72:73], s[2:3], s[72:73]
	s_add_co_u32 s68, s68, s72
	s_cselect_b32 s0, -1, 0
	s_delay_alu instid0(SALU_CYCLE_1) | instskip(SKIP_1) | instid1(SALU_CYCLE_1)
	s_cmp_lg_u32 s0, 0
	s_add_co_ci_u32 s69, s69, s73
	s_mul_u64 s[70:71], s[70:71], s[68:69]
	s_delay_alu instid0(SALU_CYCLE_1)
	s_mul_hi_u32 s73, s68, s71
	s_mul_i32 s72, s68, s71
	s_mul_hi_u32 s2, s68, s70
	s_mul_i32 s65, s69, s70
	s_add_nc_u64 s[72:73], s[2:3], s[72:73]
	s_mul_hi_u32 s0, s69, s70
	s_mul_hi_u32 s74, s69, s71
	s_add_co_u32 s2, s72, s65
	s_add_co_ci_u32 s2, s73, s0
	s_mul_i32 s70, s69, s71
	s_add_co_ci_u32 s71, s74, 0
	s_delay_alu instid0(SALU_CYCLE_1) | instskip(NEXT) | instid1(SALU_CYCLE_1)
	s_add_nc_u64 s[70:71], s[2:3], s[70:71]
	s_add_co_u32 s0, s68, s70
	s_cselect_b32 s2, -1, 0
	v_nop
	v_mul_hi_u32 v20, v10, s0
	s_cmp_lg_u32 s2, 0
	s_add_co_ci_u32 s2, s69, s71
	s_and_b64 s[68:69], s[0:1], s[58:59]
	v_mul_u64_e32 v[12:13], s[2:3], v[10:11]
	v_mul_u64_e32 v[8:9], s[68:69], v[14:15]
	;; [unrolled: 1-line block ×3, first 2 shown]
	s_delay_alu instid0(VALU_DEP_3) | instskip(NEXT) | instid1(VALU_DEP_1)
	v_add_nc_u64_e32 v[12:13], v[20:21], v[12:13]
	v_add_co_u32 v3, vcc_lo, v12, v8
	s_delay_alu instid0(VALU_DEP_2) | instskip(NEXT) | instid1(VALU_DEP_4)
	v_add_co_ci_u32_e32 v20, vcc_lo, v13, v9, vcc_lo
	v_add_co_ci_u32_e32 v19, vcc_lo, 0, v19, vcc_lo
	s_delay_alu instid0(VALU_DEP_1) | instskip(NEXT) | instid1(VALU_DEP_1)
	v_add_nc_u64_e32 v[8:9], v[20:21], v[18:19]
	v_mul_u64_e32 v[12:13], s[66:67], v[8:9]
	s_delay_alu instid0(VALU_DEP_1) | instskip(NEXT) | instid1(VALU_DEP_2)
	v_sub_nc_u32_e32 v3, v14, v13
	v_sub_co_u32 v10, vcc_lo, v10, v12
	s_delay_alu instid0(VALU_DEP_1) | instskip(NEXT) | instid1(VALU_DEP_3)
	v_sub_co_ci_u32_e64 v14, null, v14, v13, vcc_lo
	v_subrev_co_ci_u32_e64 v3, null, s67, v3, vcc_lo
	s_delay_alu instid0(VALU_DEP_3) | instskip(NEXT) | instid1(VALU_DEP_1)
	v_sub_co_u32 v11, s0, v10, s66
	v_subrev_co_ci_u32_e64 v3, null, 0, v3, s0
	s_delay_alu instid0(VALU_DEP_2) | instskip(SKIP_1) | instid1(VALU_DEP_3)
	v_cmp_le_u32_e32 vcc_lo, s66, v11
	v_cndmask_b32_e64 v11, 0, -1, vcc_lo
	v_cmp_le_u32_e32 vcc_lo, s67, v3
	v_cndmask_b32_e64 v12, 0, -1, vcc_lo
	;; [unrolled: 2-line block ×4, first 2 shown]
	v_cmp_eq_u32_e32 vcc_lo, s67, v3
	v_cndmask_b32_e32 v3, v12, v11, vcc_lo
	v_cmp_eq_u32_e32 vcc_lo, s67, v14
	v_add_nc_u64_e32 v[10:11], 2, v[8:9]
	v_add_nc_u64_e32 v[12:13], 1, v[8:9]
	v_cndmask_b32_e32 v14, v17, v15, vcc_lo
	v_cmp_ne_u32_e32 vcc_lo, 0, v3
	s_delay_alu instid0(VALU_DEP_2) | instskip(NEXT) | instid1(VALU_DEP_4)
	v_cmp_ne_u32_e64 s0, 0, v14
	v_dual_cndmask_b32 v3, v13, v11, vcc_lo :: v_dual_cndmask_b32 v11, v12, v10, vcc_lo
	v_xor_b32_e32 v10, s64, v16
                                        ; implicit-def: $vgpr12
	s_delay_alu instid0(VALU_DEP_2) | instskip(NEXT) | instid1(VALU_DEP_2)
	v_cndmask_b32_e64 v3, v9, v3, s0
	v_dual_cndmask_b32 v8, v8, v11, s0 :: v_dual_mov_b32 v11, v10
	s_delay_alu instid0(VALU_DEP_2) | instskip(NEXT) | instid1(VALU_DEP_2)
	v_xor_b32_e32 v9, v3, v10
	v_xor_b32_e32 v8, v8, v10
	s_delay_alu instid0(VALU_DEP_1)
	v_sub_nc_u64_e32 v[8:9], v[8:9], v[10:11]
.LBB59_53:                              ;   in Loop: Header=BB59_3 Depth=1
	s_and_not1_saveexec_b32 s0, s63
	s_cbranch_execz .LBB59_55
; %bb.54:                               ;   in Loop: Header=BB59_3 Depth=1
	v_rcp_iflag_f32_e32 v3, v12
	s_sub_co_i32 s2, 0, s40
	v_nop
	s_delay_alu instid0(TRANS32_DEP_1) | instskip(NEXT) | instid1(VALU_DEP_1)
	v_mul_f32_e32 v3, 0x4f7ffffe, v3
	v_cvt_u32_f32_e32 v3, v3
	s_delay_alu instid0(VALU_DEP_1) | instskip(NEXT) | instid1(VALU_DEP_1)
	v_mul_lo_u32 v8, s2, v3
	v_mul_hi_u32 v8, v3, v8
	s_delay_alu instid0(VALU_DEP_1) | instskip(NEXT) | instid1(VALU_DEP_1)
	v_add_nc_u32_e32 v3, v3, v8
	v_mul_hi_u32 v3, v22, v3
	s_delay_alu instid0(VALU_DEP_1) | instskip(NEXT) | instid1(VALU_DEP_1)
	v_mul_lo_u32 v8, v3, s40
	v_dual_add_nc_u32 v9, 1, v3 :: v_dual_sub_nc_u32 v8, v22, v8
	s_delay_alu instid0(VALU_DEP_1) | instskip(SKIP_1) | instid1(VALU_DEP_2)
	v_subrev_nc_u32_e32 v10, s40, v8
	v_cmp_le_u32_e32 vcc_lo, s40, v8
	v_dual_cndmask_b32 v8, v8, v10 :: v_dual_cndmask_b32 v3, v3, v9
	s_delay_alu instid0(VALU_DEP_1) | instskip(NEXT) | instid1(VALU_DEP_2)
	v_cmp_le_u32_e32 vcc_lo, s40, v8
	v_add_nc_u32_e32 v9, 1, v3
	s_delay_alu instid0(VALU_DEP_1)
	v_dual_cndmask_b32 v8, v3, v9 :: v_dual_mov_b32 v9, v2
.LBB59_55:                              ;   in Loop: Header=BB59_3 Depth=1
	s_or_b32 exec_lo, exec_lo, s0
	s_delay_alu instid0(VALU_DEP_1) | instskip(SKIP_4) | instid1(VALU_DEP_4)
	v_mul_u64_e32 v[10:11], s[40:41], v[8:9]
	v_mul_u64_e32 v[8:9], s[12:13], v[8:9]
	v_or_b32_e32 v3, s43, v1
	v_fma_mixlo_f16 v5, v5, v29, 0
	s_mov_b32 s0, exec_lo
	v_sub_nc_u64_e32 v[6:7], v[6:7], v[10:11]
	s_delay_alu instid0(VALU_DEP_4) | instskip(NEXT) | instid1(VALU_DEP_2)
	v_lshl_add_u64 v[8:9], v[8:9], 1, s[34:35]
	v_add_nc_u64_e32 v[6:7], v[0:1], v[6:7]
	s_delay_alu instid0(VALU_DEP_1) | instskip(NEXT) | instid1(VALU_DEP_1)
	v_mul_u64_e32 v[6:7], s[14:15], v[6:7]
	v_lshl_add_u64 v[6:7], v[6:7], 1, v[8:9]
	global_store_b16 v[6:7], v5, off
                                        ; implicit-def: $vgpr6_vgpr7
	s_wait_xcnt 0x0
	v_cmpx_ne_u64_e32 0, v[2:3]
	s_xor_b32 s63, exec_lo, s0
	s_cbranch_execz .LBB59_57
; %bb.56:                               ;   in Loop: Header=BB59_3 Depth=1
	s_ashr_i32 s64, s43, 31
	v_dual_mov_b32 v5, v4 :: v_dual_mov_b32 v9, v2
	s_mov_b32 s65, s64
	v_mov_b32_e32 v17, v2
	s_add_nc_u64 s[66:67], s[42:43], s[64:65]
	s_delay_alu instid0(VALU_DEP_2)
	v_add_nc_u64_e32 v[6:7], v[0:1], v[4:5]
	s_xor_b64 s[66:67], s[66:67], s[64:65]
	v_mov_b32_e32 v13, v2
	s_cvt_f32_u32 s0, s66
	s_cvt_f32_u32 s2, s67
	s_sub_nc_u64 s[70:71], 0, s[66:67]
	s_delay_alu instid0(VALU_DEP_2) | instskip(NEXT) | instid1(SALU_CYCLE_1)
	v_xor_b32_e32 v12, v7, v4
	s_fmamk_f32 s0, s2, 0x4f800000, s0
	v_xor_b32_e32 v8, v6, v4
	v_xor_b32_e32 v4, s64, v4
	s_delay_alu instid0(SALU_CYCLE_1) | instskip(NEXT) | instid1(TRANS32_DEP_1)
	v_s_rcp_f32 s0, s0
	s_mul_f32 s0, s0, 0x5f7ffffc
	s_delay_alu instid0(SALU_CYCLE_3) | instskip(NEXT) | instid1(SALU_CYCLE_3)
	s_mul_f32 s2, s0, 0x2f800000
	s_trunc_f32 s2, s2
	s_delay_alu instid0(SALU_CYCLE_3) | instskip(SKIP_1) | instid1(SALU_CYCLE_2)
	s_fmamk_f32 s0, s2, 0xcf800000, s0
	s_cvt_u32_f32 s69, s2
	s_cvt_u32_f32 s68, s0
	s_delay_alu instid0(SALU_CYCLE_3) | instskip(NEXT) | instid1(SALU_CYCLE_1)
	s_mul_u64 s[72:73], s[70:71], s[68:69]
	s_mul_hi_u32 s75, s68, s73
	s_mul_i32 s74, s68, s73
	s_mul_hi_u32 s2, s68, s72
	s_mul_i32 s65, s69, s72
	s_add_nc_u64 s[74:75], s[2:3], s[74:75]
	s_mul_hi_u32 s0, s69, s72
	s_mul_hi_u32 s76, s69, s73
	s_add_co_u32 s2, s74, s65
	s_add_co_ci_u32 s2, s75, s0
	s_mul_i32 s72, s69, s73
	s_add_co_ci_u32 s73, s76, 0
	s_delay_alu instid0(SALU_CYCLE_1) | instskip(NEXT) | instid1(SALU_CYCLE_1)
	s_add_nc_u64 s[72:73], s[2:3], s[72:73]
	s_add_co_u32 s68, s68, s72
	s_cselect_b32 s0, -1, 0
	s_delay_alu instid0(SALU_CYCLE_1) | instskip(SKIP_1) | instid1(SALU_CYCLE_1)
	s_cmp_lg_u32 s0, 0
	s_add_co_ci_u32 s69, s69, s73
	s_mul_u64 s[70:71], s[70:71], s[68:69]
	s_delay_alu instid0(SALU_CYCLE_1)
	s_mul_hi_u32 s73, s68, s71
	s_mul_i32 s72, s68, s71
	s_mul_hi_u32 s2, s68, s70
	s_mul_i32 s65, s69, s70
	s_add_nc_u64 s[72:73], s[2:3], s[72:73]
	s_mul_hi_u32 s0, s69, s70
	s_mul_hi_u32 s74, s69, s71
	s_add_co_u32 s2, s72, s65
	s_add_co_ci_u32 s2, s73, s0
	s_mul_i32 s70, s69, s71
	s_add_co_ci_u32 s71, s74, 0
	s_delay_alu instid0(SALU_CYCLE_1) | instskip(NEXT) | instid1(SALU_CYCLE_1)
	s_add_nc_u64 s[70:71], s[2:3], s[70:71]
	s_add_co_u32 s0, s68, s70
	s_cselect_b32 s2, -1, 0
	v_nop
	v_mul_hi_u32 v16, v8, s0
	s_cmp_lg_u32 s2, 0
	s_add_co_ci_u32 s2, s69, s71
	s_and_b64 s[68:69], s[0:1], s[58:59]
	v_mul_u64_e32 v[10:11], s[2:3], v[8:9]
	v_mul_u64_e32 v[6:7], s[68:69], v[12:13]
	;; [unrolled: 1-line block ×3, first 2 shown]
	s_delay_alu instid0(VALU_DEP_3) | instskip(NEXT) | instid1(VALU_DEP_1)
	v_add_nc_u64_e32 v[10:11], v[16:17], v[10:11]
	v_add_co_u32 v3, vcc_lo, v10, v6
	s_delay_alu instid0(VALU_DEP_2) | instskip(NEXT) | instid1(VALU_DEP_4)
	v_add_co_ci_u32_e32 v16, vcc_lo, v11, v7, vcc_lo
	v_add_co_ci_u32_e32 v15, vcc_lo, 0, v15, vcc_lo
	s_delay_alu instid0(VALU_DEP_1) | instskip(NEXT) | instid1(VALU_DEP_1)
	v_add_nc_u64_e32 v[6:7], v[16:17], v[14:15]
	v_mul_u64_e32 v[10:11], s[66:67], v[6:7]
	s_delay_alu instid0(VALU_DEP_1) | instskip(NEXT) | instid1(VALU_DEP_2)
	v_sub_nc_u32_e32 v3, v12, v11
	v_sub_co_u32 v5, vcc_lo, v8, v10
	s_delay_alu instid0(VALU_DEP_1) | instskip(NEXT) | instid1(VALU_DEP_3)
	v_sub_co_ci_u32_e64 v12, null, v12, v11, vcc_lo
	v_subrev_co_ci_u32_e64 v3, null, s67, v3, vcc_lo
	s_delay_alu instid0(VALU_DEP_3) | instskip(SKIP_1) | instid1(VALU_DEP_3)
	v_sub_co_u32 v8, s0, v5, s66
	v_add_nc_u64_e32 v[10:11], 1, v[6:7]
	v_subrev_co_ci_u32_e64 v3, null, 0, v3, s0
	s_delay_alu instid0(VALU_DEP_3) | instskip(SKIP_1) | instid1(VALU_DEP_3)
	v_cmp_le_u32_e32 vcc_lo, s66, v8
	v_cndmask_b32_e64 v8, 0, -1, vcc_lo
	v_cmp_le_u32_e32 vcc_lo, s67, v3
	v_cndmask_b32_e64 v9, 0, -1, vcc_lo
	;; [unrolled: 2-line block ×4, first 2 shown]
	v_cmp_eq_u32_e32 vcc_lo, s67, v3
	v_cndmask_b32_e32 v3, v9, v8, vcc_lo
	v_cmp_eq_u32_e32 vcc_lo, s67, v12
	v_add_nc_u64_e32 v[8:9], 2, v[6:7]
	v_cndmask_b32_e32 v5, v13, v5, vcc_lo
	s_delay_alu instid0(VALU_DEP_4) | instskip(NEXT) | instid1(VALU_DEP_2)
	v_cmp_ne_u32_e32 vcc_lo, 0, v3
	v_cmp_ne_u32_e64 s0, 0, v5
	s_delay_alu instid0(VALU_DEP_4) | instskip(NEXT) | instid1(VALU_DEP_1)
	v_dual_cndmask_b32 v3, v11, v9, vcc_lo :: v_dual_cndmask_b32 v5, v10, v8, vcc_lo
	v_dual_cndmask_b32 v3, v7, v3, s0 :: v_dual_cndmask_b32 v6, v6, v5, s0
	s_delay_alu instid0(VALU_DEP_1) | instskip(NEXT) | instid1(VALU_DEP_2)
	v_dual_mov_b32 v5, v4 :: v_dual_bitop2_b32 v7, v3, v4 bitop3:0x14
	v_xor_b32_e32 v6, v6, v4
	s_delay_alu instid0(VALU_DEP_1)
	v_sub_nc_u64_e32 v[6:7], v[6:7], v[4:5]
.LBB59_57:                              ;   in Loop: Header=BB59_3 Depth=1
	s_and_not1_saveexec_b32 s0, s63
	s_cbranch_execz .LBB59_2
; %bb.58:                               ;   in Loop: Header=BB59_3 Depth=1
	v_cvt_f32_u32_e32 v3, s42
	s_sub_co_i32 s2, 0, s42
	v_mov_b32_e32 v7, v2
	s_delay_alu instid0(VALU_DEP_2) | instskip(SKIP_1) | instid1(TRANS32_DEP_1)
	v_rcp_iflag_f32_e32 v3, v3
	v_nop
	v_mul_f32_e32 v3, 0x4f7ffffe, v3
	s_delay_alu instid0(VALU_DEP_1) | instskip(NEXT) | instid1(VALU_DEP_1)
	v_cvt_u32_f32_e32 v3, v3
	v_mul_lo_u32 v4, s2, v3
	s_delay_alu instid0(VALU_DEP_1) | instskip(NEXT) | instid1(VALU_DEP_1)
	v_mul_hi_u32 v4, v3, v4
	v_add_nc_u32_e32 v3, v3, v4
	s_delay_alu instid0(VALU_DEP_1) | instskip(NEXT) | instid1(VALU_DEP_1)
	v_mul_hi_u32 v3, v0, v3
	v_mul_lo_u32 v4, v3, s42
	s_delay_alu instid0(VALU_DEP_1) | instskip(NEXT) | instid1(VALU_DEP_1)
	v_dual_add_nc_u32 v5, 1, v3 :: v_dual_sub_nc_u32 v4, v0, v4
	v_subrev_nc_u32_e32 v6, s42, v4
	v_cmp_le_u32_e32 vcc_lo, s42, v4
	s_delay_alu instid0(VALU_DEP_2) | instskip(NEXT) | instid1(VALU_DEP_1)
	v_dual_cndmask_b32 v4, v4, v6 :: v_dual_cndmask_b32 v3, v3, v5
	v_cmp_le_u32_e32 vcc_lo, s42, v4
	s_delay_alu instid0(VALU_DEP_2) | instskip(NEXT) | instid1(VALU_DEP_1)
	v_add_nc_u32_e32 v5, 1, v3
	v_cndmask_b32_e32 v6, v3, v5, vcc_lo
	s_branch .LBB59_2
.LBB59_59:
	s_endpgm
	.section	.rodata,"a",@progbits
	.p2align	6, 0x0
	.amdhsa_kernel _ZN2at6native12_GLOBAL__N_16kernel17gru_cell_backwardIN3c104HalfEflLi2EEEvNS_4cuda6detail10TensorInfoIT_T1_EESB_SB_SB_SB_SA_SA_
		.amdhsa_group_segment_fixed_size 0
		.amdhsa_private_segment_fixed_size 0
		.amdhsa_kernarg_size 2352
		.amdhsa_user_sgpr_count 2
		.amdhsa_user_sgpr_dispatch_ptr 0
		.amdhsa_user_sgpr_queue_ptr 0
		.amdhsa_user_sgpr_kernarg_segment_ptr 1
		.amdhsa_user_sgpr_dispatch_id 0
		.amdhsa_user_sgpr_kernarg_preload_length 0
		.amdhsa_user_sgpr_kernarg_preload_offset 0
		.amdhsa_user_sgpr_private_segment_size 0
		.amdhsa_wavefront_size32 1
		.amdhsa_uses_dynamic_stack 0
		.amdhsa_enable_private_segment 0
		.amdhsa_system_sgpr_workgroup_id_x 1
		.amdhsa_system_sgpr_workgroup_id_y 0
		.amdhsa_system_sgpr_workgroup_id_z 0
		.amdhsa_system_sgpr_workgroup_info 0
		.amdhsa_system_vgpr_workitem_id 0
		.amdhsa_next_free_vgpr 42
		.amdhsa_next_free_sgpr 77
		.amdhsa_named_barrier_count 0
		.amdhsa_reserve_vcc 1
		.amdhsa_float_round_mode_32 0
		.amdhsa_float_round_mode_16_64 0
		.amdhsa_float_denorm_mode_32 3
		.amdhsa_float_denorm_mode_16_64 3
		.amdhsa_fp16_overflow 0
		.amdhsa_memory_ordered 1
		.amdhsa_forward_progress 1
		.amdhsa_inst_pref_size 92
		.amdhsa_round_robin_scheduling 0
		.amdhsa_exception_fp_ieee_invalid_op 0
		.amdhsa_exception_fp_denorm_src 0
		.amdhsa_exception_fp_ieee_div_zero 0
		.amdhsa_exception_fp_ieee_overflow 0
		.amdhsa_exception_fp_ieee_underflow 0
		.amdhsa_exception_fp_ieee_inexact 0
		.amdhsa_exception_int_div_zero 0
	.end_amdhsa_kernel
	.section	.text._ZN2at6native12_GLOBAL__N_16kernel17gru_cell_backwardIN3c104HalfEflLi2EEEvNS_4cuda6detail10TensorInfoIT_T1_EESB_SB_SB_SB_SA_SA_,"axG",@progbits,_ZN2at6native12_GLOBAL__N_16kernel17gru_cell_backwardIN3c104HalfEflLi2EEEvNS_4cuda6detail10TensorInfoIT_T1_EESB_SB_SB_SB_SA_SA_,comdat
.Lfunc_end59:
	.size	_ZN2at6native12_GLOBAL__N_16kernel17gru_cell_backwardIN3c104HalfEflLi2EEEvNS_4cuda6detail10TensorInfoIT_T1_EESB_SB_SB_SB_SA_SA_, .Lfunc_end59-_ZN2at6native12_GLOBAL__N_16kernel17gru_cell_backwardIN3c104HalfEflLi2EEEvNS_4cuda6detail10TensorInfoIT_T1_EESB_SB_SB_SB_SA_SA_
                                        ; -- End function
	.set _ZN2at6native12_GLOBAL__N_16kernel17gru_cell_backwardIN3c104HalfEflLi2EEEvNS_4cuda6detail10TensorInfoIT_T1_EESB_SB_SB_SB_SA_SA_.num_vgpr, 42
	.set _ZN2at6native12_GLOBAL__N_16kernel17gru_cell_backwardIN3c104HalfEflLi2EEEvNS_4cuda6detail10TensorInfoIT_T1_EESB_SB_SB_SB_SA_SA_.num_agpr, 0
	.set _ZN2at6native12_GLOBAL__N_16kernel17gru_cell_backwardIN3c104HalfEflLi2EEEvNS_4cuda6detail10TensorInfoIT_T1_EESB_SB_SB_SB_SA_SA_.numbered_sgpr, 77
	.set _ZN2at6native12_GLOBAL__N_16kernel17gru_cell_backwardIN3c104HalfEflLi2EEEvNS_4cuda6detail10TensorInfoIT_T1_EESB_SB_SB_SB_SA_SA_.num_named_barrier, 0
	.set _ZN2at6native12_GLOBAL__N_16kernel17gru_cell_backwardIN3c104HalfEflLi2EEEvNS_4cuda6detail10TensorInfoIT_T1_EESB_SB_SB_SB_SA_SA_.private_seg_size, 0
	.set _ZN2at6native12_GLOBAL__N_16kernel17gru_cell_backwardIN3c104HalfEflLi2EEEvNS_4cuda6detail10TensorInfoIT_T1_EESB_SB_SB_SB_SA_SA_.uses_vcc, 1
	.set _ZN2at6native12_GLOBAL__N_16kernel17gru_cell_backwardIN3c104HalfEflLi2EEEvNS_4cuda6detail10TensorInfoIT_T1_EESB_SB_SB_SB_SA_SA_.uses_flat_scratch, 0
	.set _ZN2at6native12_GLOBAL__N_16kernel17gru_cell_backwardIN3c104HalfEflLi2EEEvNS_4cuda6detail10TensorInfoIT_T1_EESB_SB_SB_SB_SA_SA_.has_dyn_sized_stack, 0
	.set _ZN2at6native12_GLOBAL__N_16kernel17gru_cell_backwardIN3c104HalfEflLi2EEEvNS_4cuda6detail10TensorInfoIT_T1_EESB_SB_SB_SB_SA_SA_.has_recursion, 0
	.set _ZN2at6native12_GLOBAL__N_16kernel17gru_cell_backwardIN3c104HalfEflLi2EEEvNS_4cuda6detail10TensorInfoIT_T1_EESB_SB_SB_SB_SA_SA_.has_indirect_call, 0
	.section	.AMDGPU.csdata,"",@progbits
; Kernel info:
; codeLenInByte = 11772
; TotalNumSgprs: 79
; NumVgprs: 42
; ScratchSize: 0
; MemoryBound: 0
; FloatMode: 240
; IeeeMode: 1
; LDSByteSize: 0 bytes/workgroup (compile time only)
; SGPRBlocks: 0
; VGPRBlocks: 2
; NumSGPRsForWavesPerEU: 79
; NumVGPRsForWavesPerEU: 42
; NamedBarCnt: 0
; Occupancy: 16
; WaveLimiterHint : 1
; COMPUTE_PGM_RSRC2:SCRATCH_EN: 0
; COMPUTE_PGM_RSRC2:USER_SGPR: 2
; COMPUTE_PGM_RSRC2:TRAP_HANDLER: 0
; COMPUTE_PGM_RSRC2:TGID_X_EN: 1
; COMPUTE_PGM_RSRC2:TGID_Y_EN: 0
; COMPUTE_PGM_RSRC2:TGID_Z_EN: 0
; COMPUTE_PGM_RSRC2:TIDIG_COMP_CNT: 0
	.section	.text._ZN2at6native12_GLOBAL__N_16kernel17gru_cell_backwardIN3c108BFloat16EfiLi1EEEvNS_4cuda6detail10TensorInfoIT_T1_EESB_SB_SB_SB_SA_SA_,"axG",@progbits,_ZN2at6native12_GLOBAL__N_16kernel17gru_cell_backwardIN3c108BFloat16EfiLi1EEEvNS_4cuda6detail10TensorInfoIT_T1_EESB_SB_SB_SB_SA_SA_,comdat
	.globl	_ZN2at6native12_GLOBAL__N_16kernel17gru_cell_backwardIN3c108BFloat16EfiLi1EEEvNS_4cuda6detail10TensorInfoIT_T1_EESB_SB_SB_SB_SA_SA_ ; -- Begin function _ZN2at6native12_GLOBAL__N_16kernel17gru_cell_backwardIN3c108BFloat16EfiLi1EEEvNS_4cuda6detail10TensorInfoIT_T1_EESB_SB_SB_SB_SA_SA_
	.p2align	8
	.type	_ZN2at6native12_GLOBAL__N_16kernel17gru_cell_backwardIN3c108BFloat16EfiLi1EEEvNS_4cuda6detail10TensorInfoIT_T1_EESB_SB_SB_SB_SA_SA_,@function
_ZN2at6native12_GLOBAL__N_16kernel17gru_cell_backwardIN3c108BFloat16EfiLi1EEEvNS_4cuda6detail10TensorInfoIT_T1_EESB_SB_SB_SB_SA_SA_: ; @_ZN2at6native12_GLOBAL__N_16kernel17gru_cell_backwardIN3c108BFloat16EfiLi1EEEvNS_4cuda6detail10TensorInfoIT_T1_EESB_SB_SB_SB_SA_SA_
; %bb.0:
	s_clause 0x1
	s_load_b32 s4, s[0:1], 0x44c
	s_load_b64 s[2:3], s[0:1], 0x438
	s_bfe_u32 s5, ttmp6, 0x4000c
	s_and_b32 s6, ttmp6, 15
	s_add_co_i32 s5, s5, 1
	s_getreg_b32 s7, hwreg(HW_REG_IB_STS2, 6, 4)
	s_mul_i32 s5, ttmp9, s5
	s_delay_alu instid0(SALU_CYCLE_1)
	s_add_co_i32 s6, s6, s5
	s_wait_kmcnt 0x0
	s_and_b32 s4, s4, 0xffff
	s_cmp_eq_u32 s7, 0
	s_cselect_b32 s5, ttmp9, s6
	s_mov_b32 s6, exec_lo
	v_mad_u32 v2, s5, s4, v0
	s_mov_b32 s5, 0
	s_delay_alu instid0(VALU_DEP_1)
	v_cmpx_gt_i32_e64 s3, v2
	s_cbranch_execz .LBB60_3
; %bb.1:
	s_abs_i32 s16, s2
	s_clause 0x1
	s_load_b32 s24, s[0:1], 0x21c
	s_load_b32 s25, s[0:1], 0x2f4
	s_cvt_f32_u32 s12, s16
	s_add_nc_u64 s[10:11], s[0:1], 0x440
	s_clause 0x1
	s_load_b64 s[6:7], s[0:1], 0x1b0
	s_load_b64 s[8:9], s[0:1], 0x288
	s_load_b32 s23, s[10:11], 0x0
	v_mov_b32_e32 v1, 0
	v_rcp_iflag_f32_e32 v0, s12
	s_wait_xcnt 0x0
	s_clause 0x5
	s_load_b64 s[10:11], s[0:1], 0x0
	s_load_b32 s17, s[0:1], 0x6c
	s_load_b64 s[12:13], s[0:1], 0xd8
	s_load_b32 s18, s[0:1], 0x144
	;; [unrolled: 2-line block ×3, first 2 shown]
	s_wait_xcnt 0x0
	s_sub_co_i32 s1, 0, s16
	s_ashr_i32 s20, s2, 31
	s_lshl_b32 s21, s2, 2
	s_lshl_b32 s22, s2, 1
	s_mov_b32 s26, s5
	v_nop
	v_readfirstlane_b32 s0, v0
	s_mul_f32 s0, s0, 0x4f7ffffe
	s_wait_kmcnt 0x0
	v_mul_lo_u32 v3, v2, s24
	v_mul_lo_u32 v4, v2, s25
	s_cvt_u32_f32 s0, s0
	s_mul_i32 s23, s23, s4
	s_delay_alu instid0(SALU_CYCLE_1) | instskip(NEXT) | instid1(SALU_CYCLE_1)
	s_mul_i32 s24, s23, s24
	s_mul_i32 s1, s1, s0
	;; [unrolled: 1-line block ×3, first 2 shown]
	s_mul_hi_u32 s1, s0, s1
	s_delay_alu instid0(SALU_CYCLE_1)
	s_add_co_i32 s4, s0, s1
.LBB60_2:                               ; =>This Inner Loop Header: Depth=1
	v_dual_sub_nc_u32 v0, 0, v2 :: v_dual_ashrrev_i32 v5, 31, v2
	s_delay_alu instid0(VALU_DEP_1) | instskip(NEXT) | instid1(VALU_DEP_1)
	v_xor_b32_e32 v5, s20, v5
	v_dual_lshlrev_b32 v8, 2, v5 :: v_dual_max_i32 v0, v2, v0
	s_delay_alu instid0(VALU_DEP_1) | instskip(SKIP_2) | instid1(VALU_DEP_1)
	v_mul_u64_e32 v[6:7], s[4:5], v[0:1]
	global_load_u16 v6, v3, s[6:7] scale_offset
	v_mul_lo_u32 v9, v7, s16
	v_dual_add_nc_u32 v10, 1, v7 :: v_dual_sub_nc_u32 v0, v0, v9
	s_delay_alu instid0(VALU_DEP_1) | instskip(NEXT) | instid1(VALU_DEP_2)
	v_cmp_le_u32_e32 vcc_lo, s16, v0
	v_cndmask_b32_e32 v7, v7, v10, vcc_lo
	v_subrev_nc_u32_e32 v9, s16, v0
	s_delay_alu instid0(VALU_DEP_1) | instskip(NEXT) | instid1(VALU_DEP_1)
	v_dual_cndmask_b32 v0, v0, v9 :: v_dual_add_nc_u32 v9, 1, v7
	v_cmp_le_u32_e32 vcc_lo, s16, v0
	s_delay_alu instid0(VALU_DEP_2) | instskip(NEXT) | instid1(VALU_DEP_1)
	v_cndmask_b32_e32 v0, v7, v9, vcc_lo
	v_xor_b32_e32 v0, v0, v5
	s_delay_alu instid0(VALU_DEP_1) | instskip(NEXT) | instid1(VALU_DEP_1)
	v_lshlrev_b32_e32 v7, 2, v0
	v_sub_nc_u32_e32 v7, v7, v8
	s_delay_alu instid0(VALU_DEP_1) | instskip(SKIP_3) | instid1(VALU_DEP_4)
	v_dual_add_nc_u32 v10, 4, v7 :: v_dual_bitop2_b32 v11, 2, v7 bitop3:0x54
	v_dual_sub_nc_u32 v9, v0, v5 :: v_dual_bitop2_b32 v12, 3, v7 bitop3:0x54
	v_dual_lshlrev_b32 v5, 1, v5 :: v_dual_lshlrev_b32 v0, 1, v0
	v_or_b32_e32 v7, 1, v7
	v_mad_u32 v10, s2, v10, v2
	v_mad_u32 v11, s2, v11, v2
	;; [unrolled: 1-line block ×3, first 2 shown]
	v_sub_nc_u32_e32 v0, v0, v5
	v_mad_u32 v7, s2, v7, v2
	v_mad_u32 v8, s21, v9, v2
	s_wait_xcnt 0x0
	v_add_nc_u32_e32 v3, s24, v3
	v_mad_u32 v5, s22, v9, v2
	v_mul_lo_u32 v10, v10, s19
	v_mul_lo_u32 v11, v11, s19
	;; [unrolled: 1-line block ×5, first 2 shown]
	s_clause 0x4
	global_load_u16 v13, v10, s[14:15] scale_offset
	global_load_u16 v14, v11, s[14:15] scale_offset
	;; [unrolled: 1-line block ×5, first 2 shown]
	s_wait_xcnt 0x1
	v_dual_add_nc_u32 v0, 2, v0 :: v_dual_bitop2_b32 v7, 1, v0 bitop3:0x54
	v_mul_lo_u32 v12, v5, s17
	v_mul_lo_u32 v5, v5, s18
	s_delay_alu instid0(VALU_DEP_3) | instskip(NEXT) | instid1(VALU_DEP_4)
	v_mad_u32 v7, s2, v7, v2
	v_mad_u32 v0, s2, v0, v2
	v_add_nc_u32_e32 v2, s23, v2
	s_delay_alu instid0(VALU_DEP_1) | instskip(NEXT) | instid1(VALU_DEP_4)
	v_cmp_le_i32_e32 vcc_lo, s3, v2
	v_mul_lo_u32 v18, v7, s17
	v_mul_lo_u32 v20, v7, s18
	;; [unrolled: 1-line block ×4, first 2 shown]
	s_or_b32 s26, vcc_lo, s26
	s_wait_loadcnt 0x5
	v_lshlrev_b32_e32 v21, 16, v6
	s_wait_loadcnt 0x2
	v_dual_lshlrev_b32 v7, 16, v14 :: v_dual_lshlrev_b32 v6, 16, v15
	s_wait_loadcnt 0x1
	v_dual_lshlrev_b32 v9, 16, v16 :: v_dual_lshlrev_b32 v13, 16, v13
	s_delay_alu instid0(VALU_DEP_2) | instskip(SKIP_3) | instid1(VALU_DEP_2)
	v_pk_mul_f32 v[10:11], v[6:7], v[6:7]
	s_wait_loadcnt 0x0
	v_dual_lshlrev_b32 v14, 16, v17 :: v_dual_sub_f32 v6, v6, v7
	s_wait_xcnt 0x0
	v_dual_mov_b32 v8, v11 :: v_dual_mul_f32 v10, v21, v9
	s_delay_alu instid0(VALU_DEP_2) | instskip(NEXT) | instid1(VALU_DEP_2)
	v_dual_sub_f32 v15, 1.0, v14 :: v_dual_mul_f32 v16, v6, v21
	v_pk_add_f32 v[6:7], v[8:9], 1.0 op_sel_hi:[1,0] neg_lo:[1,0] neg_hi:[1,0]
	s_delay_alu instid0(VALU_DEP_3) | instskip(SKIP_1) | instid1(VALU_DEP_2)
	v_bfe_u32 v11, v10, 16, 1
	v_cmp_o_f32_e64 s0, v10, v10
	v_add3_u32 v8, v10, v11, 0x7fff
	s_delay_alu instid0(VALU_DEP_4) | instskip(NEXT) | instid1(VALU_DEP_1)
	v_dual_mul_f32 v11, v7, v21 :: v_dual_mul_f32 v7, v7, v16
	v_dual_mul_f32 v6, v6, v11 :: v_dual_lshrrev_b32 v8, 16, v8
	s_delay_alu instid0(VALU_DEP_2) | instskip(NEXT) | instid1(VALU_DEP_2)
	v_mul_f32_e32 v7, v7, v9
	v_dual_mul_f32 v9, v6, v13 :: v_dual_mul_f32 v13, v6, v14
	s_delay_alu instid0(VALU_DEP_2)
	v_bfe_u32 v10, v7, 16, 1
	v_bfe_u32 v11, v6, 16, 1
	v_cndmask_b32_e64 v8, 0x7fc0, v8, s0
	v_cmp_o_f32_e64 s0, v7, v7
	v_cmp_o_f32_e64 s1, v6, v6
	v_add3_u32 v10, v7, v10, 0x7fff
	v_mul_f32_e32 v9, v15, v9
	v_add3_u32 v11, v6, v11, 0x7fff
	v_bfe_u32 v15, v13, 16, 1
	s_delay_alu instid0(VALU_DEP_4) | instskip(NEXT) | instid1(VALU_DEP_3)
	v_lshrrev_b32_e32 v10, 16, v10
	v_dual_mul_f32 v9, v9, v14 :: v_dual_lshrrev_b32 v7, 16, v11
	s_delay_alu instid0(VALU_DEP_3) | instskip(NEXT) | instid1(VALU_DEP_3)
	v_add3_u32 v11, v13, v15, 0x7fff
	v_cndmask_b32_e64 v10, 0x7fc0, v10, s0
	s_delay_alu instid0(VALU_DEP_3) | instskip(SKIP_2) | instid1(VALU_DEP_3)
	v_bfe_u32 v6, v9, 16, 1
	v_cmp_o_f32_e64 s0, v13, v13
	v_cndmask_b32_e64 v7, 0x7fc0, v7, s1
	v_add3_u32 v6, v9, v6, 0x7fff
	s_delay_alu instid0(VALU_DEP_1) | instskip(NEXT) | instid1(VALU_DEP_1)
	v_dual_lshrrev_b32 v11, 16, v11 :: v_dual_lshrrev_b32 v6, 16, v6
	v_cndmask_b32_e64 v11, 0x7fc0, v11, s0
	v_cmp_o_f32_e64 s0, v9, v9
	s_delay_alu instid0(VALU_DEP_1)
	v_cndmask_b32_e64 v6, 0x7fc0, v6, s0
	s_clause 0x2
	global_store_b16 v12, v6, s[10:11] scale_offset
	global_store_b16 v18, v10, s[10:11] scale_offset
	;; [unrolled: 1-line block ×3, first 2 shown]
	s_clause 0x2
	global_store_b16 v5, v6, s[12:13] scale_offset
	global_store_b16 v20, v10, s[12:13] scale_offset
	;; [unrolled: 1-line block ×4, first 2 shown]
	s_wait_xcnt 0x0
	v_add_nc_u32_e32 v4, s25, v4
	s_and_not1_b32 exec_lo, exec_lo, s26
	s_cbranch_execnz .LBB60_2
.LBB60_3:
	s_endpgm
	.section	.rodata,"a",@progbits
	.p2align	6, 0x0
	.amdhsa_kernel _ZN2at6native12_GLOBAL__N_16kernel17gru_cell_backwardIN3c108BFloat16EfiLi1EEEvNS_4cuda6detail10TensorInfoIT_T1_EESB_SB_SB_SB_SA_SA_
		.amdhsa_group_segment_fixed_size 0
		.amdhsa_private_segment_fixed_size 0
		.amdhsa_kernarg_size 1344
		.amdhsa_user_sgpr_count 2
		.amdhsa_user_sgpr_dispatch_ptr 0
		.amdhsa_user_sgpr_queue_ptr 0
		.amdhsa_user_sgpr_kernarg_segment_ptr 1
		.amdhsa_user_sgpr_dispatch_id 0
		.amdhsa_user_sgpr_kernarg_preload_length 0
		.amdhsa_user_sgpr_kernarg_preload_offset 0
		.amdhsa_user_sgpr_private_segment_size 0
		.amdhsa_wavefront_size32 1
		.amdhsa_uses_dynamic_stack 0
		.amdhsa_enable_private_segment 0
		.amdhsa_system_sgpr_workgroup_id_x 1
		.amdhsa_system_sgpr_workgroup_id_y 0
		.amdhsa_system_sgpr_workgroup_id_z 0
		.amdhsa_system_sgpr_workgroup_info 0
		.amdhsa_system_vgpr_workitem_id 0
		.amdhsa_next_free_vgpr 22
		.amdhsa_next_free_sgpr 27
		.amdhsa_named_barrier_count 0
		.amdhsa_reserve_vcc 1
		.amdhsa_float_round_mode_32 0
		.amdhsa_float_round_mode_16_64 0
		.amdhsa_float_denorm_mode_32 3
		.amdhsa_float_denorm_mode_16_64 3
		.amdhsa_fp16_overflow 0
		.amdhsa_memory_ordered 1
		.amdhsa_forward_progress 1
		.amdhsa_inst_pref_size 11
		.amdhsa_round_robin_scheduling 0
		.amdhsa_exception_fp_ieee_invalid_op 0
		.amdhsa_exception_fp_denorm_src 0
		.amdhsa_exception_fp_ieee_div_zero 0
		.amdhsa_exception_fp_ieee_overflow 0
		.amdhsa_exception_fp_ieee_underflow 0
		.amdhsa_exception_fp_ieee_inexact 0
		.amdhsa_exception_int_div_zero 0
	.end_amdhsa_kernel
	.section	.text._ZN2at6native12_GLOBAL__N_16kernel17gru_cell_backwardIN3c108BFloat16EfiLi1EEEvNS_4cuda6detail10TensorInfoIT_T1_EESB_SB_SB_SB_SA_SA_,"axG",@progbits,_ZN2at6native12_GLOBAL__N_16kernel17gru_cell_backwardIN3c108BFloat16EfiLi1EEEvNS_4cuda6detail10TensorInfoIT_T1_EESB_SB_SB_SB_SA_SA_,comdat
.Lfunc_end60:
	.size	_ZN2at6native12_GLOBAL__N_16kernel17gru_cell_backwardIN3c108BFloat16EfiLi1EEEvNS_4cuda6detail10TensorInfoIT_T1_EESB_SB_SB_SB_SA_SA_, .Lfunc_end60-_ZN2at6native12_GLOBAL__N_16kernel17gru_cell_backwardIN3c108BFloat16EfiLi1EEEvNS_4cuda6detail10TensorInfoIT_T1_EESB_SB_SB_SB_SA_SA_
                                        ; -- End function
	.set _ZN2at6native12_GLOBAL__N_16kernel17gru_cell_backwardIN3c108BFloat16EfiLi1EEEvNS_4cuda6detail10TensorInfoIT_T1_EESB_SB_SB_SB_SA_SA_.num_vgpr, 22
	.set _ZN2at6native12_GLOBAL__N_16kernel17gru_cell_backwardIN3c108BFloat16EfiLi1EEEvNS_4cuda6detail10TensorInfoIT_T1_EESB_SB_SB_SB_SA_SA_.num_agpr, 0
	.set _ZN2at6native12_GLOBAL__N_16kernel17gru_cell_backwardIN3c108BFloat16EfiLi1EEEvNS_4cuda6detail10TensorInfoIT_T1_EESB_SB_SB_SB_SA_SA_.numbered_sgpr, 27
	.set _ZN2at6native12_GLOBAL__N_16kernel17gru_cell_backwardIN3c108BFloat16EfiLi1EEEvNS_4cuda6detail10TensorInfoIT_T1_EESB_SB_SB_SB_SA_SA_.num_named_barrier, 0
	.set _ZN2at6native12_GLOBAL__N_16kernel17gru_cell_backwardIN3c108BFloat16EfiLi1EEEvNS_4cuda6detail10TensorInfoIT_T1_EESB_SB_SB_SB_SA_SA_.private_seg_size, 0
	.set _ZN2at6native12_GLOBAL__N_16kernel17gru_cell_backwardIN3c108BFloat16EfiLi1EEEvNS_4cuda6detail10TensorInfoIT_T1_EESB_SB_SB_SB_SA_SA_.uses_vcc, 1
	.set _ZN2at6native12_GLOBAL__N_16kernel17gru_cell_backwardIN3c108BFloat16EfiLi1EEEvNS_4cuda6detail10TensorInfoIT_T1_EESB_SB_SB_SB_SA_SA_.uses_flat_scratch, 0
	.set _ZN2at6native12_GLOBAL__N_16kernel17gru_cell_backwardIN3c108BFloat16EfiLi1EEEvNS_4cuda6detail10TensorInfoIT_T1_EESB_SB_SB_SB_SA_SA_.has_dyn_sized_stack, 0
	.set _ZN2at6native12_GLOBAL__N_16kernel17gru_cell_backwardIN3c108BFloat16EfiLi1EEEvNS_4cuda6detail10TensorInfoIT_T1_EESB_SB_SB_SB_SA_SA_.has_recursion, 0
	.set _ZN2at6native12_GLOBAL__N_16kernel17gru_cell_backwardIN3c108BFloat16EfiLi1EEEvNS_4cuda6detail10TensorInfoIT_T1_EESB_SB_SB_SB_SA_SA_.has_indirect_call, 0
	.section	.AMDGPU.csdata,"",@progbits
; Kernel info:
; codeLenInByte = 1288
; TotalNumSgprs: 29
; NumVgprs: 22
; ScratchSize: 0
; MemoryBound: 0
; FloatMode: 240
; IeeeMode: 1
; LDSByteSize: 0 bytes/workgroup (compile time only)
; SGPRBlocks: 0
; VGPRBlocks: 1
; NumSGPRsForWavesPerEU: 29
; NumVGPRsForWavesPerEU: 22
; NamedBarCnt: 0
; Occupancy: 16
; WaveLimiterHint : 1
; COMPUTE_PGM_RSRC2:SCRATCH_EN: 0
; COMPUTE_PGM_RSRC2:USER_SGPR: 2
; COMPUTE_PGM_RSRC2:TRAP_HANDLER: 0
; COMPUTE_PGM_RSRC2:TGID_X_EN: 1
; COMPUTE_PGM_RSRC2:TGID_Y_EN: 0
; COMPUTE_PGM_RSRC2:TGID_Z_EN: 0
; COMPUTE_PGM_RSRC2:TIDIG_COMP_CNT: 0
	.section	.text._ZN2at6native12_GLOBAL__N_16kernel17gru_cell_backwardIN3c108BFloat16EfiLi2EEEvNS_4cuda6detail10TensorInfoIT_T1_EESB_SB_SB_SB_SA_SA_,"axG",@progbits,_ZN2at6native12_GLOBAL__N_16kernel17gru_cell_backwardIN3c108BFloat16EfiLi2EEEvNS_4cuda6detail10TensorInfoIT_T1_EESB_SB_SB_SB_SA_SA_,comdat
	.globl	_ZN2at6native12_GLOBAL__N_16kernel17gru_cell_backwardIN3c108BFloat16EfiLi2EEEvNS_4cuda6detail10TensorInfoIT_T1_EESB_SB_SB_SB_SA_SA_ ; -- Begin function _ZN2at6native12_GLOBAL__N_16kernel17gru_cell_backwardIN3c108BFloat16EfiLi2EEEvNS_4cuda6detail10TensorInfoIT_T1_EESB_SB_SB_SB_SA_SA_
	.p2align	8
	.type	_ZN2at6native12_GLOBAL__N_16kernel17gru_cell_backwardIN3c108BFloat16EfiLi2EEEvNS_4cuda6detail10TensorInfoIT_T1_EESB_SB_SB_SB_SA_SA_,@function
_ZN2at6native12_GLOBAL__N_16kernel17gru_cell_backwardIN3c108BFloat16EfiLi2EEEvNS_4cuda6detail10TensorInfoIT_T1_EESB_SB_SB_SB_SA_SA_: ; @_ZN2at6native12_GLOBAL__N_16kernel17gru_cell_backwardIN3c108BFloat16EfiLi2EEEvNS_4cuda6detail10TensorInfoIT_T1_EESB_SB_SB_SB_SA_SA_
; %bb.0:
	s_clause 0x1
	s_load_b32 s2, s[0:1], 0x44c
	s_load_b64 s[4:5], s[0:1], 0x438
	s_bfe_u32 s3, ttmp6, 0x4000c
	s_and_b32 s6, ttmp6, 15
	s_add_co_i32 s3, s3, 1
	s_getreg_b32 s7, hwreg(HW_REG_IB_STS2, 6, 4)
	s_mul_i32 s3, ttmp9, s3
	s_delay_alu instid0(SALU_CYCLE_1)
	s_add_co_i32 s6, s6, s3
	s_wait_kmcnt 0x0
	s_and_b32 s2, s2, 0xffff
	s_cmp_eq_u32 s7, 0
	s_mov_b32 s7, 0
	s_cselect_b32 s3, ttmp9, s6
	s_delay_alu instid0(SALU_CYCLE_1) | instskip(SKIP_1) | instid1(VALU_DEP_1)
	v_mad_u32 v2, s3, s2, v0
	s_mov_b32 s3, exec_lo
	v_cmpx_gt_i32_e64 s5, v2
	s_cbranch_execz .LBB61_3
; %bb.1:
	s_clause 0x4
	s_load_b32 s3, s[0:1], 0x36c
	s_load_b32 s40, s[0:1], 0xe4
	s_load_b64 s[8:9], s[0:1], 0x144
	s_load_b64 s[10:11], s[0:1], 0x1b0
	s_load_b32 s56, s[0:1], 0x1bc
	s_abs_i32 s33, s4
	s_add_nc_u64 s[18:19], s[0:1], 0x440
	s_cvt_f32_u32 s6, s33
	s_clause 0x3
	s_load_b64 s[12:13], s[0:1], 0x0
	s_load_b32 s41, s[0:1], 0xc
	s_load_b64 s[14:15], s[0:1], 0x6c
	s_load_b64 s[16:17], s[0:1], 0xd8
	s_load_b32 s48, s[18:19], 0x0
	s_wait_xcnt 0x0
	s_clause 0x5
	s_load_b64 s[18:19], s[0:1], 0x21c
	s_load_b64 s[20:21], s[0:1], 0x288
	s_load_b32 s57, s[0:1], 0x294
	s_load_b64 s[22:23], s[0:1], 0x2f4
	s_load_b64 s[24:25], s[0:1], 0x360
	;; [unrolled: 1-line block ×3, first 2 shown]
	s_ashr_i32 s43, s4, 31
	v_rcp_iflag_f32_e32 v0, s6
	s_sub_co_i32 s6, 0, s33
	s_mov_b32 s29, s7
	s_mov_b32 s35, s7
	;; [unrolled: 1-line block ×3, first 2 shown]
	s_lshl_b32 s54, s4, 2
	s_lshl_b32 s55, s4, 1
	s_wait_xcnt 0x0
	v_nop
	v_readfirstlane_b32 s0, v0
	s_mov_b32 s58, s7
	s_wait_kmcnt 0x0
	s_abs_i32 s47, s40
	s_ashr_i32 s52, s40, 31
	s_abs_i32 s42, s3
	s_abs_i32 s45, s56
	s_cvt_f32_u32 s1, s42
	s_mul_f32 s0, s0, 0x4f7ffffe
	s_abs_i32 s46, s41
	s_mul_i32 s48, s48, s2
	v_rcp_iflag_f32_e32 v0, s1
	s_cvt_f32_u32 s1, s45
	s_cvt_u32_f32 s0, s0
	s_cvt_f32_u32 s2, s46
	s_abs_i32 s50, s57
	s_sub_co_i32 s31, 0, s46
	s_mul_i32 s6, s6, s0
	v_nop
	v_readfirstlane_b32 s28, v0
	v_rcp_iflag_f32_e32 v0, s1
	v_rcp_iflag_f32_e32 v1, s2
	s_mul_hi_u32 s2, s0, s6
	s_sub_co_i32 s37, 0, s50
	s_mul_f32 s1, s28, 0x4f7ffffe
	s_sub_co_i32 s28, 0, s42
	s_add_co_i32 s6, s0, s2
	v_readfirstlane_b32 s30, v0
	s_cvt_u32_f32 s1, s1
	v_readfirstlane_b32 s0, v1
	s_ashr_i32 s44, s3, 31
	s_ashr_i32 s49, s56, 31
	s_mul_i32 s28, s28, s1
	s_mul_f32 s30, s30, 0x4f7ffffe
	s_mul_hi_u32 s2, s1, s28
	s_mul_f32 s0, s0, 0x4f7ffffe
	s_add_co_i32 s28, s1, s2
	s_cvt_f32_u32 s1, s47
	s_cvt_u32_f32 s2, s30
	s_sub_co_i32 s30, 0, s45
	s_cvt_u32_f32 s0, s0
	v_rcp_iflag_f32_e32 v0, s1
	s_cvt_f32_u32 s1, s50
	s_mul_i32 s30, s30, s2
	s_ashr_i32 s51, s41, 31
	s_mul_hi_u32 s30, s2, s30
	v_rcp_iflag_f32_e32 v1, s1
	s_add_co_i32 s30, s2, s30
	v_nop
	v_readfirstlane_b32 s1, v0
	s_mul_i32 s2, s31, s0
	s_mov_b32 s31, s7
	s_mul_hi_u32 s2, s0, s2
	s_ashr_i32 s53, s57, 31
	v_readfirstlane_b32 s36, v1
	s_mul_f32 s1, s1, 0x4f7ffffe
	s_add_co_i32 s34, s0, s2
	s_sub_co_i32 s2, 0, s47
	v_mov_b32_e32 v1, 0
	s_cvt_u32_f32 s0, s1
	s_mul_f32 s1, s36, 0x4f7ffffe
	s_sub_co_i32 s56, 0, s56
	s_sub_co_i32 s57, 0, s57
	s_mul_i32 s2, s2, s0
	s_cvt_u32_f32 s1, s1
	s_mul_hi_u32 s2, s0, s2
	s_delay_alu instid0(SALU_CYCLE_1) | instskip(NEXT) | instid1(SALU_CYCLE_1)
	s_add_co_i32 s36, s0, s2
	s_mul_i32 s0, s37, s1
	s_mov_b32 s37, s7
	s_mul_hi_u32 s0, s1, s0
	s_delay_alu instid0(SALU_CYCLE_1)
	s_add_co_i32 s38, s1, s0
.LBB61_2:                               ; =>This Inner Loop Header: Depth=1
	v_dual_ashrrev_i32 v3, 31, v2 :: v_dual_sub_nc_u32 v0, 0, v2
	v_dual_mov_b32 v13, v1 :: v_dual_mov_b32 v5, v1
	v_dual_mov_b32 v7, v1 :: v_dual_mov_b32 v9, v1
	s_delay_alu instid0(VALU_DEP_3) | instskip(NEXT) | instid1(VALU_DEP_1)
	v_dual_mov_b32 v11, v1 :: v_dual_max_i32 v0, v2, v0
	v_mul_u64_e32 v[14:15], s[6:7], v[0:1]
	v_mul_u64_e32 v[16:17], s[30:31], v[0:1]
	v_xor_b32_e32 v24, s43, v3
	s_delay_alu instid0(VALU_DEP_3) | instskip(NEXT) | instid1(VALU_DEP_3)
	v_mul_lo_u32 v8, v15, s33
	v_mul_lo_u32 v10, v17, s45
	v_dual_add_nc_u32 v12, 1, v15 :: v_dual_add_nc_u32 v14, 1, v17
	s_delay_alu instid0(VALU_DEP_4) | instskip(NEXT) | instid1(VALU_DEP_4)
	v_dual_lshlrev_b32 v6, 2, v24 :: v_dual_bitop2_b32 v4, s49, v3 bitop3:0x14
	v_dual_sub_nc_u32 v8, v0, v8 :: v_dual_bitop2_b32 v3, s53, v3 bitop3:0x14
	s_delay_alu instid0(VALU_DEP_1) | instskip(SKIP_3) | instid1(VALU_DEP_3)
	v_cmp_le_u32_e32 vcc_lo, s33, v8
	v_sub_nc_u32_e32 v10, v0, v10
	v_subrev_nc_u32_e32 v16, s33, v8
	v_cndmask_b32_e32 v12, v15, v12, vcc_lo
	v_cmp_le_u32_e64 s0, s45, v10
	v_subrev_nc_u32_e32 v15, s45, v10
	s_delay_alu instid0(VALU_DEP_4) | instskip(NEXT) | instid1(VALU_DEP_3)
	v_cndmask_b32_e32 v8, v8, v16, vcc_lo
	v_dual_add_nc_u32 v16, 1, v12 :: v_dual_cndmask_b32 v14, v17, v14, s0
	s_delay_alu instid0(VALU_DEP_3) | instskip(NEXT) | instid1(VALU_DEP_3)
	v_cndmask_b32_e64 v10, v10, v15, s0
	v_cmp_le_u32_e32 vcc_lo, s33, v8
	s_delay_alu instid0(VALU_DEP_3) | instskip(NEXT) | instid1(VALU_DEP_3)
	v_dual_cndmask_b32 v8, v12, v16 :: v_dual_add_nc_u32 v15, 1, v14
	v_cmp_le_u32_e32 vcc_lo, s45, v10
	s_delay_alu instid0(VALU_DEP_2) | instskip(NEXT) | instid1(VALU_DEP_1)
	v_dual_cndmask_b32 v10, v14, v15, vcc_lo :: v_dual_bitop2_b32 v25, v8, v24 bitop3:0x14
	v_dual_lshlrev_b32 v10, 2, v25 :: v_dual_bitop2_b32 v8, v10, v4 bitop3:0x14
	s_delay_alu instid0(VALU_DEP_1) | instskip(NEXT) | instid1(VALU_DEP_2)
	v_dual_sub_nc_u32 v26, v25, v24 :: v_dual_sub_nc_u32 v6, v10, v6
	v_sub_nc_u32_e32 v4, v8, v4
	s_delay_alu instid0(VALU_DEP_2) | instskip(NEXT) | instid1(VALU_DEP_3)
	v_mul_lo_u32 v27, s54, v26
	v_or_b32_e32 v10, 1, v6
	s_delay_alu instid0(VALU_DEP_3) | instskip(SKIP_2) | instid1(VALU_DEP_4)
	v_mad_u32 v8, s56, v4, v2
	v_or_b32_e32 v12, 2, v6
	v_dual_add_nc_u32 v6, 4, v6 :: v_dual_bitop2_b32 v14, 3, v6 bitop3:0x54
	v_mul_lo_u32 v28, s4, v10
	s_delay_alu instid0(VALU_DEP_3) | instskip(NEXT) | instid1(VALU_DEP_3)
	v_mul_lo_u32 v29, s4, v12
	v_mul_lo_u32 v31, s4, v6
	v_add_nc_u32_e32 v6, v2, v27
	v_mul_lo_u32 v30, s4, v14
	v_mul_lo_u32 v8, v8, s19
	s_delay_alu instid0(VALU_DEP_3) | instskip(NEXT) | instid1(VALU_DEP_1)
	v_dual_ashrrev_i32 v6, 31, v6 :: v_dual_add_nc_u32 v12, v2, v28
	v_dual_add_nc_u32 v14, v2, v29 :: v_dual_bitop2_b32 v32, s44, v6 bitop3:0x14
	v_add3_u32 v10, v6, v27, v2
	v_dual_add_nc_u32 v15, v2, v30 :: v_dual_add_nc_u32 v16, v2, v31
	v_mad_u32 v8, v4, s18, v8
	s_delay_alu instid0(VALU_DEP_3) | instskip(NEXT) | instid1(VALU_DEP_3)
	v_dual_ashrrev_i32 v6, 31, v12 :: v_dual_bitop2_b32 v4, v10, v6 bitop3:0x14
	v_dual_ashrrev_i32 v10, 31, v14 :: v_dual_ashrrev_i32 v12, 31, v15
	s_delay_alu instid0(VALU_DEP_4) | instskip(NEXT) | instid1(VALU_DEP_3)
	v_ashrrev_i32_e32 v16, 31, v16
	v_mul_u64_e32 v[14:15], s[28:29], v[4:5]
	s_delay_alu instid0(VALU_DEP_4) | instskip(NEXT) | instid1(VALU_DEP_4)
	v_xor_b32_e32 v5, s44, v6
	v_add3_u32 v17, v10, v29, v2
	v_add3_u32 v18, v12, v30, v2
	;; [unrolled: 1-line block ×3, first 2 shown]
	v_xor_b32_e32 v33, s44, v10
	v_xor_b32_e32 v34, s44, v12
	global_load_u16 v36, v8, s[10:11] scale_offset
	s_wait_xcnt 0x0
	v_xor_b32_e32 v8, v17, v10
	v_xor_b32_e32 v10, v18, v12
	;; [unrolled: 1-line block ×3, first 2 shown]
	v_add3_u32 v14, v6, v28, v2
	s_delay_alu instid0(VALU_DEP_3) | instskip(NEXT) | instid1(VALU_DEP_3)
	v_mul_u64_e32 v[20:21], s[28:29], v[10:11]
	v_mul_u64_e32 v[22:23], s[28:29], v[12:13]
	s_delay_alu instid0(VALU_DEP_2) | instskip(NEXT) | instid1(VALU_DEP_2)
	v_dual_add_nc_u32 v20, 1, v21 :: v_dual_bitop2_b32 v6, v14, v6 bitop3:0x14
	v_add_nc_u32_e32 v37, 1, v23
	v_mul_u64_e32 v[18:19], s[28:29], v[8:9]
	v_xor_b32_e32 v35, s44, v16
	s_delay_alu instid0(VALU_DEP_4) | instskip(SKIP_4) | instid1(VALU_DEP_4)
	v_mul_u64_e32 v[16:17], s[28:29], v[6:7]
	v_mul_lo_u32 v7, v15, s42
	v_add_nc_u32_e32 v9, 1, v15
	v_mul_lo_u32 v18, v21, s42
	v_mul_lo_u32 v22, v23, s42
	v_sub_nc_u32_e32 v4, v4, v7
	s_delay_alu instid0(VALU_DEP_1) | instskip(SKIP_1) | instid1(VALU_DEP_2)
	v_subrev_nc_u32_e32 v7, s42, v4
	v_cmp_le_u32_e32 vcc_lo, s42, v4
	v_cndmask_b32_e32 v4, v4, v7, vcc_lo
	v_mul_lo_u32 v14, v19, s42
	v_add_nc_u32_e32 v16, 1, v19
	v_mul_lo_u32 v11, v17, s42
	v_cndmask_b32_e32 v9, v15, v9, vcc_lo
	v_cmp_le_u32_e32 vcc_lo, s42, v4
	v_dual_add_nc_u32 v13, 1, v17 :: v_dual_sub_nc_u32 v8, v8, v14
	s_delay_alu instid0(VALU_DEP_3) | instskip(SKIP_1) | instid1(VALU_DEP_3)
	v_dual_sub_nc_u32 v6, v6, v11 :: v_dual_add_nc_u32 v7, 1, v9
	v_sub_nc_u32_e32 v10, v10, v18
	v_cmp_le_u32_e64 s0, s42, v8
	s_delay_alu instid0(VALU_DEP_3) | instskip(NEXT) | instid1(VALU_DEP_4)
	v_cndmask_b32_e32 v4, v9, v7, vcc_lo
	v_cmp_le_u32_e32 vcc_lo, s42, v6
	v_sub_nc_u32_e32 v11, v12, v22
	v_subrev_nc_u32_e32 v9, s42, v6
	v_cndmask_b32_e64 v12, v19, v16, s0
	v_cmp_le_u32_e64 s1, s42, v10
	v_cndmask_b32_e32 v7, v17, v13, vcc_lo
	v_subrev_nc_u32_e32 v13, s42, v8
	v_cmp_le_u32_e64 s2, s42, v11
	v_subrev_nc_u32_e32 v17, s42, v11
	v_dual_cndmask_b32 v6, v6, v9, vcc_lo :: v_dual_cndmask_b32 v14, v21, v20, s1
	s_delay_alu instid0(VALU_DEP_4) | instskip(SKIP_3) | instid1(VALU_DEP_4)
	v_dual_cndmask_b32 v8, v8, v13, s0 :: v_dual_add_nc_u32 v13, 1, v12
	v_subrev_nc_u32_e32 v15, s42, v10
	v_cndmask_b32_e64 v16, v23, v37, s2
	v_cndmask_b32_e64 v11, v11, v17, s2
	v_cmp_le_u32_e32 vcc_lo, s42, v8
	v_dual_add_nc_u32 v9, 1, v7 :: v_dual_bitop2_b32 v4, v4, v32 bitop3:0x14
	v_dual_cndmask_b32 v10, v10, v15, s1 :: v_dual_add_nc_u32 v15, 1, v14
	v_dual_cndmask_b32 v8, v12, v13 :: v_dual_add_nc_u32 v17, 1, v16
	v_cmp_le_u32_e32 vcc_lo, s42, v11
	s_delay_alu instid0(VALU_DEP_2) | instskip(NEXT) | instid1(VALU_DEP_4)
	v_cndmask_b32_e32 v11, v16, v17, vcc_lo
	v_cmp_le_u32_e32 vcc_lo, s42, v10
	v_dual_sub_nc_u32 v4, v4, v32 :: v_dual_cndmask_b32 v10, v14, v15, vcc_lo
	v_cmp_le_u32_e32 vcc_lo, s42, v6
	s_delay_alu instid0(VALU_DEP_2) | instskip(NEXT) | instid1(VALU_DEP_3)
	v_dual_cndmask_b32 v6, v7, v9, vcc_lo :: v_dual_bitop2_b32 v10, v10, v34 bitop3:0x14
	v_mul_lo_u32 v7, v4, s3
	v_xor_b32_e32 v9, v11, v35
	s_delay_alu instid0(VALU_DEP_3) | instskip(NEXT) | instid1(VALU_DEP_2)
	v_dual_sub_nc_u32 v10, v10, v34 :: v_dual_bitop2_b32 v8, v8, v33 bitop3:0x14
	v_dual_sub_nc_u32 v9, v9, v35 :: v_dual_bitop2_b32 v6, v6, v5 bitop3:0x14
	s_delay_alu instid0(VALU_DEP_2) | instskip(NEXT) | instid1(VALU_DEP_2)
	v_mul_lo_u32 v12, v10, s3
	v_dual_sub_nc_u32 v7, v27, v7 :: v_dual_sub_nc_u32 v5, v6, v5
	s_delay_alu instid0(VALU_DEP_3) | instskip(NEXT) | instid1(VALU_DEP_2)
	v_mul_lo_u32 v6, v9, s3
	v_dual_sub_nc_u32 v8, v8, v33 :: v_dual_add_nc_u32 v7, v2, v7
	s_delay_alu instid0(VALU_DEP_1) | instskip(SKIP_1) | instid1(VALU_DEP_3)
	v_mul_lo_u32 v11, v8, s3
	v_sub_nc_u32_e32 v12, v30, v12
	v_mul_lo_u32 v7, v7, s27
	v_sub_nc_u32_e32 v6, v31, v6
	v_mul_lo_u32 v13, v5, s3
	s_delay_alu instid0(VALU_DEP_2) | instskip(SKIP_1) | instid1(VALU_DEP_2)
	v_dual_add_nc_u32 v12, v2, v12 :: v_dual_add_nc_u32 v6, v2, v6
	v_sub_nc_u32_e32 v11, v29, v11
	v_mul_lo_u32 v12, v12, s27
	v_mad_u32 v4, v4, s26, v7
	s_delay_alu instid0(VALU_DEP_4) | instskip(NEXT) | instid1(VALU_DEP_4)
	v_mul_lo_u32 v6, v6, s27
	v_dual_add_nc_u32 v11, v2, v11 :: v_dual_sub_nc_u32 v13, v28, v13
	s_delay_alu instid0(VALU_DEP_1) | instskip(NEXT) | instid1(VALU_DEP_2)
	v_mul_lo_u32 v11, v11, s27
	v_add_nc_u32_e32 v13, v2, v13
	s_delay_alu instid0(VALU_DEP_4) | instskip(NEXT) | instid1(VALU_DEP_2)
	v_mad_u32 v6, v9, s26, v6
	v_mul_lo_u32 v13, v13, s27
	v_mov_b32_e32 v9, v1
	v_mad_u32 v7, v8, s26, v11
	v_mad_u32 v8, v10, s26, v12
	v_mul_u64_e32 v[10:11], s[38:39], v[0:1]
	v_mad_u32 v5, v5, s26, v13
	s_clause 0x4
	global_load_u16 v22, v6, s[24:25] scale_offset
	global_load_u16 v23, v7, s[24:25] scale_offset
	;; [unrolled: 1-line block ×5, first 2 shown]
	s_wait_xcnt 0x0
	v_lshlrev_b32_e32 v4, 1, v24
	v_mul_lo_u32 v24, s55, v26
	v_dual_mov_b32 v5, v1 :: v_dual_mov_b32 v7, v1
	v_mul_lo_u32 v6, v11, s50
	s_delay_alu instid0(VALU_DEP_1) | instskip(NEXT) | instid1(VALU_DEP_1)
	v_dual_add_nc_u32 v8, 1, v11 :: v_dual_sub_nc_u32 v0, v0, v6
	v_subrev_nc_u32_e32 v6, s50, v0
	v_cmp_le_u32_e32 vcc_lo, s50, v0
	s_delay_alu instid0(VALU_DEP_2) | instskip(NEXT) | instid1(VALU_DEP_1)
	v_dual_cndmask_b32 v8, v11, v8, vcc_lo :: v_dual_cndmask_b32 v0, v0, v6, vcc_lo
	v_add_nc_u32_e32 v6, 1, v8
	s_delay_alu instid0(VALU_DEP_2) | instskip(NEXT) | instid1(VALU_DEP_2)
	v_cmp_le_u32_e32 vcc_lo, s50, v0
	v_dual_cndmask_b32 v0, v8, v6, vcc_lo :: v_dual_lshlrev_b32 v6, 1, v25
	s_delay_alu instid0(VALU_DEP_1) | instskip(NEXT) | instid1(VALU_DEP_1)
	v_xor_b32_e32 v0, v0, v3
	v_dual_sub_nc_u32 v0, v0, v3 :: v_dual_sub_nc_u32 v3, v6, v4
	s_delay_alu instid0(VALU_DEP_1) | instskip(NEXT) | instid1(VALU_DEP_2)
	v_mad_u32 v4, s57, v0, v2
	v_dual_add_nc_u32 v3, 2, v3 :: v_dual_bitop2_b32 v6, 1, v3 bitop3:0x54
	s_delay_alu instid0(VALU_DEP_1) | instskip(NEXT) | instid1(VALU_DEP_2)
	v_mul_lo_u32 v25, s4, v6
	v_mul_lo_u32 v3, s4, v3
	v_add_nc_u32_e32 v6, v2, v24
	v_mul_lo_u32 v4, v4, s23
	s_delay_alu instid0(VALU_DEP_2) | instskip(NEXT) | instid1(VALU_DEP_4)
	v_dual_add_nc_u32 v10, v2, v25 :: v_dual_ashrrev_i32 v6, 31, v6
	v_add_nc_u32_e32 v11, v2, v3
	s_delay_alu instid0(VALU_DEP_3) | instskip(NEXT) | instid1(VALU_DEP_3)
	v_mad_u32 v0, v0, s22, v4
	v_add3_u32 v8, v6, v24, v2
	v_xor_b32_e32 v26, s51, v6
	v_xor_b32_e32 v30, s52, v6
	s_delay_alu instid0(VALU_DEP_3) | instskip(SKIP_1) | instid1(VALU_DEP_2)
	v_dual_ashrrev_i32 v8, 31, v11 :: v_dual_bitop2_b32 v4, v8, v6 bitop3:0x14
	v_ashrrev_i32_e32 v6, 31, v10
	v_mul_u64_e32 v[12:13], s[36:37], v[4:5]
	s_delay_alu instid0(VALU_DEP_3) | instskip(SKIP_3) | instid1(VALU_DEP_4)
	v_add3_u32 v15, v8, v3, v2
	v_xor_b32_e32 v31, s51, v8
	v_xor_b32_e32 v12, s52, v8
	v_add3_u32 v14, v6, v25, v2
	v_xor_b32_e32 v8, v15, v8
	s_delay_alu instid0(VALU_DEP_1)
	v_mul_u64_e32 v[20:21], s[36:37], v[8:9]
	v_mul_u64_e32 v[16:17], s[34:35], v[8:9]
	v_add_nc_u32_e32 v16, 1, v13
	v_mul_u64_e32 v[10:11], s[34:35], v[4:5]
	v_xor_b32_e32 v10, s51, v6
	v_xor_b32_e32 v5, s52, v6
	v_dual_add_nc_u32 v38, 1, v21 :: v_dual_bitop2_b32 v6, v14, v6 bitop3:0x14
	s_delay_alu instid0(VALU_DEP_1)
	v_mul_u64_e32 v[14:15], s[34:35], v[6:7]
	v_mul_u64_e32 v[18:19], s[36:37], v[6:7]
	v_mul_lo_u32 v14, v13, s47
	v_mul_lo_u32 v32, v17, s46
	v_mul_lo_u32 v37, v21, s47
	v_add_nc_u32_e32 v33, 1, v17
	v_mul_lo_u32 v7, v11, s46
	v_add_nc_u32_e32 v9, 1, v11
	s_delay_alu instid0(VALU_DEP_2)
	v_sub_nc_u32_e32 v7, v4, v7
	v_mul_lo_u32 v18, v15, s46
	v_mul_lo_u32 v34, v19, s47
	v_add_nc_u32_e32 v20, 1, v15
	v_add_nc_u32_e32 v35, 1, v19
	v_cmp_le_u32_e32 vcc_lo, s46, v7
	v_sub_nc_u32_e32 v4, v4, v14
	v_subrev_nc_u32_e32 v14, s46, v7
	v_cndmask_b32_e32 v9, v11, v9, vcc_lo
	s_delay_alu instid0(VALU_DEP_3) | instskip(NEXT) | instid1(VALU_DEP_2)
	v_cmp_le_u32_e64 s0, s47, v4
	v_dual_cndmask_b32 v7, v7, v14 :: v_dual_add_nc_u32 v14, 1, v9
	s_delay_alu instid0(VALU_DEP_2) | instskip(SKIP_4) | instid1(VALU_DEP_4)
	v_cndmask_b32_e64 v11, v13, v16, s0
	v_subrev_nc_u32_e32 v13, s47, v4
	v_dual_sub_nc_u32 v16, v6, v18 :: v_dual_sub_nc_u32 v18, v8, v32
	v_sub_nc_u32_e32 v6, v6, v34
	v_cmp_le_u32_e32 vcc_lo, s46, v7
	v_dual_cndmask_b32 v4, v4, v13, s0 :: v_dual_add_nc_u32 v13, 1, v11
	v_sub_nc_u32_e32 v8, v8, v37
	v_cmp_le_u32_e64 s0, s46, v18
	v_cndmask_b32_e32 v7, v9, v14, vcc_lo
	s_delay_alu instid0(VALU_DEP_4) | instskip(SKIP_3) | instid1(VALU_DEP_4)
	v_cmp_le_u32_e64 s1, s47, v4
	v_cmp_le_u32_e32 vcc_lo, s46, v16
	v_subrev_nc_u32_e32 v14, s46, v16
	v_cmp_le_u32_e64 s2, s47, v8
	v_cndmask_b32_e64 v4, v11, v13, s1
	v_cmp_le_u32_e64 s1, s47, v6
	v_dual_cndmask_b32 v9, v15, v20, vcc_lo :: v_dual_cndmask_b32 v15, v17, v33, s0
	v_subrev_nc_u32_e32 v17, s46, v18
	s_delay_alu instid0(VALU_DEP_3) | instskip(SKIP_1) | instid1(VALU_DEP_4)
	v_dual_cndmask_b32 v14, v16, v14, vcc_lo :: v_dual_cndmask_b32 v11, v19, v35, s1
	v_subrev_nc_u32_e32 v13, s47, v6
	v_dual_add_nc_u32 v16, 1, v9 :: v_dual_bitop2_b32 v7, v7, v26 bitop3:0x14
	s_delay_alu instid0(VALU_DEP_4) | instskip(NEXT) | instid1(VALU_DEP_4)
	v_dual_cndmask_b32 v17, v18, v17, s0 :: v_dual_add_nc_u32 v18, 1, v15
	v_cmp_le_u32_e32 vcc_lo, s46, v14
	v_cndmask_b32_e64 v19, v21, v38, s2
	v_subrev_nc_u32_e32 v20, s47, v8
	v_dual_cndmask_b32 v6, v6, v13, s1 :: v_dual_bitop2_b32 v4, v4, v30 bitop3:0x14
	v_cndmask_b32_e32 v9, v9, v16, vcc_lo
	v_cmp_le_u32_e32 vcc_lo, s46, v17
	s_delay_alu instid0(VALU_DEP_4)
	v_dual_add_nc_u32 v13, 1, v11 :: v_dual_cndmask_b32 v8, v8, v20, s2
	v_dual_add_nc_u32 v20, 1, v19 :: v_dual_sub_nc_u32 v7, v7, v26
	v_cndmask_b32_e32 v14, v15, v18, vcc_lo
	v_cmp_le_u32_e32 vcc_lo, s47, v6
	v_sub_nc_u32_e32 v4, v4, v30
	v_dual_cndmask_b32 v6, v11, v13, vcc_lo :: v_dual_bitop2_b32 v9, v9, v10 bitop3:0x14
	v_cmp_le_u32_e32 vcc_lo, s47, v8
	v_mul_lo_u32 v11, v7, s41
	s_delay_alu instid0(VALU_DEP_3) | instskip(SKIP_2) | instid1(VALU_DEP_1)
	v_dual_sub_nc_u32 v9, v9, v10 :: v_dual_bitop2_b32 v13, v14, v31 bitop3:0x14
	v_mul_lo_u32 v14, v4, s40
	v_dual_cndmask_b32 v8, v19, v20, vcc_lo :: v_dual_bitop2_b32 v6, v6, v5 bitop3:0x14
	v_dual_sub_nc_u32 v10, v13, v31 :: v_dual_bitop2_b32 v8, v8, v12 bitop3:0x14
	s_delay_alu instid0(VALU_DEP_2) | instskip(NEXT) | instid1(VALU_DEP_4)
	v_dual_sub_nc_u32 v5, v6, v5 :: v_dual_sub_nc_u32 v11, v24, v11
	v_sub_nc_u32_e32 v14, v24, v14
	s_delay_alu instid0(VALU_DEP_2) | instskip(NEXT) | instid1(VALU_DEP_4)
	v_dual_sub_nc_u32 v6, v8, v12 :: v_dual_add_nc_u32 v11, v2, v11
	v_mul_lo_u32 v12, v10, s41
	s_delay_alu instid0(VALU_DEP_4) | instskip(SKIP_1) | instid1(VALU_DEP_4)
	v_mul_lo_u32 v13, v5, s40
	v_mul_lo_u32 v8, v9, s41
	;; [unrolled: 1-line block ×3, first 2 shown]
	v_add_nc_u32_e32 v14, v2, v14
	v_mul_lo_u32 v11, v11, s15
	v_dual_sub_nc_u32 v12, v3, v12 :: v_dual_sub_nc_u32 v13, v25, v13
	s_delay_alu instid0(VALU_DEP_4) | instskip(NEXT) | instid1(VALU_DEP_4)
	v_dual_sub_nc_u32 v8, v25, v8 :: v_dual_sub_nc_u32 v3, v3, v15
	v_mul_lo_u32 v14, v14, s9
	s_delay_alu instid0(VALU_DEP_3) | instskip(NEXT) | instid1(VALU_DEP_3)
	v_dual_add_nc_u32 v12, v2, v12 :: v_dual_add_nc_u32 v13, v2, v13
	v_dual_add_nc_u32 v8, v2, v8 :: v_dual_add_nc_u32 v3, v2, v3
	v_add_nc_u32_e32 v2, s48, v2
	s_delay_alu instid0(VALU_DEP_3) | instskip(NEXT) | instid1(VALU_DEP_4)
	v_mul_lo_u32 v12, v12, s15
	v_mul_lo_u32 v13, v13, s9
	s_delay_alu instid0(VALU_DEP_4)
	v_mul_lo_u32 v8, v8, s15
	v_mul_lo_u32 v3, v3, s9
	v_mad_u32 v11, v7, s14, v11
	v_mad_u32 v14, v4, s8, v14
	v_cmp_le_i32_e32 vcc_lo, s5, v2
	v_mad_u32 v10, v10, s14, v12
	v_mad_u32 v12, v5, s8, v13
	s_wait_loadcnt 0x5
	v_lshlrev_b32_e32 v13, 16, v36
	v_mad_u32 v15, v9, s14, v8
	v_mad_u32 v3, v6, s8, v3
	s_or_b32 s58, vcc_lo, s58
	s_wait_loadcnt 0x3
	v_dual_lshlrev_b32 v16, 16, v22 :: v_dual_lshlrev_b32 v5, 16, v23
	s_wait_loadcnt 0x1
	v_dual_lshlrev_b32 v4, 16, v27 :: v_dual_lshlrev_b32 v7, 16, v28
	s_wait_loadcnt 0x0
	v_lshlrev_b32_e32 v17, 16, v29
	s_delay_alu instid0(VALU_DEP_2) | instskip(NEXT) | instid1(VALU_DEP_3)
	v_pk_mul_f32 v[8:9], v[4:5], v[4:5]
	v_dual_mul_f32 v8, v13, v7 :: v_dual_sub_f32 v4, v4, v5
	s_delay_alu instid0(VALU_DEP_2) | instskip(NEXT) | instid1(VALU_DEP_2)
	v_dual_sub_f32 v18, 1.0, v17 :: v_dual_mov_b32 v6, v9
	v_bfe_u32 v9, v8, 16, 1
	s_delay_alu instid0(VALU_DEP_3) | instskip(SKIP_1) | instid1(VALU_DEP_4)
	v_mul_f32_e32 v19, v4, v13
	v_cmp_o_f32_e32 vcc_lo, v8, v8
	v_pk_add_f32 v[4:5], v[6:7], 1.0 op_sel_hi:[1,0] neg_lo:[1,0] neg_hi:[1,0]
	s_delay_alu instid0(VALU_DEP_4) | instskip(NEXT) | instid1(VALU_DEP_2)
	v_add3_u32 v6, v8, v9, 0x7fff
	v_dual_mul_f32 v9, v5, v13 :: v_dual_mul_f32 v5, v5, v19
	s_delay_alu instid0(VALU_DEP_1) | instskip(NEXT) | instid1(VALU_DEP_1)
	v_dual_lshrrev_b32 v6, 16, v6 :: v_dual_mul_f32 v4, v4, v9
	v_dual_mul_f32 v5, v5, v7 :: v_dual_cndmask_b32 v6, 0x7fc0, v6
	s_delay_alu instid0(VALU_DEP_2) | instskip(NEXT) | instid1(VALU_DEP_2)
	v_mul_f32_e32 v7, v4, v16
	v_bfe_u32 v8, v5, 16, 1
	v_bfe_u32 v9, v4, 16, 1
	v_mul_f32_e32 v13, v4, v17
	v_cmp_o_f32_e32 vcc_lo, v5, v5
	v_mul_f32_e32 v7, v18, v7
	v_add3_u32 v8, v5, v8, 0x7fff
	v_add3_u32 v9, v4, v9, 0x7fff
	v_bfe_u32 v16, v13, 16, 1
	v_cmp_o_f32_e64 s0, v4, v4
	s_delay_alu instid0(VALU_DEP_4) | instskip(NEXT) | instid1(VALU_DEP_4)
	v_dual_mul_f32 v7, v7, v17 :: v_dual_lshrrev_b32 v8, 16, v8
	v_lshrrev_b32_e32 v5, 16, v9
	s_delay_alu instid0(VALU_DEP_4) | instskip(NEXT) | instid1(VALU_DEP_3)
	v_add3_u32 v9, v13, v16, 0x7fff
	v_bfe_u32 v4, v7, 16, 1
	s_delay_alu instid0(VALU_DEP_4) | instskip(SKIP_2) | instid1(VALU_DEP_4)
	v_cndmask_b32_e32 v8, 0x7fc0, v8, vcc_lo
	v_cmp_o_f32_e32 vcc_lo, v13, v13
	v_cndmask_b32_e64 v5, 0x7fc0, v5, s0
	v_add3_u32 v4, v7, v4, 0x7fff
	s_delay_alu instid0(VALU_DEP_1) | instskip(NEXT) | instid1(VALU_DEP_1)
	v_dual_lshrrev_b32 v9, 16, v9 :: v_dual_lshrrev_b32 v4, 16, v4
	v_cndmask_b32_e32 v9, 0x7fc0, v9, vcc_lo
	v_cmp_o_f32_e32 vcc_lo, v7, v7
	s_delay_alu instid0(VALU_DEP_3)
	v_cndmask_b32_e32 v4, 0x7fc0, v4, vcc_lo
	s_clause 0x2
	global_store_b16 v11, v4, s[12:13] scale_offset
	global_store_b16 v15, v8, s[12:13] scale_offset
	;; [unrolled: 1-line block ×3, first 2 shown]
	s_clause 0x2
	global_store_b16 v14, v4, s[16:17] scale_offset
	global_store_b16 v12, v8, s[16:17] scale_offset
	;; [unrolled: 1-line block ×4, first 2 shown]
	s_wait_xcnt 0x0
	s_and_not1_b32 exec_lo, exec_lo, s58
	s_cbranch_execnz .LBB61_2
.LBB61_3:
	s_endpgm
	.section	.rodata,"a",@progbits
	.p2align	6, 0x0
	.amdhsa_kernel _ZN2at6native12_GLOBAL__N_16kernel17gru_cell_backwardIN3c108BFloat16EfiLi2EEEvNS_4cuda6detail10TensorInfoIT_T1_EESB_SB_SB_SB_SA_SA_
		.amdhsa_group_segment_fixed_size 0
		.amdhsa_private_segment_fixed_size 0
		.amdhsa_kernarg_size 1344
		.amdhsa_user_sgpr_count 2
		.amdhsa_user_sgpr_dispatch_ptr 0
		.amdhsa_user_sgpr_queue_ptr 0
		.amdhsa_user_sgpr_kernarg_segment_ptr 1
		.amdhsa_user_sgpr_dispatch_id 0
		.amdhsa_user_sgpr_kernarg_preload_length 0
		.amdhsa_user_sgpr_kernarg_preload_offset 0
		.amdhsa_user_sgpr_private_segment_size 0
		.amdhsa_wavefront_size32 1
		.amdhsa_uses_dynamic_stack 0
		.amdhsa_enable_private_segment 0
		.amdhsa_system_sgpr_workgroup_id_x 1
		.amdhsa_system_sgpr_workgroup_id_y 0
		.amdhsa_system_sgpr_workgroup_id_z 0
		.amdhsa_system_sgpr_workgroup_info 0
		.amdhsa_system_vgpr_workitem_id 0
		.amdhsa_next_free_vgpr 39
		.amdhsa_next_free_sgpr 59
		.amdhsa_named_barrier_count 0
		.amdhsa_reserve_vcc 1
		.amdhsa_float_round_mode_32 0
		.amdhsa_float_round_mode_16_64 0
		.amdhsa_float_denorm_mode_32 3
		.amdhsa_float_denorm_mode_16_64 3
		.amdhsa_fp16_overflow 0
		.amdhsa_memory_ordered 1
		.amdhsa_forward_progress 1
		.amdhsa_inst_pref_size 26
		.amdhsa_round_robin_scheduling 0
		.amdhsa_exception_fp_ieee_invalid_op 0
		.amdhsa_exception_fp_denorm_src 0
		.amdhsa_exception_fp_ieee_div_zero 0
		.amdhsa_exception_fp_ieee_overflow 0
		.amdhsa_exception_fp_ieee_underflow 0
		.amdhsa_exception_fp_ieee_inexact 0
		.amdhsa_exception_int_div_zero 0
	.end_amdhsa_kernel
	.section	.text._ZN2at6native12_GLOBAL__N_16kernel17gru_cell_backwardIN3c108BFloat16EfiLi2EEEvNS_4cuda6detail10TensorInfoIT_T1_EESB_SB_SB_SB_SA_SA_,"axG",@progbits,_ZN2at6native12_GLOBAL__N_16kernel17gru_cell_backwardIN3c108BFloat16EfiLi2EEEvNS_4cuda6detail10TensorInfoIT_T1_EESB_SB_SB_SB_SA_SA_,comdat
.Lfunc_end61:
	.size	_ZN2at6native12_GLOBAL__N_16kernel17gru_cell_backwardIN3c108BFloat16EfiLi2EEEvNS_4cuda6detail10TensorInfoIT_T1_EESB_SB_SB_SB_SA_SA_, .Lfunc_end61-_ZN2at6native12_GLOBAL__N_16kernel17gru_cell_backwardIN3c108BFloat16EfiLi2EEEvNS_4cuda6detail10TensorInfoIT_T1_EESB_SB_SB_SB_SA_SA_
                                        ; -- End function
	.set _ZN2at6native12_GLOBAL__N_16kernel17gru_cell_backwardIN3c108BFloat16EfiLi2EEEvNS_4cuda6detail10TensorInfoIT_T1_EESB_SB_SB_SB_SA_SA_.num_vgpr, 39
	.set _ZN2at6native12_GLOBAL__N_16kernel17gru_cell_backwardIN3c108BFloat16EfiLi2EEEvNS_4cuda6detail10TensorInfoIT_T1_EESB_SB_SB_SB_SA_SA_.num_agpr, 0
	.set _ZN2at6native12_GLOBAL__N_16kernel17gru_cell_backwardIN3c108BFloat16EfiLi2EEEvNS_4cuda6detail10TensorInfoIT_T1_EESB_SB_SB_SB_SA_SA_.numbered_sgpr, 59
	.set _ZN2at6native12_GLOBAL__N_16kernel17gru_cell_backwardIN3c108BFloat16EfiLi2EEEvNS_4cuda6detail10TensorInfoIT_T1_EESB_SB_SB_SB_SA_SA_.num_named_barrier, 0
	.set _ZN2at6native12_GLOBAL__N_16kernel17gru_cell_backwardIN3c108BFloat16EfiLi2EEEvNS_4cuda6detail10TensorInfoIT_T1_EESB_SB_SB_SB_SA_SA_.private_seg_size, 0
	.set _ZN2at6native12_GLOBAL__N_16kernel17gru_cell_backwardIN3c108BFloat16EfiLi2EEEvNS_4cuda6detail10TensorInfoIT_T1_EESB_SB_SB_SB_SA_SA_.uses_vcc, 1
	.set _ZN2at6native12_GLOBAL__N_16kernel17gru_cell_backwardIN3c108BFloat16EfiLi2EEEvNS_4cuda6detail10TensorInfoIT_T1_EESB_SB_SB_SB_SA_SA_.uses_flat_scratch, 0
	.set _ZN2at6native12_GLOBAL__N_16kernel17gru_cell_backwardIN3c108BFloat16EfiLi2EEEvNS_4cuda6detail10TensorInfoIT_T1_EESB_SB_SB_SB_SA_SA_.has_dyn_sized_stack, 0
	.set _ZN2at6native12_GLOBAL__N_16kernel17gru_cell_backwardIN3c108BFloat16EfiLi2EEEvNS_4cuda6detail10TensorInfoIT_T1_EESB_SB_SB_SB_SA_SA_.has_recursion, 0
	.set _ZN2at6native12_GLOBAL__N_16kernel17gru_cell_backwardIN3c108BFloat16EfiLi2EEEvNS_4cuda6detail10TensorInfoIT_T1_EESB_SB_SB_SB_SA_SA_.has_indirect_call, 0
	.section	.AMDGPU.csdata,"",@progbits
; Kernel info:
; codeLenInByte = 3288
; TotalNumSgprs: 61
; NumVgprs: 39
; ScratchSize: 0
; MemoryBound: 0
; FloatMode: 240
; IeeeMode: 1
; LDSByteSize: 0 bytes/workgroup (compile time only)
; SGPRBlocks: 0
; VGPRBlocks: 2
; NumSGPRsForWavesPerEU: 61
; NumVGPRsForWavesPerEU: 39
; NamedBarCnt: 0
; Occupancy: 16
; WaveLimiterHint : 1
; COMPUTE_PGM_RSRC2:SCRATCH_EN: 0
; COMPUTE_PGM_RSRC2:USER_SGPR: 2
; COMPUTE_PGM_RSRC2:TRAP_HANDLER: 0
; COMPUTE_PGM_RSRC2:TGID_X_EN: 1
; COMPUTE_PGM_RSRC2:TGID_Y_EN: 0
; COMPUTE_PGM_RSRC2:TGID_Z_EN: 0
; COMPUTE_PGM_RSRC2:TIDIG_COMP_CNT: 0
	.section	.text._ZN2at6native12_GLOBAL__N_16kernel17gru_cell_backwardIN3c108BFloat16EflLi1EEEvNS_4cuda6detail10TensorInfoIT_T1_EESB_SB_SB_SB_SA_SA_,"axG",@progbits,_ZN2at6native12_GLOBAL__N_16kernel17gru_cell_backwardIN3c108BFloat16EflLi1EEEvNS_4cuda6detail10TensorInfoIT_T1_EESB_SB_SB_SB_SA_SA_,comdat
	.globl	_ZN2at6native12_GLOBAL__N_16kernel17gru_cell_backwardIN3c108BFloat16EflLi1EEEvNS_4cuda6detail10TensorInfoIT_T1_EESB_SB_SB_SB_SA_SA_ ; -- Begin function _ZN2at6native12_GLOBAL__N_16kernel17gru_cell_backwardIN3c108BFloat16EflLi1EEEvNS_4cuda6detail10TensorInfoIT_T1_EESB_SB_SB_SB_SA_SA_
	.p2align	8
	.type	_ZN2at6native12_GLOBAL__N_16kernel17gru_cell_backwardIN3c108BFloat16EflLi1EEEvNS_4cuda6detail10TensorInfoIT_T1_EESB_SB_SB_SB_SA_SA_,@function
_ZN2at6native12_GLOBAL__N_16kernel17gru_cell_backwardIN3c108BFloat16EflLi1EEEvNS_4cuda6detail10TensorInfoIT_T1_EESB_SB_SB_SB_SA_SA_: ; @_ZN2at6native12_GLOBAL__N_16kernel17gru_cell_backwardIN3c108BFloat16EflLi1EEEvNS_4cuda6detail10TensorInfoIT_T1_EESB_SB_SB_SB_SA_SA_
; %bb.0:
	s_clause 0x1
	s_load_b32 s2, s[0:1], 0x83c
	s_load_b128 s[4:7], s[0:1], 0x820
	s_bfe_u32 s3, ttmp6, 0x4000c
	s_and_b32 s8, ttmp6, 15
	s_add_co_i32 s3, s3, 1
	s_getreg_b32 s9, hwreg(HW_REG_IB_STS2, 6, 4)
	s_mul_i32 s3, ttmp9, s3
	v_mov_b32_e32 v2, 0
	s_add_co_i32 s8, s8, s3
	s_delay_alu instid0(VALU_DEP_1)
	v_mov_b32_e32 v1, v2
	s_wait_kmcnt 0x0
	s_and_b32 s2, s2, 0xffff
	s_cmp_eq_u32 s9, 0
	s_cselect_b32 s3, ttmp9, s8
	s_mov_b32 s8, exec_lo
	v_mad_u32 v0, s3, s2, v0
	s_mov_b32 s3, 0
	s_delay_alu instid0(VALU_DEP_1)
	v_cmpx_gt_i64_e64 s[6:7], v[0:1]
	s_cbranch_execz .LBB62_7
; %bb.1:
	s_clause 0x1
	s_load_b64 s[28:29], s[0:1], 0x410
	s_load_b64 s[30:31], s[0:1], 0x5b0
	v_cvt_f32_u32_e32 v3, s4
	s_add_nc_u64 s[8:9], s[0:1], 0x830
	s_clause 0x1
	s_load_b64 s[34:35], s[0:1], 0x4e0
	s_load_b64 s[36:37], s[0:1], 0x340
	s_load_b32 s20, s[8:9], 0x0
	v_rcp_iflag_f32_e32 v3, v3
	s_wait_xcnt 0x0
	s_sub_co_i32 s8, 0, s4
	s_mov_b32 s21, s3
	s_lshl_b64 s[22:23], s[4:5], 2
	s_lshl_b64 s[24:25], s[4:5], 1
	s_mov_b64 s[26:27], 0xffffffff
	v_nop
	v_mul_f32_e32 v3, 0x4f7ffffe, v3
	s_delay_alu instid0(VALU_DEP_1) | instskip(SKIP_3) | instid1(VALU_DEP_3)
	v_cvt_u32_f32_e32 v3, v3
	s_wait_kmcnt 0x0
	v_mul_u64_e32 v[4:5], s[28:29], v[0:1]
	v_mul_u64_e32 v[6:7], s[30:31], v[0:1]
	v_mul_lo_u32 v8, s8, v3
	s_clause 0x5
	s_load_b64 s[8:9], s[0:1], 0x0
	s_load_b64 s[10:11], s[0:1], 0xd0
	;; [unrolled: 1-line block ×6, first 2 shown]
	s_mul_i32 s20, s20, s2
	s_wait_xcnt 0x0
	s_mul_u64 s[0:1], s[20:21], s[28:29]
	s_mul_u64 s[30:31], s[20:21], s[30:31]
	s_lshl_b64 s[28:29], s[0:1], 1
	s_lshl_b64 s[30:31], s[30:31], 1
	s_mov_b32 s1, 0
	v_mul_hi_u32 v8, v3, v8
	s_delay_alu instid0(VALU_DEP_1)
	v_add_nc_u32_e32 v10, v3, v8
	v_lshl_add_u64 v[4:5], v[4:5], 1, s[36:37]
	v_lshl_add_u64 v[6:7], v[6:7], 1, s[34:35]
	s_ashr_i32 s34, s5, 31
	s_branch .LBB62_3
.LBB62_2:                               ;   in Loop: Header=BB62_3 Depth=1
	s_or_b32 exec_lo, exec_lo, s0
	s_delay_alu instid0(VALU_DEP_1) | instskip(NEXT) | instid1(VALU_DEP_1)
	v_lshlrev_b64_e32 v[12:13], 2, v[8:9]
	v_add_nc_u64_e32 v[14:15], 4, v[12:13]
	v_or_b32_e32 v3, 3, v12
	v_mul_lo_u32 v22, s4, v13
	s_delay_alu instid0(VALU_DEP_2) | instskip(NEXT) | instid1(VALU_DEP_4)
	v_mul_lo_u32 v23, s5, v3
	v_mad_nc_u64_u32 v[16:17], s4, v14, v[0:1]
	v_mad_nc_u64_u32 v[18:19], s4, v3, v[0:1]
	s_delay_alu instid0(VALU_DEP_2) | instskip(SKIP_1) | instid1(VALU_DEP_3)
	v_mad_u32 v11, s5, v14, v17
	v_or_b32_e32 v14, 2, v12
	v_add3_u32 v19, v23, v19, v22
	s_delay_alu instid0(VALU_DEP_2)
	v_mul_lo_u32 v3, s5, v14
	v_mad_nc_u64_u32 v[20:21], s4, v14, v[0:1]
	v_or_b32_e32 v14, 1, v12
	v_mad_nc_u64_u32 v[12:13], s22, v8, v[0:1]
	s_wait_kmcnt 0x0
	v_mul_u64_e32 v[18:19], s[18:19], v[18:19]
	v_mad_u32 v17, s4, v15, v11
	v_mul_lo_u32 v11, s5, v14
	v_mad_nc_u64_u32 v[14:15], s4, v14, v[0:1]
	v_add3_u32 v21, v3, v21, v22
	v_mad_u32 v3, s23, v8, v13
	v_mul_u64_e32 v[16:17], s[18:19], v[16:17]
	s_delay_alu instid0(VALU_DEP_3) | instskip(SKIP_1) | instid1(VALU_DEP_1)
	v_mul_u64_e32 v[20:21], s[18:19], v[20:21]
	v_add3_u32 v15, v11, v15, v22
	v_mul_u64_e32 v[14:15], s[18:19], v[14:15]
	v_mad_u32 v13, s22, v9, v3
	v_lshl_add_u64 v[18:19], v[18:19], 1, s[16:17]
	s_delay_alu instid0(VALU_DEP_2)
	v_mul_u64_e32 v[12:13], s[18:19], v[12:13]
	v_lshl_add_u64 v[16:17], v[16:17], 1, s[16:17]
	v_lshl_add_u64 v[20:21], v[20:21], 1, s[16:17]
	s_clause 0x2
	global_load_u16 v3, v[18:19], off
	global_load_u16 v11, v[16:17], off
	;; [unrolled: 1-line block ×3, first 2 shown]
	v_lshl_add_u64 v[14:15], v[14:15], 1, s[16:17]
	global_load_u16 v26, v[14:15], off
	global_load_u16 v28, v[4:5], off
	s_wait_xcnt 0x1
	v_mad_nc_u64_u32 v[14:15], s24, v8, v[0:1]
	s_wait_xcnt 0x0
	v_add_nc_u64_e32 v[4:5], s[28:29], v[4:5]
	v_lshl_add_u64 v[12:13], v[12:13], 1, s[16:17]
	global_load_u16 v29, v[12:13], off
	s_wait_xcnt 0x0
	v_lshlrev_b64_e32 v[12:13], 1, v[8:9]
	v_mad_u32 v8, s25, v8, v15
	s_delay_alu instid0(VALU_DEP_2) | instskip(SKIP_1) | instid1(VALU_DEP_3)
	v_add_nc_u64_e32 v[16:17], 2, v[12:13]
	v_or_b32_e32 v23, 1, v12
	v_mad_u32 v15, s24, v9, v8
	s_delay_alu instid0(VALU_DEP_2) | instskip(NEXT) | instid1(VALU_DEP_4)
	v_mad_nc_u64_u32 v[18:19], s4, v23, v[0:1]
	v_mad_nc_u64_u32 v[20:21], s4, v16, v[0:1]
	v_add_nc_u64_e32 v[0:1], s[20:21], v[0:1]
	s_delay_alu instid0(VALU_DEP_1) | instskip(SKIP_4) | instid1(VALU_DEP_2)
	v_cmp_le_i64_e32 vcc_lo, s[6:7], v[0:1]
	v_mul_u64_e32 v[8:9], s[10:11], v[14:15]
	v_mad_u32 v12, s5, v23, v19
	v_mad_u32 v16, s5, v16, v21
	s_or_b32 s1, vcc_lo, s1
	v_mad_u32 v19, s4, v13, v12
	s_delay_alu instid0(VALU_DEP_2) | instskip(SKIP_1) | instid1(VALU_DEP_3)
	v_mad_u32 v21, s4, v17, v16
	v_mul_u64_e32 v[12:13], s[14:15], v[14:15]
	v_mul_u64_e32 v[16:17], s[10:11], v[18:19]
	;; [unrolled: 1-line block ×3, first 2 shown]
	s_delay_alu instid0(VALU_DEP_4) | instskip(SKIP_3) | instid1(VALU_DEP_3)
	v_mul_u64_e32 v[24:25], s[10:11], v[20:21]
	v_mul_u64_e32 v[20:21], s[14:15], v[20:21]
	v_lshl_add_u64 v[8:9], v[8:9], 1, s[8:9]
	v_lshl_add_u64 v[12:13], v[12:13], 1, s[12:13]
	;; [unrolled: 1-line block ×3, first 2 shown]
	s_wait_loadcnt 0x3
	v_dual_lshlrev_b32 v14, 16, v3 :: v_dual_lshlrev_b32 v15, 16, v22
	s_delay_alu instid0(VALU_DEP_1) | instskip(SKIP_3) | instid1(VALU_DEP_2)
	v_pk_mul_f32 v[22:23], v[14:15], v[14:15]
	s_wait_loadcnt 0x2
	v_dual_sub_f32 v14, v14, v15 :: v_dual_lshlrev_b32 v27, 16, v26
	s_wait_loadcnt 0x1
	v_dual_mov_b32 v26, v23 :: v_dual_lshlrev_b32 v3, 16, v28
	s_delay_alu instid0(VALU_DEP_1) | instskip(SKIP_1) | instid1(VALU_DEP_1)
	v_pk_add_f32 v[22:23], v[26:27], 1.0 op_sel_hi:[1,0] neg_lo:[1,0] neg_hi:[1,0]
	s_wait_loadcnt 0x0
	v_dual_mul_f32 v26, v23, v3 :: v_dual_lshlrev_b32 v28, 16, v29
	v_lshlrev_b32_e32 v11, 16, v11
	v_mul_f32_e32 v14, v14, v3
	s_delay_alu instid0(VALU_DEP_3) | instskip(NEXT) | instid1(VALU_DEP_2)
	v_dual_mul_f32 v22, v22, v26 :: v_dual_mul_f32 v3, v3, v27
	v_dual_sub_f32 v26, 1.0, v28 :: v_dual_mul_f32 v23, v23, v14
	s_delay_alu instid0(VALU_DEP_2)
	v_mul_f32_e32 v11, v22, v11
	v_lshl_add_u64 v[14:15], v[16:17], 1, s[8:9]
	v_lshl_add_u64 v[16:17], v[18:19], 1, s[12:13]
	;; [unrolled: 1-line block ×3, first 2 shown]
	v_mul_f32_e32 v23, v23, v27
	v_mul_f32_e32 v11, v26, v11
	;; [unrolled: 1-line block ×3, first 2 shown]
	v_bfe_u32 v26, v3, 16, 1
	v_cmp_o_f32_e64 s0, v3, v3
	v_bfe_u32 v25, v23, 16, 1
	s_delay_alu instid0(VALU_DEP_4) | instskip(NEXT) | instid1(VALU_DEP_4)
	v_bfe_u32 v29, v27, 16, 1
	v_add3_u32 v24, v3, v26, 0x7fff
	v_bfe_u32 v26, v22, 16, 1
	s_delay_alu instid0(VALU_DEP_4) | instskip(NEXT) | instid1(VALU_DEP_3)
	v_add3_u32 v25, v23, v25, 0x7fff
	v_lshrrev_b32_e32 v24, 16, v24
	s_delay_alu instid0(VALU_DEP_3) | instskip(SKIP_1) | instid1(VALU_DEP_3)
	v_add3_u32 v26, v22, v26, 0x7fff
	v_mul_f32_e32 v11, v11, v28
	v_cndmask_b32_e64 v3, 0x7fc0, v24, s0
	s_delay_alu instid0(VALU_DEP_3) | instskip(NEXT) | instid1(VALU_DEP_3)
	v_lshrrev_b32_e32 v26, 16, v26
	v_bfe_u32 v28, v11, 16, 1
	v_lshrrev_b32_e32 v24, 16, v25
	v_cmp_o_f32_e64 s0, v23, v23
	v_add3_u32 v25, v27, v29, 0x7fff
	s_delay_alu instid0(VALU_DEP_4) | instskip(NEXT) | instid1(VALU_DEP_3)
	v_add3_u32 v28, v11, v28, 0x7fff
	v_cndmask_b32_e64 v23, 0x7fc0, v24, s0
	v_cmp_o_f32_e64 s0, v11, v11
	s_delay_alu instid0(VALU_DEP_3) | instskip(NEXT) | instid1(VALU_DEP_1)
	v_dual_lshrrev_b32 v24, 16, v25 :: v_dual_lshrrev_b32 v28, 16, v28
	v_cndmask_b32_e64 v11, 0x7fc0, v28, s0
	v_cmp_o_f32_e64 s0, v22, v22
	s_delay_alu instid0(VALU_DEP_1) | instskip(SKIP_1) | instid1(VALU_DEP_1)
	v_cndmask_b32_e64 v22, 0x7fc0, v26, s0
	v_cmp_o_f32_e64 s0, v27, v27
	v_cndmask_b32_e64 v24, 0x7fc0, v24, s0
	s_clause 0x2
	global_store_b16 v[8:9], v11, off
	global_store_b16 v[14:15], v23, off
	;; [unrolled: 1-line block ×3, first 2 shown]
	s_clause 0x2
	global_store_b16 v[12:13], v11, off
	global_store_b16 v[16:17], v23, off
	;; [unrolled: 1-line block ×4, first 2 shown]
	s_wait_xcnt 0x0
	v_add_nc_u64_e32 v[6:7], s[30:31], v[6:7]
	s_and_not1_b32 exec_lo, exec_lo, s1
	s_cbranch_execz .LBB62_7
.LBB62_3:                               ; =>This Inner Loop Header: Depth=1
	v_or_b32_e32 v3, s5, v1
                                        ; implicit-def: $vgpr8_vgpr9
	s_mov_b32 s0, exec_lo
	s_delay_alu instid0(VALU_DEP_1)
	v_cmpx_ne_u64_e32 0, v[2:3]
	s_xor_b32 s33, exec_lo, s0
	s_cbranch_execz .LBB62_5
; %bb.4:                                ;   in Loop: Header=BB62_3 Depth=1
	s_mov_b32 s35, s34
	v_dual_mov_b32 v15, v2 :: v_dual_ashrrev_i32 v8, 31, v1
	s_add_nc_u64 s[36:37], s[4:5], s[34:35]
	v_mov_b32_e32 v19, v2
	s_xor_b64 s[36:37], s[36:37], s[34:35]
	s_delay_alu instid0(VALU_DEP_2)
	v_mov_b32_e32 v9, v8
	s_cvt_f32_u32 s0, s36
	s_cvt_f32_u32 s2, s37
	s_sub_nc_u64 s[40:41], 0, s[36:37]
	v_mov_b32_e32 v23, v2
	v_add_nc_u64_e32 v[12:13], v[0:1], v[8:9]
	s_fmamk_f32 s0, s2, 0x4f800000, s0
	s_delay_alu instid0(SALU_CYCLE_3) | instskip(NEXT) | instid1(VALU_DEP_1)
	v_s_rcp_f32 s0, s0
	v_xor_b32_e32 v14, v12, v8
	s_delay_alu instid0(VALU_DEP_2) | instskip(NEXT) | instid1(TRANS32_DEP_1)
	v_xor_b32_e32 v18, v13, v8
	s_mul_f32 s0, s0, 0x5f7ffffc
	s_delay_alu instid0(SALU_CYCLE_3) | instskip(NEXT) | instid1(SALU_CYCLE_3)
	s_mul_f32 s2, s0, 0x2f800000
	s_trunc_f32 s2, s2
	s_delay_alu instid0(SALU_CYCLE_3) | instskip(SKIP_1) | instid1(SALU_CYCLE_2)
	s_fmamk_f32 s0, s2, 0xcf800000, s0
	s_cvt_u32_f32 s39, s2
	s_cvt_u32_f32 s38, s0
	s_delay_alu instid0(SALU_CYCLE_3) | instskip(NEXT) | instid1(SALU_CYCLE_1)
	s_mul_u64 s[42:43], s[40:41], s[38:39]
	s_mul_hi_u32 s45, s38, s43
	s_mul_i32 s44, s38, s43
	s_mul_hi_u32 s2, s38, s42
	s_mul_i32 s35, s39, s42
	s_add_nc_u64 s[44:45], s[2:3], s[44:45]
	s_mul_hi_u32 s0, s39, s42
	s_mul_hi_u32 s46, s39, s43
	s_add_co_u32 s2, s44, s35
	s_add_co_ci_u32 s2, s45, s0
	s_mul_i32 s42, s39, s43
	s_add_co_ci_u32 s43, s46, 0
	s_delay_alu instid0(SALU_CYCLE_1) | instskip(NEXT) | instid1(SALU_CYCLE_1)
	s_add_nc_u64 s[42:43], s[2:3], s[42:43]
	s_add_co_u32 s38, s38, s42
	s_cselect_b32 s0, -1, 0
	s_delay_alu instid0(SALU_CYCLE_1) | instskip(SKIP_1) | instid1(SALU_CYCLE_1)
	s_cmp_lg_u32 s0, 0
	s_add_co_ci_u32 s39, s39, s43
	s_mul_u64 s[40:41], s[40:41], s[38:39]
	s_delay_alu instid0(SALU_CYCLE_1)
	s_mul_hi_u32 s43, s38, s41
	s_mul_i32 s42, s38, s41
	s_mul_hi_u32 s2, s38, s40
	s_mul_i32 s35, s39, s40
	s_add_nc_u64 s[42:43], s[2:3], s[42:43]
	s_mul_hi_u32 s0, s39, s40
	s_mul_hi_u32 s44, s39, s41
	s_add_co_u32 s2, s42, s35
	s_add_co_ci_u32 s2, s43, s0
	s_mul_i32 s40, s39, s41
	s_add_co_ci_u32 s41, s44, 0
	s_delay_alu instid0(SALU_CYCLE_1) | instskip(NEXT) | instid1(SALU_CYCLE_1)
	s_add_nc_u64 s[40:41], s[2:3], s[40:41]
	s_add_co_u32 s0, s38, s40
	s_cselect_b32 s2, -1, 0
	v_mul_hi_u32 v22, v14, s0
	s_cmp_lg_u32 s2, 0
	s_add_co_ci_u32 s2, s39, s41
	s_and_b64 s[38:39], s[0:1], s[26:27]
	v_mul_u64_e32 v[16:17], s[2:3], v[14:15]
	v_mul_u64_e32 v[12:13], s[38:39], v[18:19]
	;; [unrolled: 1-line block ×3, first 2 shown]
	s_delay_alu instid0(VALU_DEP_3) | instskip(NEXT) | instid1(VALU_DEP_1)
	v_add_nc_u64_e32 v[16:17], v[22:23], v[16:17]
	v_add_co_u32 v3, vcc_lo, v16, v12
	s_delay_alu instid0(VALU_DEP_2) | instskip(NEXT) | instid1(VALU_DEP_4)
	v_add_co_ci_u32_e32 v22, vcc_lo, v17, v13, vcc_lo
	v_add_co_ci_u32_e32 v21, vcc_lo, 0, v21, vcc_lo
	s_delay_alu instid0(VALU_DEP_1) | instskip(NEXT) | instid1(VALU_DEP_1)
	v_add_nc_u64_e32 v[12:13], v[22:23], v[20:21]
	v_mul_u64_e32 v[16:17], s[36:37], v[12:13]
	s_delay_alu instid0(VALU_DEP_1) | instskip(NEXT) | instid1(VALU_DEP_2)
	v_sub_nc_u32_e32 v3, v18, v17
	v_sub_co_u32 v9, vcc_lo, v14, v16
	s_delay_alu instid0(VALU_DEP_1) | instskip(NEXT) | instid1(VALU_DEP_3)
	v_sub_co_ci_u32_e64 v18, null, v18, v17, vcc_lo
	v_subrev_co_ci_u32_e64 v3, null, s37, v3, vcc_lo
	s_delay_alu instid0(VALU_DEP_3) | instskip(SKIP_1) | instid1(VALU_DEP_3)
	v_sub_co_u32 v11, s0, v9, s36
	v_add_nc_u64_e32 v[16:17], 1, v[12:13]
	v_subrev_co_ci_u32_e64 v3, null, 0, v3, s0
	s_delay_alu instid0(VALU_DEP_3) | instskip(SKIP_1) | instid1(VALU_DEP_3)
	v_cmp_le_u32_e32 vcc_lo, s36, v11
	v_cndmask_b32_e64 v11, 0, -1, vcc_lo
	v_cmp_le_u32_e32 vcc_lo, s37, v3
	v_cndmask_b32_e64 v14, 0, -1, vcc_lo
	;; [unrolled: 2-line block ×4, first 2 shown]
	v_cmp_eq_u32_e32 vcc_lo, s37, v3
	v_cndmask_b32_e32 v3, v14, v11, vcc_lo
	v_cmp_eq_u32_e32 vcc_lo, s37, v18
	v_add_nc_u64_e32 v[14:15], 2, v[12:13]
	v_cndmask_b32_e32 v9, v19, v9, vcc_lo
	s_delay_alu instid0(VALU_DEP_4) | instskip(NEXT) | instid1(VALU_DEP_3)
	v_cmp_ne_u32_e32 vcc_lo, 0, v3
	v_cndmask_b32_e32 v3, v17, v15, vcc_lo
	s_delay_alu instid0(VALU_DEP_3) | instskip(SKIP_1) | instid1(VALU_DEP_1)
	v_cmp_ne_u32_e64 s0, 0, v9
	v_dual_cndmask_b32 v9, v16, v14, vcc_lo :: v_dual_bitop2_b32 v8, s34, v8 bitop3:0x14
	v_dual_cndmask_b32 v3, v13, v3, s0 :: v_dual_cndmask_b32 v11, v12, v9, s0
	s_delay_alu instid0(VALU_DEP_1) | instskip(NEXT) | instid1(VALU_DEP_2)
	v_dual_mov_b32 v9, v8 :: v_dual_bitop2_b32 v13, v3, v8 bitop3:0x14
	v_xor_b32_e32 v12, v11, v8
	s_delay_alu instid0(VALU_DEP_1)
	v_sub_nc_u64_e32 v[8:9], v[12:13], v[8:9]
.LBB62_5:                               ;   in Loop: Header=BB62_3 Depth=1
	s_and_not1_saveexec_b32 s0, s33
	s_cbranch_execz .LBB62_2
; %bb.6:                                ;   in Loop: Header=BB62_3 Depth=1
	v_mul_hi_u32 v3, v0, v10
	s_delay_alu instid0(VALU_DEP_1) | instskip(NEXT) | instid1(VALU_DEP_1)
	v_mul_lo_u32 v8, v3, s4
	v_dual_add_nc_u32 v9, 1, v3 :: v_dual_sub_nc_u32 v8, v0, v8
	s_delay_alu instid0(VALU_DEP_1) | instskip(SKIP_1) | instid1(VALU_DEP_2)
	v_subrev_nc_u32_e32 v11, s4, v8
	v_cmp_le_u32_e32 vcc_lo, s4, v8
	v_dual_cndmask_b32 v8, v8, v11 :: v_dual_cndmask_b32 v3, v3, v9
	s_delay_alu instid0(VALU_DEP_1) | instskip(NEXT) | instid1(VALU_DEP_2)
	v_cmp_le_u32_e32 vcc_lo, s4, v8
	v_add_nc_u32_e32 v9, 1, v3
	s_delay_alu instid0(VALU_DEP_1)
	v_dual_cndmask_b32 v8, v3, v9 :: v_dual_mov_b32 v9, v2
	s_branch .LBB62_2
.LBB62_7:
	s_endpgm
	.section	.rodata,"a",@progbits
	.p2align	6, 0x0
	.amdhsa_kernel _ZN2at6native12_GLOBAL__N_16kernel17gru_cell_backwardIN3c108BFloat16EflLi1EEEvNS_4cuda6detail10TensorInfoIT_T1_EESB_SB_SB_SB_SA_SA_
		.amdhsa_group_segment_fixed_size 0
		.amdhsa_private_segment_fixed_size 0
		.amdhsa_kernarg_size 2352
		.amdhsa_user_sgpr_count 2
		.amdhsa_user_sgpr_dispatch_ptr 0
		.amdhsa_user_sgpr_queue_ptr 0
		.amdhsa_user_sgpr_kernarg_segment_ptr 1
		.amdhsa_user_sgpr_dispatch_id 0
		.amdhsa_user_sgpr_kernarg_preload_length 0
		.amdhsa_user_sgpr_kernarg_preload_offset 0
		.amdhsa_user_sgpr_private_segment_size 0
		.amdhsa_wavefront_size32 1
		.amdhsa_uses_dynamic_stack 0
		.amdhsa_enable_private_segment 0
		.amdhsa_system_sgpr_workgroup_id_x 1
		.amdhsa_system_sgpr_workgroup_id_y 0
		.amdhsa_system_sgpr_workgroup_id_z 0
		.amdhsa_system_sgpr_workgroup_info 0
		.amdhsa_system_vgpr_workitem_id 0
		.amdhsa_next_free_vgpr 30
		.amdhsa_next_free_sgpr 47
		.amdhsa_named_barrier_count 0
		.amdhsa_reserve_vcc 1
		.amdhsa_float_round_mode_32 0
		.amdhsa_float_round_mode_16_64 0
		.amdhsa_float_denorm_mode_32 3
		.amdhsa_float_denorm_mode_16_64 3
		.amdhsa_fp16_overflow 0
		.amdhsa_memory_ordered 1
		.amdhsa_forward_progress 1
		.amdhsa_inst_pref_size 16
		.amdhsa_round_robin_scheduling 0
		.amdhsa_exception_fp_ieee_invalid_op 0
		.amdhsa_exception_fp_denorm_src 0
		.amdhsa_exception_fp_ieee_div_zero 0
		.amdhsa_exception_fp_ieee_overflow 0
		.amdhsa_exception_fp_ieee_underflow 0
		.amdhsa_exception_fp_ieee_inexact 0
		.amdhsa_exception_int_div_zero 0
	.end_amdhsa_kernel
	.section	.text._ZN2at6native12_GLOBAL__N_16kernel17gru_cell_backwardIN3c108BFloat16EflLi1EEEvNS_4cuda6detail10TensorInfoIT_T1_EESB_SB_SB_SB_SA_SA_,"axG",@progbits,_ZN2at6native12_GLOBAL__N_16kernel17gru_cell_backwardIN3c108BFloat16EflLi1EEEvNS_4cuda6detail10TensorInfoIT_T1_EESB_SB_SB_SB_SA_SA_,comdat
.Lfunc_end62:
	.size	_ZN2at6native12_GLOBAL__N_16kernel17gru_cell_backwardIN3c108BFloat16EflLi1EEEvNS_4cuda6detail10TensorInfoIT_T1_EESB_SB_SB_SB_SA_SA_, .Lfunc_end62-_ZN2at6native12_GLOBAL__N_16kernel17gru_cell_backwardIN3c108BFloat16EflLi1EEEvNS_4cuda6detail10TensorInfoIT_T1_EESB_SB_SB_SB_SA_SA_
                                        ; -- End function
	.set _ZN2at6native12_GLOBAL__N_16kernel17gru_cell_backwardIN3c108BFloat16EflLi1EEEvNS_4cuda6detail10TensorInfoIT_T1_EESB_SB_SB_SB_SA_SA_.num_vgpr, 30
	.set _ZN2at6native12_GLOBAL__N_16kernel17gru_cell_backwardIN3c108BFloat16EflLi1EEEvNS_4cuda6detail10TensorInfoIT_T1_EESB_SB_SB_SB_SA_SA_.num_agpr, 0
	.set _ZN2at6native12_GLOBAL__N_16kernel17gru_cell_backwardIN3c108BFloat16EflLi1EEEvNS_4cuda6detail10TensorInfoIT_T1_EESB_SB_SB_SB_SA_SA_.numbered_sgpr, 47
	.set _ZN2at6native12_GLOBAL__N_16kernel17gru_cell_backwardIN3c108BFloat16EflLi1EEEvNS_4cuda6detail10TensorInfoIT_T1_EESB_SB_SB_SB_SA_SA_.num_named_barrier, 0
	.set _ZN2at6native12_GLOBAL__N_16kernel17gru_cell_backwardIN3c108BFloat16EflLi1EEEvNS_4cuda6detail10TensorInfoIT_T1_EESB_SB_SB_SB_SA_SA_.private_seg_size, 0
	.set _ZN2at6native12_GLOBAL__N_16kernel17gru_cell_backwardIN3c108BFloat16EflLi1EEEvNS_4cuda6detail10TensorInfoIT_T1_EESB_SB_SB_SB_SA_SA_.uses_vcc, 1
	.set _ZN2at6native12_GLOBAL__N_16kernel17gru_cell_backwardIN3c108BFloat16EflLi1EEEvNS_4cuda6detail10TensorInfoIT_T1_EESB_SB_SB_SB_SA_SA_.uses_flat_scratch, 0
	.set _ZN2at6native12_GLOBAL__N_16kernel17gru_cell_backwardIN3c108BFloat16EflLi1EEEvNS_4cuda6detail10TensorInfoIT_T1_EESB_SB_SB_SB_SA_SA_.has_dyn_sized_stack, 0
	.set _ZN2at6native12_GLOBAL__N_16kernel17gru_cell_backwardIN3c108BFloat16EflLi1EEEvNS_4cuda6detail10TensorInfoIT_T1_EESB_SB_SB_SB_SA_SA_.has_recursion, 0
	.set _ZN2at6native12_GLOBAL__N_16kernel17gru_cell_backwardIN3c108BFloat16EflLi1EEEvNS_4cuda6detail10TensorInfoIT_T1_EESB_SB_SB_SB_SA_SA_.has_indirect_call, 0
	.section	.AMDGPU.csdata,"",@progbits
; Kernel info:
; codeLenInByte = 2048
; TotalNumSgprs: 49
; NumVgprs: 30
; ScratchSize: 0
; MemoryBound: 0
; FloatMode: 240
; IeeeMode: 1
; LDSByteSize: 0 bytes/workgroup (compile time only)
; SGPRBlocks: 0
; VGPRBlocks: 1
; NumSGPRsForWavesPerEU: 49
; NumVGPRsForWavesPerEU: 30
; NamedBarCnt: 0
; Occupancy: 16
; WaveLimiterHint : 1
; COMPUTE_PGM_RSRC2:SCRATCH_EN: 0
; COMPUTE_PGM_RSRC2:USER_SGPR: 2
; COMPUTE_PGM_RSRC2:TRAP_HANDLER: 0
; COMPUTE_PGM_RSRC2:TGID_X_EN: 1
; COMPUTE_PGM_RSRC2:TGID_Y_EN: 0
; COMPUTE_PGM_RSRC2:TGID_Z_EN: 0
; COMPUTE_PGM_RSRC2:TIDIG_COMP_CNT: 0
	.section	.text._ZN2at6native12_GLOBAL__N_16kernel17gru_cell_backwardIN3c108BFloat16EflLi2EEEvNS_4cuda6detail10TensorInfoIT_T1_EESB_SB_SB_SB_SA_SA_,"axG",@progbits,_ZN2at6native12_GLOBAL__N_16kernel17gru_cell_backwardIN3c108BFloat16EflLi2EEEvNS_4cuda6detail10TensorInfoIT_T1_EESB_SB_SB_SB_SA_SA_,comdat
	.globl	_ZN2at6native12_GLOBAL__N_16kernel17gru_cell_backwardIN3c108BFloat16EflLi2EEEvNS_4cuda6detail10TensorInfoIT_T1_EESB_SB_SB_SB_SA_SA_ ; -- Begin function _ZN2at6native12_GLOBAL__N_16kernel17gru_cell_backwardIN3c108BFloat16EflLi2EEEvNS_4cuda6detail10TensorInfoIT_T1_EESB_SB_SB_SB_SA_SA_
	.p2align	8
	.type	_ZN2at6native12_GLOBAL__N_16kernel17gru_cell_backwardIN3c108BFloat16EflLi2EEEvNS_4cuda6detail10TensorInfoIT_T1_EESB_SB_SB_SB_SA_SA_,@function
_ZN2at6native12_GLOBAL__N_16kernel17gru_cell_backwardIN3c108BFloat16EflLi2EEEvNS_4cuda6detail10TensorInfoIT_T1_EESB_SB_SB_SB_SA_SA_: ; @_ZN2at6native12_GLOBAL__N_16kernel17gru_cell_backwardIN3c108BFloat16EflLi2EEEvNS_4cuda6detail10TensorInfoIT_T1_EESB_SB_SB_SB_SA_SA_
; %bb.0:
	s_clause 0x1
	s_load_b32 s2, s[0:1], 0x83c
	s_load_b128 s[4:7], s[0:1], 0x820
	s_bfe_u32 s3, ttmp6, 0x4000c
	s_and_b32 s8, ttmp6, 15
	s_add_co_i32 s3, s3, 1
	s_getreg_b32 s9, hwreg(HW_REG_IB_STS2, 6, 4)
	s_mul_i32 s3, ttmp9, s3
	v_mov_b32_e32 v2, 0
	s_add_co_i32 s8, s8, s3
	s_delay_alu instid0(VALU_DEP_1)
	v_mov_b32_e32 v1, v2
	s_wait_kmcnt 0x0
	s_and_b32 s2, s2, 0xffff
	s_cmp_eq_u32 s9, 0
	s_cselect_b32 s3, ttmp9, s8
	s_mov_b32 s8, exec_lo
	v_mad_u32 v0, s3, s2, v0
	s_mov_b32 s3, 0
	s_delay_alu instid0(VALU_DEP_1)
	v_cmpx_gt_i64_e64 s[6:7], v[0:1]
	s_cbranch_execz .LBB63_59
; %bb.1:
	s_add_nc_u64 s[24:25], s[0:1], 0x830
	v_cvt_f32_u32_e32 v3, s4
	s_clause 0x5
	s_load_b64 s[28:29], s[0:1], 0x0
	s_load_b64 s[30:31], s[0:1], 0x10
	s_load_b128 s[8:11], s[0:1], 0xd0
	s_load_b64 s[34:35], s[0:1], 0x1a0
	s_load_b64 s[36:37], s[0:1], 0x1b0
	s_load_b128 s[12:15], s[0:1], 0x270
	s_load_b32 s33, s[24:25], 0x0
	s_clause 0x7
	s_load_b64 s[38:39], s[0:1], 0x340
	s_load_b64 s[40:41], s[0:1], 0x350
	s_load_b128 s[16:19], s[0:1], 0x410
	s_load_b64 s[42:43], s[0:1], 0x4e0
	s_load_b64 s[44:45], s[0:1], 0x4f0
	s_load_b128 s[20:23], s[0:1], 0x5b0
	s_load_b64 s[46:47], s[0:1], 0x680
	s_load_b64 s[48:49], s[0:1], 0x690
	s_wait_xcnt 0x0
	s_load_b128 s[24:27], s[0:1], 0x750
	s_mov_b32 s51, s3
	s_lshl_b64 s[52:53], s[4:5], 2
	v_rcp_iflag_f32_e32 v3, v3
	s_lshl_b64 s[54:55], s[4:5], 1
	s_mov_b64 s[56:57], 0xffffffff
	s_ashr_i32 s62, s5, 31
	s_wait_xcnt 0x0
	s_mov_b32 s1, 0
	v_nop
	v_mul_f32_e32 v3, 0x4f7ffffe, v3
	s_wait_kmcnt 0x0
	s_mul_i32 s50, s33, s2
	s_delay_alu instid0(VALU_DEP_1)
	v_cvt_u32_f32_e32 v32, v3
	s_sub_nc_u64 s[58:59], 0, s[40:41]
	s_sub_nc_u64 s[60:61], 0, s[44:45]
	s_branch .LBB63_3
.LBB63_2:                               ;   in Loop: Header=BB63_3 Depth=1
	s_or_b32 exec_lo, exec_lo, s0
	s_delay_alu instid0(VALU_DEP_1) | instskip(SKIP_1) | instid1(VALU_DEP_1)
	v_mad_nc_u64_u32 v[4:5], s60, v6, v[0:1]
	v_add_nc_u64_e32 v[0:1], s[50:51], v[0:1]
	v_cmp_le_i64_e32 vcc_lo, s[6:7], v[0:1]
	s_delay_alu instid0(VALU_DEP_3) | instskip(SKIP_1) | instid1(VALU_DEP_1)
	v_mad_u32 v3, s61, v6, v5
	s_or_b32 s1, vcc_lo, s1
	v_mad_u32 v5, s60, v7, v3
	v_mul_u64_e32 v[6:7], s[20:21], v[6:7]
	v_mul_f32_e32 v3, v33, v9
	s_delay_alu instid0(VALU_DEP_1) | instskip(NEXT) | instid1(VALU_DEP_4)
	v_bfe_u32 v8, v3, 16, 1
	v_mul_u64_e32 v[4:5], s[22:23], v[4:5]
	s_delay_alu instid0(VALU_DEP_2) | instskip(NEXT) | instid1(VALU_DEP_1)
	v_add3_u32 v8, v3, v8, 0x7fff
	v_lshrrev_b32_e32 v8, 16, v8
	v_cmp_o_f32_e64 s0, v3, v3
	s_delay_alu instid0(VALU_DEP_1) | instskip(SKIP_1) | instid1(VALU_DEP_1)
	v_cndmask_b32_e64 v3, 0x7fc0, v8, s0
	v_lshl_add_u64 v[6:7], v[6:7], 1, s[42:43]
	v_lshl_add_u64 v[4:5], v[4:5], 1, v[6:7]
	global_store_b16 v[4:5], v3, off
	s_wait_xcnt 0x0
	s_and_not1_b32 exec_lo, exec_lo, s1
	s_cbranch_execz .LBB63_59
.LBB63_3:                               ; =>This Inner Loop Header: Depth=1
	v_dual_ashrrev_i32 v4, 31, v1 :: v_dual_bitop2_b32 v3, s5, v1 bitop3:0x54
                                        ; implicit-def: $vgpr6_vgpr7
	s_mov_b32 s0, exec_lo
	s_delay_alu instid0(VALU_DEP_1)
	v_cmpx_ne_u64_e32 0, v[2:3]
	s_xor_b32 s33, exec_lo, s0
	s_cbranch_execz .LBB63_5
; %bb.4:                                ;   in Loop: Header=BB63_3 Depth=1
	s_mov_b32 s63, s62
	v_dual_mov_b32 v5, v4 :: v_dual_mov_b32 v9, v2
	s_add_nc_u64 s[64:65], s[4:5], s[62:63]
	v_mov_b32_e32 v17, v2
	s_xor_b64 s[64:65], s[64:65], s[62:63]
	s_delay_alu instid0(VALU_DEP_2) | instskip(SKIP_4) | instid1(SALU_CYCLE_1)
	v_add_nc_u64_e32 v[6:7], v[0:1], v[4:5]
	s_cvt_f32_u32 s0, s64
	s_cvt_f32_u32 s2, s65
	s_sub_nc_u64 s[68:69], 0, s[64:65]
	v_mov_b32_e32 v13, v2
	s_fmamk_f32 s0, s2, 0x4f800000, s0
	s_delay_alu instid0(VALU_DEP_2) | instskip(SKIP_1) | instid1(SALU_CYCLE_1)
	v_xor_b32_e32 v12, v7, v4
	v_xor_b32_e32 v8, v6, v4
	v_s_rcp_f32 s0, s0
	s_delay_alu instid0(TRANS32_DEP_1) | instskip(NEXT) | instid1(SALU_CYCLE_3)
	s_mul_f32 s0, s0, 0x5f7ffffc
	s_mul_f32 s2, s0, 0x2f800000
	s_delay_alu instid0(SALU_CYCLE_3) | instskip(NEXT) | instid1(SALU_CYCLE_3)
	s_trunc_f32 s2, s2
	s_fmamk_f32 s0, s2, 0xcf800000, s0
	s_cvt_u32_f32 s67, s2
	s_delay_alu instid0(SALU_CYCLE_2) | instskip(NEXT) | instid1(SALU_CYCLE_3)
	s_cvt_u32_f32 s66, s0
	s_mul_u64 s[70:71], s[68:69], s[66:67]
	s_delay_alu instid0(SALU_CYCLE_1)
	s_mul_hi_u32 s73, s66, s71
	s_mul_i32 s72, s66, s71
	s_mul_hi_u32 s2, s66, s70
	s_mul_i32 s63, s67, s70
	s_add_nc_u64 s[72:73], s[2:3], s[72:73]
	s_mul_hi_u32 s0, s67, s70
	s_mul_hi_u32 s74, s67, s71
	s_add_co_u32 s2, s72, s63
	s_add_co_ci_u32 s2, s73, s0
	s_mul_i32 s70, s67, s71
	s_add_co_ci_u32 s71, s74, 0
	s_delay_alu instid0(SALU_CYCLE_1) | instskip(NEXT) | instid1(SALU_CYCLE_1)
	s_add_nc_u64 s[70:71], s[2:3], s[70:71]
	s_add_co_u32 s66, s66, s70
	s_cselect_b32 s0, -1, 0
	s_delay_alu instid0(SALU_CYCLE_1) | instskip(SKIP_1) | instid1(SALU_CYCLE_1)
	s_cmp_lg_u32 s0, 0
	s_add_co_ci_u32 s67, s67, s71
	s_mul_u64 s[68:69], s[68:69], s[66:67]
	s_delay_alu instid0(SALU_CYCLE_1)
	s_mul_hi_u32 s71, s66, s69
	s_mul_i32 s70, s66, s69
	s_mul_hi_u32 s2, s66, s68
	s_mul_i32 s63, s67, s68
	s_add_nc_u64 s[70:71], s[2:3], s[70:71]
	s_mul_hi_u32 s0, s67, s68
	s_mul_hi_u32 s72, s67, s69
	s_add_co_u32 s2, s70, s63
	s_add_co_ci_u32 s2, s71, s0
	s_mul_i32 s68, s67, s69
	s_add_co_ci_u32 s69, s72, 0
	s_delay_alu instid0(SALU_CYCLE_1) | instskip(NEXT) | instid1(SALU_CYCLE_1)
	s_add_nc_u64 s[68:69], s[2:3], s[68:69]
	s_add_co_u32 s0, s66, s68
	s_cselect_b32 s2, -1, 0
	v_nop
	v_mul_hi_u32 v16, v8, s0
	s_cmp_lg_u32 s2, 0
	s_add_co_ci_u32 s2, s67, s69
	s_and_b64 s[66:67], s[0:1], s[56:57]
	v_mul_u64_e32 v[10:11], s[2:3], v[8:9]
	v_mul_u64_e32 v[6:7], s[66:67], v[12:13]
	;; [unrolled: 1-line block ×3, first 2 shown]
	s_delay_alu instid0(VALU_DEP_3) | instskip(NEXT) | instid1(VALU_DEP_1)
	v_add_nc_u64_e32 v[10:11], v[16:17], v[10:11]
	v_add_co_u32 v3, vcc_lo, v10, v6
	s_delay_alu instid0(VALU_DEP_2) | instskip(NEXT) | instid1(VALU_DEP_4)
	v_add_co_ci_u32_e32 v16, vcc_lo, v11, v7, vcc_lo
	v_add_co_ci_u32_e32 v15, vcc_lo, 0, v15, vcc_lo
	s_delay_alu instid0(VALU_DEP_1) | instskip(NEXT) | instid1(VALU_DEP_1)
	v_add_nc_u64_e32 v[6:7], v[16:17], v[14:15]
	v_mul_u64_e32 v[10:11], s[64:65], v[6:7]
	s_delay_alu instid0(VALU_DEP_1) | instskip(NEXT) | instid1(VALU_DEP_2)
	v_sub_nc_u32_e32 v3, v12, v11
	v_sub_co_u32 v5, vcc_lo, v8, v10
	s_delay_alu instid0(VALU_DEP_1) | instskip(NEXT) | instid1(VALU_DEP_3)
	v_sub_co_ci_u32_e64 v12, null, v12, v11, vcc_lo
	v_subrev_co_ci_u32_e64 v3, null, s65, v3, vcc_lo
	s_delay_alu instid0(VALU_DEP_3) | instskip(SKIP_1) | instid1(VALU_DEP_3)
	v_sub_co_u32 v8, s0, v5, s64
	v_add_nc_u64_e32 v[10:11], 1, v[6:7]
	v_subrev_co_ci_u32_e64 v3, null, 0, v3, s0
	s_delay_alu instid0(VALU_DEP_3) | instskip(SKIP_1) | instid1(VALU_DEP_3)
	v_cmp_le_u32_e32 vcc_lo, s64, v8
	v_cndmask_b32_e64 v8, 0, -1, vcc_lo
	v_cmp_le_u32_e32 vcc_lo, s65, v3
	v_cndmask_b32_e64 v9, 0, -1, vcc_lo
	;; [unrolled: 2-line block ×4, first 2 shown]
	v_cmp_eq_u32_e32 vcc_lo, s65, v3
	v_cndmask_b32_e32 v3, v9, v8, vcc_lo
	v_cmp_eq_u32_e32 vcc_lo, s65, v12
	v_add_nc_u64_e32 v[8:9], 2, v[6:7]
	v_cndmask_b32_e32 v5, v13, v5, vcc_lo
	s_delay_alu instid0(VALU_DEP_4) | instskip(NEXT) | instid1(VALU_DEP_2)
	v_cmp_ne_u32_e32 vcc_lo, 0, v3
	v_cmp_ne_u32_e64 s0, 0, v5
	s_delay_alu instid0(VALU_DEP_4) | instskip(NEXT) | instid1(VALU_DEP_1)
	v_dual_cndmask_b32 v3, v11, v9, vcc_lo :: v_dual_cndmask_b32 v5, v10, v8, vcc_lo
	v_dual_cndmask_b32 v3, v7, v3, s0 :: v_dual_bitop2_b32 v8, s62, v4 bitop3:0x14
	s_delay_alu instid0(VALU_DEP_1) | instskip(NEXT) | instid1(VALU_DEP_2)
	v_dual_cndmask_b32 v5, v6, v5, s0 :: v_dual_mov_b32 v9, v8
	v_xor_b32_e32 v7, v3, v8
	s_delay_alu instid0(VALU_DEP_2) | instskip(NEXT) | instid1(VALU_DEP_1)
	v_xor_b32_e32 v6, v5, v8
	v_sub_nc_u64_e32 v[6:7], v[6:7], v[8:9]
.LBB63_5:                               ;   in Loop: Header=BB63_3 Depth=1
	s_and_not1_saveexec_b32 s0, s33
	s_cbranch_execz .LBB63_7
; %bb.6:                                ;   in Loop: Header=BB63_3 Depth=1
	s_sub_co_i32 s2, 0, s4
	s_delay_alu instid0(SALU_CYCLE_1) | instskip(NEXT) | instid1(VALU_DEP_1)
	v_mul_lo_u32 v3, s2, v32
	v_mul_hi_u32 v3, v32, v3
	s_delay_alu instid0(VALU_DEP_1) | instskip(NEXT) | instid1(VALU_DEP_1)
	v_add_nc_u32_e32 v3, v32, v3
	v_mul_hi_u32 v3, v0, v3
	s_delay_alu instid0(VALU_DEP_1) | instskip(NEXT) | instid1(VALU_DEP_1)
	v_mul_lo_u32 v5, v3, s4
	v_dual_add_nc_u32 v6, 1, v3 :: v_dual_sub_nc_u32 v5, v0, v5
	s_delay_alu instid0(VALU_DEP_1) | instskip(SKIP_1) | instid1(VALU_DEP_2)
	v_subrev_nc_u32_e32 v7, s4, v5
	v_cmp_le_u32_e32 vcc_lo, s4, v5
	v_dual_cndmask_b32 v5, v5, v7, vcc_lo :: v_dual_cndmask_b32 v3, v3, v6, vcc_lo
	v_mov_b32_e32 v7, v2
	s_delay_alu instid0(VALU_DEP_2) | instskip(NEXT) | instid1(VALU_DEP_3)
	v_cmp_le_u32_e32 vcc_lo, s4, v5
	v_add_nc_u32_e32 v6, 1, v3
	s_delay_alu instid0(VALU_DEP_1)
	v_cndmask_b32_e32 v6, v3, v6, vcc_lo
.LBB63_7:                               ;   in Loop: Header=BB63_3 Depth=1
	s_or_b32 exec_lo, exec_lo, s0
	s_delay_alu instid0(VALU_DEP_1) | instskip(SKIP_1) | instid1(VALU_DEP_1)
	v_mul_u64_e32 v[8:9], s[52:53], v[6:7]
                                        ; implicit-def: $vgpr12_vgpr13
	s_mov_b32 s0, exec_lo
	v_add_nc_u64_e32 v[10:11], v[0:1], v[8:9]
	s_delay_alu instid0(VALU_DEP_1) | instskip(NEXT) | instid1(VALU_DEP_1)
	v_or_b32_e32 v3, s49, v11
	v_cmpx_ne_u64_e32 0, v[2:3]
	s_xor_b32 s33, exec_lo, s0
	s_cbranch_execz .LBB63_9
; %bb.8:                                ;   in Loop: Header=BB63_3 Depth=1
	s_ashr_i32 s64, s49, 31
	v_dual_mov_b32 v15, v2 :: v_dual_ashrrev_i32 v12, 31, v11
	s_mov_b32 s65, s64
	v_mov_b32_e32 v23, v2
	s_add_nc_u64 s[66:67], s[48:49], s[64:65]
	s_delay_alu instid0(VALU_DEP_2) | instskip(SKIP_1) | instid1(SALU_CYCLE_1)
	v_mov_b32_e32 v13, v12
	s_xor_b64 s[66:67], s[66:67], s[64:65]
	s_cvt_f32_u32 s0, s66
	s_cvt_f32_u32 s2, s67
	s_sub_nc_u64 s[70:71], 0, s[66:67]
	v_add_nc_u64_e32 v[10:11], v[10:11], v[12:13]
	v_mov_b32_e32 v19, v2
	s_fmamk_f32 s0, s2, 0x4f800000, s0
	s_delay_alu instid0(SALU_CYCLE_3) | instskip(NEXT) | instid1(VALU_DEP_2)
	v_s_rcp_f32 s0, s0
	v_xor_b32_e32 v14, v10, v12
	s_delay_alu instid0(VALU_DEP_3) | instskip(SKIP_1) | instid1(TRANS32_DEP_1)
	v_xor_b32_e32 v18, v11, v12
	v_xor_b32_e32 v12, s64, v12
	s_mul_f32 s0, s0, 0x5f7ffffc
	s_delay_alu instid0(SALU_CYCLE_3) | instskip(NEXT) | instid1(SALU_CYCLE_3)
	s_mul_f32 s2, s0, 0x2f800000
	s_trunc_f32 s2, s2
	s_delay_alu instid0(SALU_CYCLE_3) | instskip(SKIP_1) | instid1(SALU_CYCLE_2)
	s_fmamk_f32 s0, s2, 0xcf800000, s0
	s_cvt_u32_f32 s69, s2
	s_cvt_u32_f32 s68, s0
	s_delay_alu instid0(SALU_CYCLE_3) | instskip(NEXT) | instid1(SALU_CYCLE_1)
	s_mul_u64 s[72:73], s[70:71], s[68:69]
	s_mul_hi_u32 s75, s68, s73
	s_mul_i32 s74, s68, s73
	s_mul_hi_u32 s2, s68, s72
	s_mul_i32 s63, s69, s72
	s_add_nc_u64 s[74:75], s[2:3], s[74:75]
	s_mul_hi_u32 s0, s69, s72
	s_mul_hi_u32 s65, s69, s73
	s_add_co_u32 s2, s74, s63
	s_add_co_ci_u32 s2, s75, s0
	s_mul_i32 s72, s69, s73
	s_add_co_ci_u32 s73, s65, 0
	s_delay_alu instid0(SALU_CYCLE_1) | instskip(NEXT) | instid1(SALU_CYCLE_1)
	s_add_nc_u64 s[72:73], s[2:3], s[72:73]
	s_add_co_u32 s68, s68, s72
	s_cselect_b32 s0, -1, 0
	s_delay_alu instid0(SALU_CYCLE_1) | instskip(SKIP_1) | instid1(SALU_CYCLE_1)
	s_cmp_lg_u32 s0, 0
	s_add_co_ci_u32 s69, s69, s73
	s_mul_u64 s[70:71], s[70:71], s[68:69]
	s_delay_alu instid0(SALU_CYCLE_1)
	s_mul_hi_u32 s73, s68, s71
	s_mul_i32 s72, s68, s71
	s_mul_hi_u32 s2, s68, s70
	s_mul_i32 s63, s69, s70
	s_add_nc_u64 s[72:73], s[2:3], s[72:73]
	s_mul_hi_u32 s0, s69, s70
	s_mul_hi_u32 s65, s69, s71
	s_add_co_u32 s2, s72, s63
	s_add_co_ci_u32 s2, s73, s0
	s_mul_i32 s70, s69, s71
	s_add_co_ci_u32 s71, s65, 0
	s_delay_alu instid0(SALU_CYCLE_1) | instskip(NEXT) | instid1(SALU_CYCLE_1)
	s_add_nc_u64 s[70:71], s[2:3], s[70:71]
	s_add_co_u32 s0, s68, s70
	s_cselect_b32 s2, -1, 0
	v_mul_hi_u32 v22, v14, s0
	s_cmp_lg_u32 s2, 0
	s_add_co_ci_u32 s2, s69, s71
	s_and_b64 s[68:69], s[0:1], s[56:57]
	v_mul_u64_e32 v[16:17], s[2:3], v[14:15]
	v_mul_u64_e32 v[10:11], s[68:69], v[18:19]
	;; [unrolled: 1-line block ×3, first 2 shown]
	s_delay_alu instid0(VALU_DEP_3) | instskip(NEXT) | instid1(VALU_DEP_1)
	v_add_nc_u64_e32 v[16:17], v[22:23], v[16:17]
	v_add_co_u32 v3, vcc_lo, v16, v10
	s_delay_alu instid0(VALU_DEP_2) | instskip(NEXT) | instid1(VALU_DEP_4)
	v_add_co_ci_u32_e32 v22, vcc_lo, v17, v11, vcc_lo
	v_add_co_ci_u32_e32 v21, vcc_lo, 0, v21, vcc_lo
	s_delay_alu instid0(VALU_DEP_1) | instskip(NEXT) | instid1(VALU_DEP_1)
	v_add_nc_u64_e32 v[10:11], v[22:23], v[20:21]
	v_mul_u64_e32 v[16:17], s[66:67], v[10:11]
	s_delay_alu instid0(VALU_DEP_1) | instskip(NEXT) | instid1(VALU_DEP_2)
	v_sub_nc_u32_e32 v3, v18, v17
	v_sub_co_u32 v5, vcc_lo, v14, v16
	s_delay_alu instid0(VALU_DEP_1) | instskip(NEXT) | instid1(VALU_DEP_3)
	v_sub_co_ci_u32_e64 v18, null, v18, v17, vcc_lo
	v_subrev_co_ci_u32_e64 v3, null, s67, v3, vcc_lo
	s_delay_alu instid0(VALU_DEP_3) | instskip(SKIP_1) | instid1(VALU_DEP_3)
	v_sub_co_u32 v13, s0, v5, s66
	v_add_nc_u64_e32 v[16:17], 1, v[10:11]
	v_subrev_co_ci_u32_e64 v3, null, 0, v3, s0
	s_delay_alu instid0(VALU_DEP_3) | instskip(SKIP_1) | instid1(VALU_DEP_3)
	v_cmp_le_u32_e32 vcc_lo, s66, v13
	v_cndmask_b32_e64 v13, 0, -1, vcc_lo
	v_cmp_le_u32_e32 vcc_lo, s67, v3
	v_cndmask_b32_e64 v14, 0, -1, vcc_lo
	;; [unrolled: 2-line block ×4, first 2 shown]
	v_cmp_eq_u32_e32 vcc_lo, s67, v3
	v_cndmask_b32_e32 v3, v14, v13, vcc_lo
	v_cmp_eq_u32_e32 vcc_lo, s67, v18
	v_add_nc_u64_e32 v[14:15], 2, v[10:11]
	v_dual_mov_b32 v13, v12 :: v_dual_cndmask_b32 v5, v19, v5, vcc_lo
	s_delay_alu instid0(VALU_DEP_4) | instskip(NEXT) | instid1(VALU_DEP_2)
	v_cmp_ne_u32_e32 vcc_lo, 0, v3
	v_cmp_ne_u32_e64 s0, 0, v5
	s_delay_alu instid0(VALU_DEP_4) | instskip(NEXT) | instid1(VALU_DEP_1)
	v_dual_cndmask_b32 v5, v16, v14, vcc_lo :: v_dual_cndmask_b32 v3, v17, v15, vcc_lo
	v_dual_cndmask_b32 v5, v10, v5, s0 :: v_dual_cndmask_b32 v3, v11, v3, s0
	s_delay_alu instid0(VALU_DEP_1) | instskip(NEXT) | instid1(VALU_DEP_2)
	v_xor_b32_e32 v10, v5, v12
	v_xor_b32_e32 v11, v3, v12
	s_delay_alu instid0(VALU_DEP_1)
	v_sub_nc_u64_e32 v[12:13], v[10:11], v[12:13]
                                        ; implicit-def: $vgpr10_vgpr11
.LBB63_9:                               ;   in Loop: Header=BB63_3 Depth=1
	s_or_saveexec_b32 s0, s33
	v_cvt_f32_u32_e32 v5, s48
	s_xor_b32 exec_lo, exec_lo, s0
	s_cbranch_execz .LBB63_11
; %bb.10:                               ;   in Loop: Header=BB63_3 Depth=1
	s_delay_alu instid0(VALU_DEP_1) | instskip(SKIP_2) | instid1(TRANS32_DEP_1)
	v_rcp_iflag_f32_e32 v3, v5
	s_sub_co_i32 s2, 0, s48
	v_mov_b32_e32 v13, v2
	v_mul_f32_e32 v3, 0x4f7ffffe, v3
	s_delay_alu instid0(VALU_DEP_1) | instskip(NEXT) | instid1(VALU_DEP_1)
	v_cvt_u32_f32_e32 v3, v3
	v_mul_lo_u32 v11, s2, v3
	s_delay_alu instid0(VALU_DEP_1) | instskip(NEXT) | instid1(VALU_DEP_1)
	v_mul_hi_u32 v11, v3, v11
	v_add_nc_u32_e32 v3, v3, v11
	s_delay_alu instid0(VALU_DEP_1) | instskip(NEXT) | instid1(VALU_DEP_1)
	v_mul_hi_u32 v3, v10, v3
	v_mul_lo_u32 v11, v3, s48
	s_delay_alu instid0(VALU_DEP_1) | instskip(SKIP_1) | instid1(VALU_DEP_2)
	v_sub_nc_u32_e32 v10, v10, v11
	v_add_nc_u32_e32 v11, 1, v3
	v_subrev_nc_u32_e32 v12, s48, v10
	v_cmp_le_u32_e32 vcc_lo, s48, v10
	s_delay_alu instid0(VALU_DEP_2) | instskip(NEXT) | instid1(VALU_DEP_1)
	v_dual_cndmask_b32 v10, v10, v12 :: v_dual_cndmask_b32 v3, v3, v11
	v_cmp_le_u32_e32 vcc_lo, s48, v10
	s_delay_alu instid0(VALU_DEP_2) | instskip(NEXT) | instid1(VALU_DEP_1)
	v_add_nc_u32_e32 v11, 1, v3
	v_cndmask_b32_e32 v12, v3, v11, vcc_lo
.LBB63_11:                              ;   in Loop: Header=BB63_3 Depth=1
	s_or_b32 exec_lo, exec_lo, s0
	s_delay_alu instid0(VALU_DEP_1) | instskip(SKIP_1) | instid1(VALU_DEP_1)
	v_mul_u64_e32 v[10:11], s[48:49], v[12:13]
                                        ; implicit-def: $vgpr14_vgpr15
	s_mov_b32 s0, exec_lo
	v_sub_nc_u64_e32 v[8:9], v[8:9], v[10:11]
	v_mul_u64_e32 v[10:11], s[24:25], v[12:13]
	s_delay_alu instid0(VALU_DEP_2) | instskip(NEXT) | instid1(VALU_DEP_1)
	v_add_nc_u64_e32 v[8:9], v[0:1], v[8:9]
	v_mul_u64_e32 v[8:9], s[26:27], v[8:9]
	s_delay_alu instid0(VALU_DEP_3) | instskip(NEXT) | instid1(VALU_DEP_1)
	v_lshl_add_u64 v[10:11], v[10:11], 1, s[46:47]
	v_lshl_add_u64 v[8:9], v[8:9], 1, v[10:11]
	global_load_u16 v24, v[8:9], off
	s_wait_xcnt 0x0
	v_lshlrev_b64_e32 v[8:9], 2, v[6:7]
	s_delay_alu instid0(VALU_DEP_1) | instskip(NEXT) | instid1(VALU_DEP_1)
	v_mad_nc_u64_u32 v[10:11], s4, v8, s[4:5]
	v_mad_u32 v3, s5, v8, v11
	v_alignbit_b32 v11, v7, v6, 30
	s_delay_alu instid0(VALU_DEP_1) | instskip(NEXT) | instid1(VALU_DEP_1)
	v_mad_u32 v11, s4, v11, v3
	v_add_nc_u64_e32 v[12:13], v[0:1], v[10:11]
	s_delay_alu instid0(VALU_DEP_1) | instskip(NEXT) | instid1(VALU_DEP_1)
	v_or_b32_e32 v3, s49, v13
	v_cmpx_ne_u64_e32 0, v[2:3]
	s_xor_b32 s33, exec_lo, s0
	s_cbranch_execz .LBB63_13
; %bb.12:                               ;   in Loop: Header=BB63_3 Depth=1
	s_ashr_i32 s64, s49, 31
	v_dual_mov_b32 v17, v2 :: v_dual_ashrrev_i32 v14, 31, v13
	s_mov_b32 s65, s64
	s_delay_alu instid0(SALU_CYCLE_1) | instskip(NEXT) | instid1(VALU_DEP_1)
	s_add_nc_u64 s[66:67], s[48:49], s[64:65]
	v_mov_b32_e32 v15, v14
	s_xor_b64 s[66:67], s[66:67], s[64:65]
	s_delay_alu instid0(SALU_CYCLE_1)
	s_cvt_f32_u32 s0, s66
	s_cvt_f32_u32 s2, s67
	s_sub_nc_u64 s[70:71], 0, s[66:67]
	v_add_nc_u64_e32 v[12:13], v[12:13], v[14:15]
	v_mov_b32_e32 v21, v2
	s_fmamk_f32 s0, s2, 0x4f800000, s0
	s_delay_alu instid0(SALU_CYCLE_3) | instskip(NEXT) | instid1(VALU_DEP_2)
	v_s_rcp_f32 s0, s0
	v_xor_b32_e32 v16, v12, v14
	s_delay_alu instid0(VALU_DEP_3) | instskip(NEXT) | instid1(TRANS32_DEP_1)
	v_dual_mov_b32 v27, v2 :: v_dual_bitop2_b32 v20, v13, v14 bitop3:0x14
	s_mul_f32 s0, s0, 0x5f7ffffc
	s_delay_alu instid0(SALU_CYCLE_3) | instskip(NEXT) | instid1(SALU_CYCLE_3)
	s_mul_f32 s2, s0, 0x2f800000
	s_trunc_f32 s2, s2
	s_delay_alu instid0(SALU_CYCLE_3) | instskip(SKIP_1) | instid1(SALU_CYCLE_2)
	s_fmamk_f32 s0, s2, 0xcf800000, s0
	s_cvt_u32_f32 s69, s2
	s_cvt_u32_f32 s68, s0
	s_delay_alu instid0(SALU_CYCLE_3) | instskip(NEXT) | instid1(SALU_CYCLE_1)
	s_mul_u64 s[72:73], s[70:71], s[68:69]
	s_mul_hi_u32 s75, s68, s73
	s_mul_i32 s74, s68, s73
	s_mul_hi_u32 s2, s68, s72
	s_mul_i32 s63, s69, s72
	s_add_nc_u64 s[74:75], s[2:3], s[74:75]
	s_mul_hi_u32 s0, s69, s72
	s_mul_hi_u32 s65, s69, s73
	s_add_co_u32 s2, s74, s63
	s_add_co_ci_u32 s2, s75, s0
	s_mul_i32 s72, s69, s73
	s_add_co_ci_u32 s73, s65, 0
	s_delay_alu instid0(SALU_CYCLE_1) | instskip(NEXT) | instid1(SALU_CYCLE_1)
	s_add_nc_u64 s[72:73], s[2:3], s[72:73]
	s_add_co_u32 s68, s68, s72
	s_cselect_b32 s0, -1, 0
	s_delay_alu instid0(SALU_CYCLE_1) | instskip(SKIP_1) | instid1(SALU_CYCLE_1)
	s_cmp_lg_u32 s0, 0
	s_add_co_ci_u32 s69, s69, s73
	s_mul_u64 s[70:71], s[70:71], s[68:69]
	s_delay_alu instid0(SALU_CYCLE_1)
	s_mul_hi_u32 s73, s68, s71
	s_mul_i32 s72, s68, s71
	s_mul_hi_u32 s2, s68, s70
	s_mul_i32 s63, s69, s70
	s_add_nc_u64 s[72:73], s[2:3], s[72:73]
	s_mul_hi_u32 s0, s69, s70
	s_mul_hi_u32 s65, s69, s71
	s_add_co_u32 s2, s72, s63
	s_add_co_ci_u32 s2, s73, s0
	s_mul_i32 s70, s69, s71
	s_add_co_ci_u32 s71, s65, 0
	s_delay_alu instid0(SALU_CYCLE_1) | instskip(NEXT) | instid1(SALU_CYCLE_1)
	s_add_nc_u64 s[70:71], s[2:3], s[70:71]
	s_add_co_u32 s0, s68, s70
	s_cselect_b32 s2, -1, 0
	v_mul_hi_u32 v26, v16, s0
	s_cmp_lg_u32 s2, 0
	s_add_co_ci_u32 s2, s69, s71
	s_and_b64 s[68:69], s[0:1], s[56:57]
	v_mul_u64_e32 v[18:19], s[2:3], v[16:17]
	v_mul_u64_e32 v[12:13], s[68:69], v[20:21]
	;; [unrolled: 1-line block ×3, first 2 shown]
	s_delay_alu instid0(VALU_DEP_3) | instskip(NEXT) | instid1(VALU_DEP_1)
	v_add_nc_u64_e32 v[18:19], v[26:27], v[18:19]
	v_add_co_u32 v3, vcc_lo, v18, v12
	s_delay_alu instid0(VALU_DEP_2) | instskip(NEXT) | instid1(VALU_DEP_4)
	v_add_co_ci_u32_e32 v26, vcc_lo, v19, v13, vcc_lo
	v_add_co_ci_u32_e32 v23, vcc_lo, 0, v23, vcc_lo
	s_delay_alu instid0(VALU_DEP_1) | instskip(NEXT) | instid1(VALU_DEP_1)
	v_add_nc_u64_e32 v[12:13], v[26:27], v[22:23]
	v_mul_u64_e32 v[18:19], s[66:67], v[12:13]
	s_delay_alu instid0(VALU_DEP_1) | instskip(NEXT) | instid1(VALU_DEP_2)
	v_sub_nc_u32_e32 v3, v20, v19
	v_sub_co_u32 v15, vcc_lo, v16, v18
	s_delay_alu instid0(VALU_DEP_1) | instskip(NEXT) | instid1(VALU_DEP_3)
	v_sub_co_ci_u32_e64 v20, null, v20, v19, vcc_lo
	v_subrev_co_ci_u32_e64 v3, null, s67, v3, vcc_lo
	s_delay_alu instid0(VALU_DEP_3) | instskip(SKIP_1) | instid1(VALU_DEP_3)
	v_sub_co_u32 v16, s0, v15, s66
	v_add_nc_u64_e32 v[18:19], 1, v[12:13]
	v_subrev_co_ci_u32_e64 v3, null, 0, v3, s0
	s_delay_alu instid0(VALU_DEP_3) | instskip(SKIP_1) | instid1(VALU_DEP_3)
	v_cmp_le_u32_e32 vcc_lo, s66, v16
	v_cndmask_b32_e64 v16, 0, -1, vcc_lo
	v_cmp_le_u32_e32 vcc_lo, s67, v3
	v_cndmask_b32_e64 v17, 0, -1, vcc_lo
	;; [unrolled: 2-line block ×4, first 2 shown]
	v_cmp_eq_u32_e32 vcc_lo, s67, v3
	v_cndmask_b32_e32 v3, v17, v16, vcc_lo
	v_cmp_eq_u32_e32 vcc_lo, s67, v20
	v_add_nc_u64_e32 v[16:17], 2, v[12:13]
	v_cndmask_b32_e32 v15, v21, v15, vcc_lo
	s_delay_alu instid0(VALU_DEP_4) | instskip(NEXT) | instid1(VALU_DEP_3)
	v_cmp_ne_u32_e32 vcc_lo, 0, v3
	v_cndmask_b32_e32 v3, v19, v17, vcc_lo
	s_delay_alu instid0(VALU_DEP_3) | instskip(SKIP_1) | instid1(VALU_DEP_2)
	v_cmp_ne_u32_e64 s0, 0, v15
	v_dual_cndmask_b32 v15, v18, v16, vcc_lo :: v_dual_bitop2_b32 v14, s64, v14 bitop3:0x14
	v_cndmask_b32_e64 v3, v13, v3, s0
	s_delay_alu instid0(VALU_DEP_2) | instskip(NEXT) | instid1(VALU_DEP_2)
	v_dual_cndmask_b32 v12, v12, v15, s0 :: v_dual_mov_b32 v15, v14
	v_xor_b32_e32 v13, v3, v14
	s_delay_alu instid0(VALU_DEP_2) | instskip(NEXT) | instid1(VALU_DEP_1)
	v_xor_b32_e32 v12, v12, v14
	v_sub_nc_u64_e32 v[14:15], v[12:13], v[14:15]
                                        ; implicit-def: $vgpr12_vgpr13
.LBB63_13:                              ;   in Loop: Header=BB63_3 Depth=1
	s_and_not1_saveexec_b32 s0, s33
	s_cbranch_execz .LBB63_15
; %bb.14:                               ;   in Loop: Header=BB63_3 Depth=1
	v_rcp_iflag_f32_e32 v3, v5
	s_sub_co_i32 s2, 0, s48
	v_mov_b32_e32 v15, v2
	s_delay_alu instid0(TRANS32_DEP_1) | instskip(NEXT) | instid1(VALU_DEP_1)
	v_mul_f32_e32 v3, 0x4f7ffffe, v3
	v_cvt_u32_f32_e32 v3, v3
	s_delay_alu instid0(VALU_DEP_1) | instskip(NEXT) | instid1(VALU_DEP_1)
	v_mul_lo_u32 v13, s2, v3
	v_mul_hi_u32 v13, v3, v13
	s_delay_alu instid0(VALU_DEP_1) | instskip(NEXT) | instid1(VALU_DEP_1)
	v_add_nc_u32_e32 v3, v3, v13
	v_mul_hi_u32 v3, v12, v3
	s_delay_alu instid0(VALU_DEP_1) | instskip(NEXT) | instid1(VALU_DEP_1)
	v_mul_lo_u32 v13, v3, s48
	v_dual_sub_nc_u32 v12, v12, v13 :: v_dual_add_nc_u32 v13, 1, v3
	s_delay_alu instid0(VALU_DEP_1) | instskip(SKIP_1) | instid1(VALU_DEP_2)
	v_subrev_nc_u32_e32 v14, s48, v12
	v_cmp_le_u32_e32 vcc_lo, s48, v12
	v_dual_cndmask_b32 v12, v12, v14 :: v_dual_cndmask_b32 v3, v3, v13
	s_delay_alu instid0(VALU_DEP_1) | instskip(NEXT) | instid1(VALU_DEP_2)
	v_cmp_le_u32_e32 vcc_lo, s48, v12
	v_add_nc_u32_e32 v13, 1, v3
	s_delay_alu instid0(VALU_DEP_1)
	v_cndmask_b32_e32 v14, v3, v13, vcc_lo
.LBB63_15:                              ;   in Loop: Header=BB63_3 Depth=1
	s_or_b32 exec_lo, exec_lo, s0
	s_delay_alu instid0(VALU_DEP_1) | instskip(SKIP_1) | instid1(VALU_DEP_1)
	v_mul_u64_e32 v[12:13], s[48:49], v[14:15]
	s_mov_b32 s0, exec_lo
	v_sub_nc_u64_e32 v[10:11], v[10:11], v[12:13]
	v_mul_u64_e32 v[12:13], s[24:25], v[14:15]
                                        ; implicit-def: $vgpr14_vgpr15
	s_delay_alu instid0(VALU_DEP_2) | instskip(NEXT) | instid1(VALU_DEP_1)
	v_add_nc_u64_e32 v[10:11], v[0:1], v[10:11]
	v_mul_u64_e32 v[10:11], s[26:27], v[10:11]
	s_delay_alu instid0(VALU_DEP_3) | instskip(NEXT) | instid1(VALU_DEP_1)
	v_lshl_add_u64 v[12:13], v[12:13], 1, s[46:47]
	v_lshl_add_u64 v[10:11], v[10:11], 1, v[12:13]
	global_load_u16 v25, v[10:11], off
	s_wait_xcnt 0x0
	v_add_nc_u64_e32 v[10:11], 2, v[8:9]
	s_delay_alu instid0(VALU_DEP_1) | instskip(NEXT) | instid1(VALU_DEP_1)
	v_mul_u64_e32 v[10:11], s[4:5], v[10:11]
	v_add_nc_u64_e32 v[12:13], v[0:1], v[10:11]
	s_delay_alu instid0(VALU_DEP_1) | instskip(NEXT) | instid1(VALU_DEP_1)
	v_or_b32_e32 v3, s49, v13
	v_cmpx_ne_u64_e32 0, v[2:3]
	s_xor_b32 s33, exec_lo, s0
	s_cbranch_execz .LBB63_17
; %bb.16:                               ;   in Loop: Header=BB63_3 Depth=1
	s_ashr_i32 s64, s49, 31
	v_dual_mov_b32 v17, v2 :: v_dual_ashrrev_i32 v14, 31, v13
	s_mov_b32 s65, s64
	s_delay_alu instid0(SALU_CYCLE_1) | instskip(NEXT) | instid1(VALU_DEP_1)
	s_add_nc_u64 s[66:67], s[48:49], s[64:65]
	v_mov_b32_e32 v15, v14
	s_xor_b64 s[66:67], s[66:67], s[64:65]
	s_delay_alu instid0(SALU_CYCLE_1)
	s_cvt_f32_u32 s0, s66
	s_cvt_f32_u32 s2, s67
	s_sub_nc_u64 s[70:71], 0, s[66:67]
	v_add_nc_u64_e32 v[12:13], v[12:13], v[14:15]
	v_mov_b32_e32 v21, v2
	s_fmamk_f32 s0, s2, 0x4f800000, s0
	s_delay_alu instid0(SALU_CYCLE_3) | instskip(NEXT) | instid1(VALU_DEP_2)
	v_s_rcp_f32 s0, s0
	v_xor_b32_e32 v16, v12, v14
	s_delay_alu instid0(VALU_DEP_3) | instskip(NEXT) | instid1(TRANS32_DEP_1)
	v_dual_mov_b32 v27, v2 :: v_dual_bitop2_b32 v20, v13, v14 bitop3:0x14
	s_mul_f32 s0, s0, 0x5f7ffffc
	s_delay_alu instid0(SALU_CYCLE_3) | instskip(NEXT) | instid1(SALU_CYCLE_3)
	s_mul_f32 s2, s0, 0x2f800000
	s_trunc_f32 s2, s2
	s_delay_alu instid0(SALU_CYCLE_3) | instskip(SKIP_1) | instid1(SALU_CYCLE_2)
	s_fmamk_f32 s0, s2, 0xcf800000, s0
	s_cvt_u32_f32 s69, s2
	s_cvt_u32_f32 s68, s0
	s_delay_alu instid0(SALU_CYCLE_3) | instskip(NEXT) | instid1(SALU_CYCLE_1)
	s_mul_u64 s[72:73], s[70:71], s[68:69]
	s_mul_hi_u32 s75, s68, s73
	s_mul_i32 s74, s68, s73
	s_mul_hi_u32 s2, s68, s72
	s_mul_i32 s63, s69, s72
	s_add_nc_u64 s[74:75], s[2:3], s[74:75]
	s_mul_hi_u32 s0, s69, s72
	s_mul_hi_u32 s65, s69, s73
	s_add_co_u32 s2, s74, s63
	s_add_co_ci_u32 s2, s75, s0
	s_mul_i32 s72, s69, s73
	s_add_co_ci_u32 s73, s65, 0
	s_delay_alu instid0(SALU_CYCLE_1) | instskip(NEXT) | instid1(SALU_CYCLE_1)
	s_add_nc_u64 s[72:73], s[2:3], s[72:73]
	s_add_co_u32 s68, s68, s72
	s_cselect_b32 s0, -1, 0
	s_delay_alu instid0(SALU_CYCLE_1) | instskip(SKIP_1) | instid1(SALU_CYCLE_1)
	s_cmp_lg_u32 s0, 0
	s_add_co_ci_u32 s69, s69, s73
	s_mul_u64 s[70:71], s[70:71], s[68:69]
	s_delay_alu instid0(SALU_CYCLE_1)
	s_mul_hi_u32 s73, s68, s71
	s_mul_i32 s72, s68, s71
	s_mul_hi_u32 s2, s68, s70
	s_mul_i32 s63, s69, s70
	s_add_nc_u64 s[72:73], s[2:3], s[72:73]
	s_mul_hi_u32 s0, s69, s70
	s_mul_hi_u32 s65, s69, s71
	s_add_co_u32 s2, s72, s63
	s_add_co_ci_u32 s2, s73, s0
	s_mul_i32 s70, s69, s71
	s_add_co_ci_u32 s71, s65, 0
	s_delay_alu instid0(SALU_CYCLE_1) | instskip(NEXT) | instid1(SALU_CYCLE_1)
	s_add_nc_u64 s[70:71], s[2:3], s[70:71]
	s_add_co_u32 s0, s68, s70
	s_cselect_b32 s2, -1, 0
	v_mul_hi_u32 v26, v16, s0
	s_cmp_lg_u32 s2, 0
	s_add_co_ci_u32 s2, s69, s71
	s_and_b64 s[68:69], s[0:1], s[56:57]
	v_mul_u64_e32 v[18:19], s[2:3], v[16:17]
	v_mul_u64_e32 v[12:13], s[68:69], v[20:21]
	;; [unrolled: 1-line block ×3, first 2 shown]
	s_delay_alu instid0(VALU_DEP_3) | instskip(NEXT) | instid1(VALU_DEP_1)
	v_add_nc_u64_e32 v[18:19], v[26:27], v[18:19]
	v_add_co_u32 v3, vcc_lo, v18, v12
	s_delay_alu instid0(VALU_DEP_2) | instskip(NEXT) | instid1(VALU_DEP_4)
	v_add_co_ci_u32_e32 v26, vcc_lo, v19, v13, vcc_lo
	v_add_co_ci_u32_e32 v23, vcc_lo, 0, v23, vcc_lo
	s_delay_alu instid0(VALU_DEP_1) | instskip(NEXT) | instid1(VALU_DEP_1)
	v_add_nc_u64_e32 v[12:13], v[26:27], v[22:23]
	v_mul_u64_e32 v[18:19], s[66:67], v[12:13]
	s_delay_alu instid0(VALU_DEP_1) | instskip(NEXT) | instid1(VALU_DEP_2)
	v_sub_nc_u32_e32 v3, v20, v19
	v_sub_co_u32 v15, vcc_lo, v16, v18
	s_delay_alu instid0(VALU_DEP_1) | instskip(NEXT) | instid1(VALU_DEP_3)
	v_sub_co_ci_u32_e64 v20, null, v20, v19, vcc_lo
	v_subrev_co_ci_u32_e64 v3, null, s67, v3, vcc_lo
	s_delay_alu instid0(VALU_DEP_3) | instskip(SKIP_1) | instid1(VALU_DEP_3)
	v_sub_co_u32 v16, s0, v15, s66
	v_add_nc_u64_e32 v[18:19], 1, v[12:13]
	v_subrev_co_ci_u32_e64 v3, null, 0, v3, s0
	s_delay_alu instid0(VALU_DEP_3) | instskip(SKIP_1) | instid1(VALU_DEP_3)
	v_cmp_le_u32_e32 vcc_lo, s66, v16
	v_cndmask_b32_e64 v16, 0, -1, vcc_lo
	v_cmp_le_u32_e32 vcc_lo, s67, v3
	v_cndmask_b32_e64 v17, 0, -1, vcc_lo
	;; [unrolled: 2-line block ×4, first 2 shown]
	v_cmp_eq_u32_e32 vcc_lo, s67, v3
	v_cndmask_b32_e32 v3, v17, v16, vcc_lo
	v_cmp_eq_u32_e32 vcc_lo, s67, v20
	v_add_nc_u64_e32 v[16:17], 2, v[12:13]
	v_cndmask_b32_e32 v15, v21, v15, vcc_lo
	s_delay_alu instid0(VALU_DEP_4) | instskip(NEXT) | instid1(VALU_DEP_3)
	v_cmp_ne_u32_e32 vcc_lo, 0, v3
	v_cndmask_b32_e32 v3, v19, v17, vcc_lo
	s_delay_alu instid0(VALU_DEP_3) | instskip(SKIP_1) | instid1(VALU_DEP_2)
	v_cmp_ne_u32_e64 s0, 0, v15
	v_dual_cndmask_b32 v15, v18, v16, vcc_lo :: v_dual_bitop2_b32 v14, s64, v14 bitop3:0x14
	v_cndmask_b32_e64 v3, v13, v3, s0
	s_delay_alu instid0(VALU_DEP_2) | instskip(NEXT) | instid1(VALU_DEP_2)
	v_dual_cndmask_b32 v12, v12, v15, s0 :: v_dual_mov_b32 v15, v14
	v_xor_b32_e32 v13, v3, v14
	s_delay_alu instid0(VALU_DEP_2) | instskip(NEXT) | instid1(VALU_DEP_1)
	v_xor_b32_e32 v12, v12, v14
	v_sub_nc_u64_e32 v[14:15], v[12:13], v[14:15]
                                        ; implicit-def: $vgpr12_vgpr13
.LBB63_17:                              ;   in Loop: Header=BB63_3 Depth=1
	s_and_not1_saveexec_b32 s0, s33
	s_cbranch_execz .LBB63_19
; %bb.18:                               ;   in Loop: Header=BB63_3 Depth=1
	v_rcp_iflag_f32_e32 v3, v5
	s_sub_co_i32 s2, 0, s48
	v_mov_b32_e32 v15, v2
	s_delay_alu instid0(TRANS32_DEP_1) | instskip(NEXT) | instid1(VALU_DEP_1)
	v_mul_f32_e32 v3, 0x4f7ffffe, v3
	v_cvt_u32_f32_e32 v3, v3
	s_delay_alu instid0(VALU_DEP_1) | instskip(NEXT) | instid1(VALU_DEP_1)
	v_mul_lo_u32 v13, s2, v3
	v_mul_hi_u32 v13, v3, v13
	s_delay_alu instid0(VALU_DEP_1) | instskip(NEXT) | instid1(VALU_DEP_1)
	v_add_nc_u32_e32 v3, v3, v13
	v_mul_hi_u32 v3, v12, v3
	s_delay_alu instid0(VALU_DEP_1) | instskip(NEXT) | instid1(VALU_DEP_1)
	v_mul_lo_u32 v13, v3, s48
	v_dual_sub_nc_u32 v12, v12, v13 :: v_dual_add_nc_u32 v13, 1, v3
	s_delay_alu instid0(VALU_DEP_1) | instskip(SKIP_1) | instid1(VALU_DEP_2)
	v_subrev_nc_u32_e32 v14, s48, v12
	v_cmp_le_u32_e32 vcc_lo, s48, v12
	v_dual_cndmask_b32 v12, v12, v14 :: v_dual_cndmask_b32 v3, v3, v13
	s_delay_alu instid0(VALU_DEP_1) | instskip(NEXT) | instid1(VALU_DEP_2)
	v_cmp_le_u32_e32 vcc_lo, s48, v12
	v_add_nc_u32_e32 v13, 1, v3
	s_delay_alu instid0(VALU_DEP_1)
	v_cndmask_b32_e32 v14, v3, v13, vcc_lo
.LBB63_19:                              ;   in Loop: Header=BB63_3 Depth=1
	s_or_b32 exec_lo, exec_lo, s0
	s_delay_alu instid0(VALU_DEP_1) | instskip(SKIP_1) | instid1(VALU_DEP_1)
	v_mul_u64_e32 v[12:13], s[48:49], v[14:15]
	s_mov_b32 s0, exec_lo
	v_sub_nc_u64_e32 v[10:11], v[10:11], v[12:13]
	v_mul_u64_e32 v[12:13], s[24:25], v[14:15]
                                        ; implicit-def: $vgpr14_vgpr15
	s_delay_alu instid0(VALU_DEP_2) | instskip(NEXT) | instid1(VALU_DEP_1)
	v_add_nc_u64_e32 v[10:11], v[0:1], v[10:11]
	v_mul_u64_e32 v[10:11], s[26:27], v[10:11]
	s_delay_alu instid0(VALU_DEP_3) | instskip(NEXT) | instid1(VALU_DEP_1)
	v_lshl_add_u64 v[12:13], v[12:13], 1, s[46:47]
	v_lshl_add_u64 v[10:11], v[10:11], 1, v[12:13]
	global_load_u16 v22, v[10:11], off
	s_wait_xcnt 0x0
	v_add_nc_u64_e32 v[10:11], 3, v[8:9]
	s_delay_alu instid0(VALU_DEP_1) | instskip(NEXT) | instid1(VALU_DEP_1)
	v_mul_u64_e32 v[10:11], s[4:5], v[10:11]
	v_add_nc_u64_e32 v[12:13], v[0:1], v[10:11]
	s_delay_alu instid0(VALU_DEP_1) | instskip(NEXT) | instid1(VALU_DEP_1)
	v_or_b32_e32 v3, s49, v13
	v_cmpx_ne_u64_e32 0, v[2:3]
	s_xor_b32 s33, exec_lo, s0
	s_cbranch_execz .LBB63_21
; %bb.20:                               ;   in Loop: Header=BB63_3 Depth=1
	s_ashr_i32 s64, s49, 31
	v_dual_mov_b32 v17, v2 :: v_dual_ashrrev_i32 v14, 31, v13
	s_mov_b32 s65, s64
	s_delay_alu instid0(SALU_CYCLE_1) | instskip(NEXT) | instid1(VALU_DEP_1)
	s_add_nc_u64 s[66:67], s[48:49], s[64:65]
	v_mov_b32_e32 v15, v14
	s_xor_b64 s[66:67], s[66:67], s[64:65]
	s_delay_alu instid0(SALU_CYCLE_1)
	s_cvt_f32_u32 s0, s66
	s_cvt_f32_u32 s2, s67
	s_sub_nc_u64 s[70:71], 0, s[66:67]
	v_add_nc_u64_e32 v[12:13], v[12:13], v[14:15]
	v_mov_b32_e32 v21, v2
	s_fmamk_f32 s0, s2, 0x4f800000, s0
	s_delay_alu instid0(SALU_CYCLE_3) | instskip(NEXT) | instid1(VALU_DEP_2)
	v_s_rcp_f32 s0, s0
	v_xor_b32_e32 v16, v12, v14
	s_delay_alu instid0(VALU_DEP_3) | instskip(NEXT) | instid1(TRANS32_DEP_1)
	v_dual_mov_b32 v29, v2 :: v_dual_bitop2_b32 v20, v13, v14 bitop3:0x14
	s_mul_f32 s0, s0, 0x5f7ffffc
	s_delay_alu instid0(SALU_CYCLE_3) | instskip(NEXT) | instid1(SALU_CYCLE_3)
	s_mul_f32 s2, s0, 0x2f800000
	s_trunc_f32 s2, s2
	s_delay_alu instid0(SALU_CYCLE_3) | instskip(SKIP_1) | instid1(SALU_CYCLE_2)
	s_fmamk_f32 s0, s2, 0xcf800000, s0
	s_cvt_u32_f32 s69, s2
	s_cvt_u32_f32 s68, s0
	s_delay_alu instid0(SALU_CYCLE_3) | instskip(NEXT) | instid1(SALU_CYCLE_1)
	s_mul_u64 s[72:73], s[70:71], s[68:69]
	s_mul_hi_u32 s75, s68, s73
	s_mul_i32 s74, s68, s73
	s_mul_hi_u32 s2, s68, s72
	s_mul_i32 s63, s69, s72
	s_add_nc_u64 s[74:75], s[2:3], s[74:75]
	s_mul_hi_u32 s0, s69, s72
	s_mul_hi_u32 s65, s69, s73
	s_add_co_u32 s2, s74, s63
	s_add_co_ci_u32 s2, s75, s0
	s_mul_i32 s72, s69, s73
	s_add_co_ci_u32 s73, s65, 0
	s_delay_alu instid0(SALU_CYCLE_1) | instskip(NEXT) | instid1(SALU_CYCLE_1)
	s_add_nc_u64 s[72:73], s[2:3], s[72:73]
	s_add_co_u32 s68, s68, s72
	s_cselect_b32 s0, -1, 0
	s_delay_alu instid0(SALU_CYCLE_1) | instskip(SKIP_1) | instid1(SALU_CYCLE_1)
	s_cmp_lg_u32 s0, 0
	s_add_co_ci_u32 s69, s69, s73
	s_mul_u64 s[70:71], s[70:71], s[68:69]
	s_delay_alu instid0(SALU_CYCLE_1)
	s_mul_hi_u32 s73, s68, s71
	s_mul_i32 s72, s68, s71
	s_mul_hi_u32 s2, s68, s70
	s_mul_i32 s63, s69, s70
	s_add_nc_u64 s[72:73], s[2:3], s[72:73]
	s_mul_hi_u32 s0, s69, s70
	s_mul_hi_u32 s65, s69, s71
	s_add_co_u32 s2, s72, s63
	s_add_co_ci_u32 s2, s73, s0
	s_mul_i32 s70, s69, s71
	s_add_co_ci_u32 s71, s65, 0
	s_delay_alu instid0(SALU_CYCLE_1) | instskip(NEXT) | instid1(SALU_CYCLE_1)
	s_add_nc_u64 s[70:71], s[2:3], s[70:71]
	s_add_co_u32 s0, s68, s70
	s_cselect_b32 s2, -1, 0
	v_mul_hi_u32 v28, v16, s0
	s_cmp_lg_u32 s2, 0
	s_add_co_ci_u32 s2, s69, s71
	s_and_b64 s[68:69], s[0:1], s[56:57]
	v_mul_u64_e32 v[18:19], s[2:3], v[16:17]
	v_mul_u64_e32 v[12:13], s[68:69], v[20:21]
	;; [unrolled: 1-line block ×3, first 2 shown]
	s_delay_alu instid0(VALU_DEP_3) | instskip(NEXT) | instid1(VALU_DEP_1)
	v_add_nc_u64_e32 v[18:19], v[28:29], v[18:19]
	v_add_co_u32 v3, vcc_lo, v18, v12
	s_delay_alu instid0(VALU_DEP_2) | instskip(NEXT) | instid1(VALU_DEP_4)
	v_add_co_ci_u32_e32 v28, vcc_lo, v19, v13, vcc_lo
	v_add_co_ci_u32_e32 v27, vcc_lo, 0, v27, vcc_lo
	s_delay_alu instid0(VALU_DEP_1) | instskip(NEXT) | instid1(VALU_DEP_1)
	v_add_nc_u64_e32 v[12:13], v[28:29], v[26:27]
	v_mul_u64_e32 v[18:19], s[66:67], v[12:13]
	s_delay_alu instid0(VALU_DEP_1) | instskip(NEXT) | instid1(VALU_DEP_2)
	v_sub_nc_u32_e32 v3, v20, v19
	v_sub_co_u32 v15, vcc_lo, v16, v18
	s_delay_alu instid0(VALU_DEP_1) | instskip(NEXT) | instid1(VALU_DEP_3)
	v_sub_co_ci_u32_e64 v20, null, v20, v19, vcc_lo
	v_subrev_co_ci_u32_e64 v3, null, s67, v3, vcc_lo
	s_delay_alu instid0(VALU_DEP_3) | instskip(SKIP_1) | instid1(VALU_DEP_3)
	v_sub_co_u32 v16, s0, v15, s66
	v_add_nc_u64_e32 v[18:19], 1, v[12:13]
	v_subrev_co_ci_u32_e64 v3, null, 0, v3, s0
	s_delay_alu instid0(VALU_DEP_3) | instskip(SKIP_1) | instid1(VALU_DEP_3)
	v_cmp_le_u32_e32 vcc_lo, s66, v16
	v_cndmask_b32_e64 v16, 0, -1, vcc_lo
	v_cmp_le_u32_e32 vcc_lo, s67, v3
	v_cndmask_b32_e64 v17, 0, -1, vcc_lo
	;; [unrolled: 2-line block ×4, first 2 shown]
	v_cmp_eq_u32_e32 vcc_lo, s67, v3
	v_cndmask_b32_e32 v3, v17, v16, vcc_lo
	v_cmp_eq_u32_e32 vcc_lo, s67, v20
	v_add_nc_u64_e32 v[16:17], 2, v[12:13]
	v_cndmask_b32_e32 v15, v21, v15, vcc_lo
	s_delay_alu instid0(VALU_DEP_4) | instskip(NEXT) | instid1(VALU_DEP_3)
	v_cmp_ne_u32_e32 vcc_lo, 0, v3
	v_cndmask_b32_e32 v3, v19, v17, vcc_lo
	s_delay_alu instid0(VALU_DEP_3) | instskip(SKIP_1) | instid1(VALU_DEP_2)
	v_cmp_ne_u32_e64 s0, 0, v15
	v_dual_cndmask_b32 v15, v18, v16, vcc_lo :: v_dual_bitop2_b32 v14, s64, v14 bitop3:0x14
	v_cndmask_b32_e64 v3, v13, v3, s0
	s_delay_alu instid0(VALU_DEP_2) | instskip(NEXT) | instid1(VALU_DEP_2)
	v_dual_cndmask_b32 v12, v12, v15, s0 :: v_dual_mov_b32 v15, v14
	v_xor_b32_e32 v13, v3, v14
	s_delay_alu instid0(VALU_DEP_2) | instskip(NEXT) | instid1(VALU_DEP_1)
	v_xor_b32_e32 v12, v12, v14
	v_sub_nc_u64_e32 v[14:15], v[12:13], v[14:15]
                                        ; implicit-def: $vgpr12_vgpr13
.LBB63_21:                              ;   in Loop: Header=BB63_3 Depth=1
	s_and_not1_saveexec_b32 s0, s33
	s_cbranch_execz .LBB63_23
; %bb.22:                               ;   in Loop: Header=BB63_3 Depth=1
	v_rcp_iflag_f32_e32 v3, v5
	s_sub_co_i32 s2, 0, s48
	v_mov_b32_e32 v15, v2
	s_delay_alu instid0(TRANS32_DEP_1) | instskip(NEXT) | instid1(VALU_DEP_1)
	v_mul_f32_e32 v3, 0x4f7ffffe, v3
	v_cvt_u32_f32_e32 v3, v3
	s_delay_alu instid0(VALU_DEP_1) | instskip(NEXT) | instid1(VALU_DEP_1)
	v_mul_lo_u32 v13, s2, v3
	v_mul_hi_u32 v13, v3, v13
	s_delay_alu instid0(VALU_DEP_1) | instskip(NEXT) | instid1(VALU_DEP_1)
	v_add_nc_u32_e32 v3, v3, v13
	v_mul_hi_u32 v3, v12, v3
	s_delay_alu instid0(VALU_DEP_1) | instskip(NEXT) | instid1(VALU_DEP_1)
	v_mul_lo_u32 v13, v3, s48
	v_dual_sub_nc_u32 v12, v12, v13 :: v_dual_add_nc_u32 v13, 1, v3
	s_delay_alu instid0(VALU_DEP_1) | instskip(SKIP_1) | instid1(VALU_DEP_2)
	v_subrev_nc_u32_e32 v14, s48, v12
	v_cmp_le_u32_e32 vcc_lo, s48, v12
	v_dual_cndmask_b32 v12, v12, v14 :: v_dual_cndmask_b32 v3, v3, v13
	s_delay_alu instid0(VALU_DEP_1) | instskip(NEXT) | instid1(VALU_DEP_2)
	v_cmp_le_u32_e32 vcc_lo, s48, v12
	v_add_nc_u32_e32 v13, 1, v3
	s_delay_alu instid0(VALU_DEP_1)
	v_cndmask_b32_e32 v14, v3, v13, vcc_lo
.LBB63_23:                              ;   in Loop: Header=BB63_3 Depth=1
	s_or_b32 exec_lo, exec_lo, s0
	s_delay_alu instid0(VALU_DEP_1) | instskip(SKIP_2) | instid1(VALU_DEP_1)
	v_mul_u64_e32 v[12:13], s[48:49], v[14:15]
	v_add_nc_u64_e32 v[8:9], 4, v[8:9]
	s_mov_b32 s0, exec_lo
	v_mul_u64_e32 v[8:9], s[4:5], v[8:9]
	s_delay_alu instid0(VALU_DEP_3) | instskip(SKIP_1) | instid1(VALU_DEP_2)
	v_sub_nc_u64_e32 v[10:11], v[10:11], v[12:13]
	v_mul_u64_e32 v[12:13], s[24:25], v[14:15]
	v_add_nc_u64_e32 v[10:11], v[0:1], v[10:11]
	s_delay_alu instid0(VALU_DEP_1) | instskip(NEXT) | instid1(VALU_DEP_3)
	v_mul_u64_e32 v[10:11], s[26:27], v[10:11]
	v_lshl_add_u64 v[12:13], v[12:13], 1, s[46:47]
	s_delay_alu instid0(VALU_DEP_1) | instskip(SKIP_3) | instid1(VALU_DEP_1)
	v_lshl_add_u64 v[10:11], v[10:11], 1, v[12:13]
                                        ; implicit-def: $vgpr12_vgpr13
	global_load_u16 v14, v[10:11], off
	s_wait_xcnt 0x0
	v_add_nc_u64_e32 v[10:11], v[0:1], v[8:9]
	v_or_b32_e32 v3, s49, v11
	s_delay_alu instid0(VALU_DEP_1)
	v_cmpx_ne_u64_e32 0, v[2:3]
	s_xor_b32 s33, exec_lo, s0
	s_cbranch_execz .LBB63_25
; %bb.24:                               ;   in Loop: Header=BB63_3 Depth=1
	s_ashr_i32 s64, s49, 31
	v_dual_mov_b32 v17, v2 :: v_dual_ashrrev_i32 v12, 31, v11
	s_mov_b32 s65, s64
	s_delay_alu instid0(SALU_CYCLE_1) | instskip(NEXT) | instid1(VALU_DEP_1)
	s_add_nc_u64 s[66:67], s[48:49], s[64:65]
	v_mov_b32_e32 v13, v12
	s_xor_b64 s[66:67], s[66:67], s[64:65]
	s_delay_alu instid0(SALU_CYCLE_1)
	s_cvt_f32_u32 s0, s66
	s_cvt_f32_u32 s2, s67
	s_sub_nc_u64 s[70:71], 0, s[66:67]
	v_add_nc_u64_e32 v[10:11], v[10:11], v[12:13]
	v_mov_b32_e32 v21, v2
	s_fmamk_f32 s0, s2, 0x4f800000, s0
	s_delay_alu instid0(SALU_CYCLE_3) | instskip(NEXT) | instid1(VALU_DEP_2)
	v_s_rcp_f32 s0, s0
	v_xor_b32_e32 v16, v10, v12
	s_delay_alu instid0(VALU_DEP_3) | instskip(SKIP_1) | instid1(TRANS32_DEP_1)
	v_dual_mov_b32 v29, v2 :: v_dual_bitop2_b32 v20, v11, v12 bitop3:0x14
	v_xor_b32_e32 v12, s64, v12
	s_mul_f32 s0, s0, 0x5f7ffffc
	s_delay_alu instid0(SALU_CYCLE_3) | instskip(NEXT) | instid1(SALU_CYCLE_3)
	s_mul_f32 s2, s0, 0x2f800000
	s_trunc_f32 s2, s2
	s_delay_alu instid0(SALU_CYCLE_3) | instskip(SKIP_1) | instid1(SALU_CYCLE_2)
	s_fmamk_f32 s0, s2, 0xcf800000, s0
	s_cvt_u32_f32 s69, s2
	s_cvt_u32_f32 s68, s0
	s_delay_alu instid0(SALU_CYCLE_3) | instskip(NEXT) | instid1(SALU_CYCLE_1)
	s_mul_u64 s[72:73], s[70:71], s[68:69]
	s_mul_hi_u32 s75, s68, s73
	s_mul_i32 s74, s68, s73
	s_mul_hi_u32 s2, s68, s72
	s_mul_i32 s63, s69, s72
	s_add_nc_u64 s[74:75], s[2:3], s[74:75]
	s_mul_hi_u32 s0, s69, s72
	s_mul_hi_u32 s65, s69, s73
	s_add_co_u32 s2, s74, s63
	s_add_co_ci_u32 s2, s75, s0
	s_mul_i32 s72, s69, s73
	s_add_co_ci_u32 s73, s65, 0
	s_delay_alu instid0(SALU_CYCLE_1) | instskip(NEXT) | instid1(SALU_CYCLE_1)
	s_add_nc_u64 s[72:73], s[2:3], s[72:73]
	s_add_co_u32 s68, s68, s72
	s_cselect_b32 s0, -1, 0
	s_delay_alu instid0(SALU_CYCLE_1) | instskip(SKIP_1) | instid1(SALU_CYCLE_1)
	s_cmp_lg_u32 s0, 0
	s_add_co_ci_u32 s69, s69, s73
	s_mul_u64 s[70:71], s[70:71], s[68:69]
	s_delay_alu instid0(SALU_CYCLE_1)
	s_mul_hi_u32 s73, s68, s71
	s_mul_i32 s72, s68, s71
	s_mul_hi_u32 s2, s68, s70
	s_mul_i32 s63, s69, s70
	s_add_nc_u64 s[72:73], s[2:3], s[72:73]
	s_mul_hi_u32 s0, s69, s70
	s_mul_hi_u32 s65, s69, s71
	s_add_co_u32 s2, s72, s63
	s_add_co_ci_u32 s2, s73, s0
	s_mul_i32 s70, s69, s71
	s_add_co_ci_u32 s71, s65, 0
	s_delay_alu instid0(SALU_CYCLE_1) | instskip(NEXT) | instid1(SALU_CYCLE_1)
	s_add_nc_u64 s[70:71], s[2:3], s[70:71]
	s_add_co_u32 s0, s68, s70
	s_cselect_b32 s2, -1, 0
	v_mul_hi_u32 v28, v16, s0
	s_cmp_lg_u32 s2, 0
	s_add_co_ci_u32 s2, s69, s71
	s_and_b64 s[68:69], s[0:1], s[56:57]
	v_mul_u64_e32 v[18:19], s[2:3], v[16:17]
	v_mul_u64_e32 v[10:11], s[68:69], v[20:21]
	;; [unrolled: 1-line block ×3, first 2 shown]
	s_delay_alu instid0(VALU_DEP_3) | instskip(NEXT) | instid1(VALU_DEP_1)
	v_add_nc_u64_e32 v[18:19], v[28:29], v[18:19]
	v_add_co_u32 v3, vcc_lo, v18, v10
	s_delay_alu instid0(VALU_DEP_2) | instskip(NEXT) | instid1(VALU_DEP_4)
	v_add_co_ci_u32_e32 v28, vcc_lo, v19, v11, vcc_lo
	v_add_co_ci_u32_e32 v27, vcc_lo, 0, v27, vcc_lo
	s_delay_alu instid0(VALU_DEP_1) | instskip(NEXT) | instid1(VALU_DEP_1)
	v_add_nc_u64_e32 v[10:11], v[28:29], v[26:27]
	v_mul_u64_e32 v[18:19], s[66:67], v[10:11]
	s_delay_alu instid0(VALU_DEP_1) | instskip(NEXT) | instid1(VALU_DEP_2)
	v_sub_nc_u32_e32 v3, v20, v19
	v_sub_co_u32 v5, vcc_lo, v16, v18
	s_delay_alu instid0(VALU_DEP_1) | instskip(NEXT) | instid1(VALU_DEP_3)
	v_sub_co_ci_u32_e64 v15, null, v20, v19, vcc_lo
	v_subrev_co_ci_u32_e64 v3, null, s67, v3, vcc_lo
	s_delay_alu instid0(VALU_DEP_3) | instskip(SKIP_1) | instid1(VALU_DEP_3)
	v_sub_co_u32 v13, s0, v5, s66
	v_add_nc_u64_e32 v[18:19], 1, v[10:11]
	v_subrev_co_ci_u32_e64 v3, null, 0, v3, s0
	s_delay_alu instid0(VALU_DEP_3) | instskip(SKIP_1) | instid1(VALU_DEP_3)
	v_cmp_le_u32_e32 vcc_lo, s66, v13
	v_cndmask_b32_e64 v13, 0, -1, vcc_lo
	v_cmp_le_u32_e32 vcc_lo, s67, v3
	v_cndmask_b32_e64 v16, 0, -1, vcc_lo
	;; [unrolled: 2-line block ×4, first 2 shown]
	v_cmp_eq_u32_e32 vcc_lo, s67, v3
	v_cndmask_b32_e32 v3, v16, v13, vcc_lo
	v_cmp_eq_u32_e32 vcc_lo, s67, v15
	v_add_nc_u64_e32 v[16:17], 2, v[10:11]
	v_mov_b32_e32 v13, v12
	v_cndmask_b32_e32 v5, v20, v5, vcc_lo
	v_cmp_ne_u32_e32 vcc_lo, 0, v3
	s_delay_alu instid0(VALU_DEP_2) | instskip(SKIP_1) | instid1(VALU_DEP_1)
	v_cmp_ne_u32_e64 s0, 0, v5
	v_dual_cndmask_b32 v3, v19, v17, vcc_lo :: v_dual_cndmask_b32 v5, v18, v16, vcc_lo
	v_dual_cndmask_b32 v3, v11, v3, s0 :: v_dual_cndmask_b32 v5, v10, v5, s0
	s_delay_alu instid0(VALU_DEP_1) | instskip(NEXT) | instid1(VALU_DEP_2)
	v_xor_b32_e32 v11, v3, v12
	v_xor_b32_e32 v10, v5, v12
                                        ; implicit-def: $vgpr5
	s_delay_alu instid0(VALU_DEP_1)
	v_sub_nc_u64_e32 v[12:13], v[10:11], v[12:13]
                                        ; implicit-def: $vgpr10_vgpr11
.LBB63_25:                              ;   in Loop: Header=BB63_3 Depth=1
	s_and_not1_saveexec_b32 s0, s33
	s_cbranch_execz .LBB63_27
; %bb.26:                               ;   in Loop: Header=BB63_3 Depth=1
	v_rcp_iflag_f32_e32 v3, v5
	s_sub_co_i32 s2, 0, s48
	v_mov_b32_e32 v13, v2
	s_delay_alu instid0(TRANS32_DEP_1) | instskip(NEXT) | instid1(VALU_DEP_1)
	v_mul_f32_e32 v3, 0x4f7ffffe, v3
	v_cvt_u32_f32_e32 v3, v3
	s_delay_alu instid0(VALU_DEP_1) | instskip(NEXT) | instid1(VALU_DEP_1)
	v_mul_lo_u32 v5, s2, v3
	v_mul_hi_u32 v5, v3, v5
	s_delay_alu instid0(VALU_DEP_1) | instskip(NEXT) | instid1(VALU_DEP_1)
	v_add_nc_u32_e32 v3, v3, v5
	v_mul_hi_u32 v3, v10, v3
	s_delay_alu instid0(VALU_DEP_1) | instskip(NEXT) | instid1(VALU_DEP_1)
	v_mul_lo_u32 v5, v3, s48
	v_dual_sub_nc_u32 v5, v10, v5 :: v_dual_add_nc_u32 v10, 1, v3
	s_delay_alu instid0(VALU_DEP_1) | instskip(SKIP_1) | instid1(VALU_DEP_2)
	v_subrev_nc_u32_e32 v11, s48, v5
	v_cmp_le_u32_e32 vcc_lo, s48, v5
	v_dual_cndmask_b32 v5, v5, v11, vcc_lo :: v_dual_cndmask_b32 v3, v3, v10, vcc_lo
	s_delay_alu instid0(VALU_DEP_1) | instskip(NEXT) | instid1(VALU_DEP_2)
	v_cmp_le_u32_e32 vcc_lo, s48, v5
	v_add_nc_u32_e32 v10, 1, v3
	s_delay_alu instid0(VALU_DEP_1)
	v_cndmask_b32_e32 v12, v3, v10, vcc_lo
.LBB63_27:                              ;   in Loop: Header=BB63_3 Depth=1
	s_or_b32 exec_lo, exec_lo, s0
	s_delay_alu instid0(VALU_DEP_1) | instskip(SKIP_2) | instid1(VALU_DEP_2)
	v_mul_u64_e32 v[10:11], s[48:49], v[12:13]
	v_or_b32_e32 v3, s41, v1
	s_mov_b32 s0, exec_lo
	v_sub_nc_u64_e32 v[8:9], v[8:9], v[10:11]
	v_mul_u64_e32 v[10:11], s[24:25], v[12:13]
	s_delay_alu instid0(VALU_DEP_2) | instskip(NEXT) | instid1(VALU_DEP_1)
	v_add_nc_u64_e32 v[8:9], v[0:1], v[8:9]
	v_mul_u64_e32 v[8:9], s[26:27], v[8:9]
	s_delay_alu instid0(VALU_DEP_3) | instskip(NEXT) | instid1(VALU_DEP_1)
	v_lshl_add_u64 v[10:11], v[10:11], 1, s[46:47]
	v_lshl_add_u64 v[8:9], v[8:9], 1, v[10:11]
	global_load_u16 v30, v[8:9], off
                                        ; implicit-def: $vgpr8_vgpr9
	s_wait_xcnt 0x0
	v_cmpx_ne_u64_e32 0, v[2:3]
	s_xor_b32 s33, exec_lo, s0
	s_cbranch_execz .LBB63_29
; %bb.28:                               ;   in Loop: Header=BB63_3 Depth=1
	s_ashr_i32 s64, s41, 31
	v_dual_mov_b32 v5, v4 :: v_dual_mov_b32 v11, v2
	s_mov_b32 s65, s64
	v_mov_b32_e32 v17, v2
	s_add_nc_u64 s[66:67], s[40:41], s[64:65]
	s_delay_alu instid0(VALU_DEP_2)
	v_add_nc_u64_e32 v[8:9], v[0:1], v[4:5]
	s_xor_b64 s[66:67], s[66:67], s[64:65]
	v_mov_b32_e32 v21, v2
	s_cvt_f32_u32 s0, s66
	s_cvt_f32_u32 s2, s67
	s_sub_nc_u64 s[70:71], 0, s[66:67]
	s_delay_alu instid0(VALU_DEP_2) | instskip(NEXT) | instid1(SALU_CYCLE_1)
	v_xor_b32_e32 v10, v8, v4
	s_fmamk_f32 s0, s2, 0x4f800000, s0
	v_xor_b32_e32 v16, v9, v4
	s_delay_alu instid0(SALU_CYCLE_2) | instskip(NEXT) | instid1(TRANS32_DEP_1)
	v_s_rcp_f32 s0, s0
	s_mul_f32 s0, s0, 0x5f7ffffc
	s_delay_alu instid0(SALU_CYCLE_3) | instskip(NEXT) | instid1(SALU_CYCLE_3)
	s_mul_f32 s2, s0, 0x2f800000
	s_trunc_f32 s2, s2
	s_delay_alu instid0(SALU_CYCLE_3) | instskip(SKIP_1) | instid1(SALU_CYCLE_2)
	s_fmamk_f32 s0, s2, 0xcf800000, s0
	s_cvt_u32_f32 s69, s2
	s_cvt_u32_f32 s68, s0
	s_delay_alu instid0(SALU_CYCLE_3) | instskip(NEXT) | instid1(SALU_CYCLE_1)
	s_mul_u64 s[72:73], s[70:71], s[68:69]
	s_mul_hi_u32 s75, s68, s73
	s_mul_i32 s74, s68, s73
	s_mul_hi_u32 s2, s68, s72
	s_mul_i32 s63, s69, s72
	s_add_nc_u64 s[74:75], s[2:3], s[74:75]
	s_mul_hi_u32 s0, s69, s72
	s_mul_hi_u32 s65, s69, s73
	s_add_co_u32 s2, s74, s63
	s_add_co_ci_u32 s2, s75, s0
	s_mul_i32 s72, s69, s73
	s_add_co_ci_u32 s73, s65, 0
	s_delay_alu instid0(SALU_CYCLE_1) | instskip(NEXT) | instid1(SALU_CYCLE_1)
	s_add_nc_u64 s[72:73], s[2:3], s[72:73]
	s_add_co_u32 s68, s68, s72
	s_cselect_b32 s0, -1, 0
	s_delay_alu instid0(SALU_CYCLE_1) | instskip(SKIP_1) | instid1(SALU_CYCLE_1)
	s_cmp_lg_u32 s0, 0
	s_add_co_ci_u32 s69, s69, s73
	s_mul_u64 s[70:71], s[70:71], s[68:69]
	s_delay_alu instid0(SALU_CYCLE_1)
	s_mul_hi_u32 s73, s68, s71
	s_mul_i32 s72, s68, s71
	s_mul_hi_u32 s2, s68, s70
	s_mul_i32 s63, s69, s70
	s_add_nc_u64 s[72:73], s[2:3], s[72:73]
	s_mul_hi_u32 s0, s69, s70
	s_mul_hi_u32 s65, s69, s71
	s_add_co_u32 s2, s72, s63
	s_add_co_ci_u32 s2, s73, s0
	s_mul_i32 s70, s69, s71
	s_add_co_ci_u32 s71, s65, 0
	s_delay_alu instid0(SALU_CYCLE_1) | instskip(NEXT) | instid1(SALU_CYCLE_1)
	s_add_nc_u64 s[70:71], s[2:3], s[70:71]
	s_add_co_u32 s0, s68, s70
	s_cselect_b32 s2, -1, 0
	v_nop
	v_mul_hi_u32 v20, v10, s0
	s_cmp_lg_u32 s2, 0
	s_add_co_ci_u32 s2, s69, s71
	s_and_b64 s[68:69], s[0:1], s[56:57]
	v_mul_u64_e32 v[12:13], s[2:3], v[10:11]
	v_mul_u64_e32 v[8:9], s[68:69], v[16:17]
	;; [unrolled: 1-line block ×3, first 2 shown]
	s_delay_alu instid0(VALU_DEP_3) | instskip(NEXT) | instid1(VALU_DEP_1)
	v_add_nc_u64_e32 v[12:13], v[20:21], v[12:13]
	v_add_co_u32 v3, vcc_lo, v12, v8
	s_delay_alu instid0(VALU_DEP_2) | instskip(NEXT) | instid1(VALU_DEP_4)
	v_add_co_ci_u32_e32 v20, vcc_lo, v13, v9, vcc_lo
	v_add_co_ci_u32_e32 v19, vcc_lo, 0, v19, vcc_lo
	s_delay_alu instid0(VALU_DEP_1) | instskip(NEXT) | instid1(VALU_DEP_1)
	v_add_nc_u64_e32 v[8:9], v[20:21], v[18:19]
	v_mul_u64_e32 v[12:13], s[66:67], v[8:9]
	s_delay_alu instid0(VALU_DEP_1) | instskip(NEXT) | instid1(VALU_DEP_2)
	v_sub_nc_u32_e32 v3, v16, v13
	v_sub_co_u32 v5, vcc_lo, v10, v12
	s_delay_alu instid0(VALU_DEP_1) | instskip(NEXT) | instid1(VALU_DEP_3)
	v_sub_co_ci_u32_e64 v15, null, v16, v13, vcc_lo
	v_subrev_co_ci_u32_e64 v3, null, s67, v3, vcc_lo
	s_delay_alu instid0(VALU_DEP_3) | instskip(SKIP_1) | instid1(VALU_DEP_3)
	v_sub_co_u32 v10, s0, v5, s66
	v_add_nc_u64_e32 v[12:13], 1, v[8:9]
	v_subrev_co_ci_u32_e64 v3, null, 0, v3, s0
	s_delay_alu instid0(VALU_DEP_3) | instskip(SKIP_1) | instid1(VALU_DEP_3)
	v_cmp_le_u32_e32 vcc_lo, s66, v10
	v_cndmask_b32_e64 v10, 0, -1, vcc_lo
	v_cmp_le_u32_e32 vcc_lo, s67, v3
	v_cndmask_b32_e64 v11, 0, -1, vcc_lo
	;; [unrolled: 2-line block ×4, first 2 shown]
	v_cmp_eq_u32_e32 vcc_lo, s67, v3
	v_cndmask_b32_e32 v3, v11, v10, vcc_lo
	v_cmp_eq_u32_e32 vcc_lo, s67, v15
	v_add_nc_u64_e32 v[10:11], 2, v[8:9]
	v_cndmask_b32_e32 v5, v16, v5, vcc_lo
	s_delay_alu instid0(VALU_DEP_4) | instskip(NEXT) | instid1(VALU_DEP_2)
	v_cmp_ne_u32_e32 vcc_lo, 0, v3
	v_cmp_ne_u32_e64 s0, 0, v5
	s_delay_alu instid0(VALU_DEP_4) | instskip(NEXT) | instid1(VALU_DEP_1)
	v_dual_cndmask_b32 v3, v13, v11, vcc_lo :: v_dual_cndmask_b32 v5, v12, v10, vcc_lo
	v_dual_cndmask_b32 v3, v9, v3, s0 :: v_dual_bitop2_b32 v10, s64, v4 bitop3:0x14
	s_delay_alu instid0(VALU_DEP_1) | instskip(NEXT) | instid1(VALU_DEP_2)
	v_dual_cndmask_b32 v5, v8, v5, s0 :: v_dual_mov_b32 v11, v10
	v_xor_b32_e32 v9, v3, v10
	s_delay_alu instid0(VALU_DEP_2) | instskip(NEXT) | instid1(VALU_DEP_1)
	v_xor_b32_e32 v8, v5, v10
	v_sub_nc_u64_e32 v[8:9], v[8:9], v[10:11]
.LBB63_29:                              ;   in Loop: Header=BB63_3 Depth=1
	s_and_not1_saveexec_b32 s0, s33
	s_cbranch_execz .LBB63_31
; %bb.30:                               ;   in Loop: Header=BB63_3 Depth=1
	v_cvt_f32_u32_e32 v3, s40
	s_sub_co_i32 s2, 0, s40
	s_delay_alu instid0(VALU_DEP_1) | instskip(SKIP_1) | instid1(TRANS32_DEP_1)
	v_rcp_iflag_f32_e32 v3, v3
	v_nop
	v_mul_f32_e32 v3, 0x4f7ffffe, v3
	s_delay_alu instid0(VALU_DEP_1) | instskip(NEXT) | instid1(VALU_DEP_1)
	v_cvt_u32_f32_e32 v3, v3
	v_mul_lo_u32 v5, s2, v3
	s_delay_alu instid0(VALU_DEP_1) | instskip(NEXT) | instid1(VALU_DEP_1)
	v_mul_hi_u32 v5, v3, v5
	v_add_nc_u32_e32 v3, v3, v5
	s_delay_alu instid0(VALU_DEP_1) | instskip(NEXT) | instid1(VALU_DEP_1)
	v_mul_hi_u32 v3, v0, v3
	v_mul_lo_u32 v5, v3, s40
	s_delay_alu instid0(VALU_DEP_1) | instskip(NEXT) | instid1(VALU_DEP_1)
	v_sub_nc_u32_e32 v5, v0, v5
	v_subrev_nc_u32_e32 v9, s40, v5
	v_cmp_le_u32_e32 vcc_lo, s40, v5
	s_delay_alu instid0(VALU_DEP_2) | instskip(NEXT) | instid1(VALU_DEP_1)
	v_dual_cndmask_b32 v5, v5, v9 :: v_dual_add_nc_u32 v8, 1, v3
	v_dual_cndmask_b32 v3, v3, v8, vcc_lo :: v_dual_mov_b32 v9, v2
	s_delay_alu instid0(VALU_DEP_2) | instskip(NEXT) | instid1(VALU_DEP_2)
	v_cmp_le_u32_e32 vcc_lo, s40, v5
	v_add_nc_u32_e32 v8, 1, v3
	s_delay_alu instid0(VALU_DEP_1)
	v_cndmask_b32_e32 v8, v3, v8, vcc_lo
.LBB63_31:                              ;   in Loop: Header=BB63_3 Depth=1
	s_or_b32 exec_lo, exec_lo, s0
	s_delay_alu instid0(VALU_DEP_1) | instskip(SKIP_2) | instid1(VALU_DEP_2)
	v_mad_nc_u64_u32 v[10:11], s58, v8, v[0:1]
	v_mul_u64_e32 v[12:13], s[54:55], v[6:7]
                                        ; implicit-def: $vgpr18_vgpr19
	s_mov_b32 s0, exec_lo
	v_mad_u32 v3, s59, v8, v11
	s_delay_alu instid0(VALU_DEP_1) | instskip(SKIP_1) | instid1(VALU_DEP_4)
	v_mad_u32 v11, s58, v9, v3
	v_mul_u64_e32 v[8:9], s[16:17], v[8:9]
	v_add_nc_u64_e32 v[20:21], v[0:1], v[12:13]
	s_delay_alu instid0(VALU_DEP_3) | instskip(NEXT) | instid1(VALU_DEP_2)
	v_mul_u64_e32 v[10:11], s[18:19], v[10:11]
	v_dual_ashrrev_i32 v16, 31, v21 :: v_dual_bitop2_b32 v3, s31, v21 bitop3:0x54
	s_delay_alu instid0(VALU_DEP_4) | instskip(NEXT) | instid1(VALU_DEP_1)
	v_lshl_add_u64 v[8:9], v[8:9], 1, s[38:39]
	v_lshl_add_u64 v[8:9], v[10:11], 1, v[8:9]
	global_load_u16 v5, v[8:9], off
	s_wait_xcnt 0x0
	v_cmpx_ne_u64_e32 0, v[2:3]
	s_xor_b32 s33, exec_lo, s0
	s_cbranch_execz .LBB63_33
; %bb.32:                               ;   in Loop: Header=BB63_3 Depth=1
	s_ashr_i32 s64, s31, 31
	v_dual_mov_b32 v17, v16 :: v_dual_mov_b32 v11, v2
	s_mov_b32 s65, s64
	v_mov_b32_e32 v27, v2
	s_add_nc_u64 s[66:67], s[30:31], s[64:65]
	s_delay_alu instid0(VALU_DEP_2)
	v_add_nc_u64_e32 v[8:9], v[20:21], v[16:17]
	s_xor_b64 s[66:67], s[66:67], s[64:65]
	v_mov_b32_e32 v35, v2
	s_cvt_f32_u32 s0, s66
	s_cvt_f32_u32 s2, s67
	s_sub_nc_u64 s[70:71], 0, s[66:67]
	s_delay_alu instid0(VALU_DEP_2) | instskip(NEXT) | instid1(SALU_CYCLE_1)
	v_xor_b32_e32 v10, v8, v16
	s_fmamk_f32 s0, s2, 0x4f800000, s0
	v_xor_b32_e32 v26, v9, v16
	s_delay_alu instid0(SALU_CYCLE_2) | instskip(NEXT) | instid1(TRANS32_DEP_1)
	v_s_rcp_f32 s0, s0
	s_mul_f32 s0, s0, 0x5f7ffffc
	s_delay_alu instid0(SALU_CYCLE_3) | instskip(NEXT) | instid1(SALU_CYCLE_3)
	s_mul_f32 s2, s0, 0x2f800000
	s_trunc_f32 s2, s2
	s_delay_alu instid0(SALU_CYCLE_3) | instskip(SKIP_1) | instid1(SALU_CYCLE_2)
	s_fmamk_f32 s0, s2, 0xcf800000, s0
	s_cvt_u32_f32 s69, s2
	s_cvt_u32_f32 s68, s0
	s_delay_alu instid0(SALU_CYCLE_3) | instskip(NEXT) | instid1(SALU_CYCLE_1)
	s_mul_u64 s[72:73], s[70:71], s[68:69]
	s_mul_hi_u32 s75, s68, s73
	s_mul_i32 s74, s68, s73
	s_mul_hi_u32 s2, s68, s72
	s_mul_i32 s63, s69, s72
	s_add_nc_u64 s[74:75], s[2:3], s[74:75]
	s_mul_hi_u32 s0, s69, s72
	s_mul_hi_u32 s65, s69, s73
	s_add_co_u32 s2, s74, s63
	s_add_co_ci_u32 s2, s75, s0
	s_mul_i32 s72, s69, s73
	s_add_co_ci_u32 s73, s65, 0
	s_delay_alu instid0(SALU_CYCLE_1) | instskip(NEXT) | instid1(SALU_CYCLE_1)
	s_add_nc_u64 s[72:73], s[2:3], s[72:73]
	s_add_co_u32 s68, s68, s72
	s_cselect_b32 s0, -1, 0
	s_delay_alu instid0(SALU_CYCLE_1) | instskip(SKIP_1) | instid1(SALU_CYCLE_1)
	s_cmp_lg_u32 s0, 0
	s_add_co_ci_u32 s69, s69, s73
	s_mul_u64 s[70:71], s[70:71], s[68:69]
	s_delay_alu instid0(SALU_CYCLE_1)
	s_mul_hi_u32 s73, s68, s71
	s_mul_i32 s72, s68, s71
	s_mul_hi_u32 s2, s68, s70
	s_mul_i32 s63, s69, s70
	s_add_nc_u64 s[72:73], s[2:3], s[72:73]
	s_mul_hi_u32 s0, s69, s70
	s_mul_hi_u32 s65, s69, s71
	s_add_co_u32 s2, s72, s63
	s_add_co_ci_u32 s2, s73, s0
	s_mul_i32 s70, s69, s71
	s_add_co_ci_u32 s71, s65, 0
	s_delay_alu instid0(SALU_CYCLE_1) | instskip(NEXT) | instid1(SALU_CYCLE_1)
	s_add_nc_u64 s[70:71], s[2:3], s[70:71]
	s_add_co_u32 s0, s68, s70
	s_cselect_b32 s2, -1, 0
	v_nop
	v_mul_hi_u32 v34, v10, s0
	s_cmp_lg_u32 s2, 0
	s_add_co_ci_u32 s2, s69, s71
	s_and_b64 s[68:69], s[0:1], s[56:57]
	v_mul_u64_e32 v[18:19], s[2:3], v[10:11]
	v_mul_u64_e32 v[8:9], s[68:69], v[26:27]
	v_mul_u64_e32 v[28:29], s[2:3], v[26:27]
	s_delay_alu instid0(VALU_DEP_3) | instskip(NEXT) | instid1(VALU_DEP_1)
	v_add_nc_u64_e32 v[18:19], v[34:35], v[18:19]
	v_add_co_u32 v3, vcc_lo, v18, v8
	s_delay_alu instid0(VALU_DEP_2) | instskip(NEXT) | instid1(VALU_DEP_4)
	v_add_co_ci_u32_e32 v34, vcc_lo, v19, v9, vcc_lo
	v_add_co_ci_u32_e32 v29, vcc_lo, 0, v29, vcc_lo
	s_delay_alu instid0(VALU_DEP_1) | instskip(NEXT) | instid1(VALU_DEP_1)
	v_add_nc_u64_e32 v[8:9], v[34:35], v[28:29]
	v_mul_u64_e32 v[18:19], s[66:67], v[8:9]
	s_delay_alu instid0(VALU_DEP_1) | instskip(NEXT) | instid1(VALU_DEP_2)
	v_sub_nc_u32_e32 v3, v26, v19
	v_sub_co_u32 v10, vcc_lo, v10, v18
	s_delay_alu instid0(VALU_DEP_1) | instskip(NEXT) | instid1(VALU_DEP_3)
	v_sub_co_ci_u32_e64 v15, null, v26, v19, vcc_lo
	v_subrev_co_ci_u32_e64 v3, null, s67, v3, vcc_lo
	s_delay_alu instid0(VALU_DEP_3) | instskip(SKIP_1) | instid1(VALU_DEP_3)
	v_sub_co_u32 v11, s0, v10, s66
	v_add_nc_u64_e32 v[18:19], 1, v[8:9]
	v_subrev_co_ci_u32_e64 v3, null, 0, v3, s0
	s_delay_alu instid0(VALU_DEP_3) | instskip(SKIP_1) | instid1(VALU_DEP_3)
	v_cmp_le_u32_e32 vcc_lo, s66, v11
	v_cndmask_b32_e64 v11, 0, -1, vcc_lo
	v_cmp_le_u32_e32 vcc_lo, s67, v3
	v_cndmask_b32_e64 v17, 0, -1, vcc_lo
	v_cmp_le_u32_e32 vcc_lo, s66, v10
	v_cndmask_b32_e64 v23, 0, -1, vcc_lo
	v_cmp_le_u32_e32 vcc_lo, s67, v15
	v_cndmask_b32_e64 v26, 0, -1, vcc_lo
	v_cmp_eq_u32_e32 vcc_lo, s67, v3
	v_cndmask_b32_e32 v3, v17, v11, vcc_lo
	v_cmp_eq_u32_e32 vcc_lo, s67, v15
	v_add_nc_u64_e32 v[10:11], 2, v[8:9]
	v_cndmask_b32_e32 v15, v26, v23, vcc_lo
	s_delay_alu instid0(VALU_DEP_4) | instskip(NEXT) | instid1(VALU_DEP_2)
	v_cmp_ne_u32_e32 vcc_lo, 0, v3
	v_cmp_ne_u32_e64 s0, 0, v15
	s_delay_alu instid0(VALU_DEP_4) | instskip(NEXT) | instid1(VALU_DEP_1)
	v_dual_cndmask_b32 v3, v19, v11, vcc_lo :: v_dual_cndmask_b32 v11, v18, v10, vcc_lo
	v_dual_cndmask_b32 v8, v8, v11, s0 :: v_dual_bitop2_b32 v10, s64, v16 bitop3:0x14
	s_delay_alu instid0(VALU_DEP_1) | instskip(NEXT) | instid1(VALU_DEP_2)
	v_dual_cndmask_b32 v3, v9, v3, s0 :: v_dual_mov_b32 v11, v10
	v_xor_b32_e32 v8, v8, v10
	s_delay_alu instid0(VALU_DEP_2) | instskip(NEXT) | instid1(VALU_DEP_1)
	v_xor_b32_e32 v9, v3, v10
	v_sub_nc_u64_e32 v[18:19], v[8:9], v[10:11]
.LBB63_33:                              ;   in Loop: Header=BB63_3 Depth=1
	s_or_saveexec_b32 s0, s33
	v_cvt_f32_u32_e32 v17, s30
	s_xor_b32 exec_lo, exec_lo, s0
	s_cbranch_execz .LBB63_35
; %bb.34:                               ;   in Loop: Header=BB63_3 Depth=1
	s_delay_alu instid0(VALU_DEP_1) | instskip(SKIP_2) | instid1(TRANS32_DEP_1)
	v_rcp_iflag_f32_e32 v3, v17
	s_sub_co_i32 s2, 0, s30
	v_mov_b32_e32 v19, v2
	v_mul_f32_e32 v3, 0x4f7ffffe, v3
	s_delay_alu instid0(VALU_DEP_1) | instskip(NEXT) | instid1(VALU_DEP_1)
	v_cvt_u32_f32_e32 v3, v3
	v_mul_lo_u32 v8, s2, v3
	s_delay_alu instid0(VALU_DEP_1) | instskip(NEXT) | instid1(VALU_DEP_1)
	v_mul_hi_u32 v8, v3, v8
	v_add_nc_u32_e32 v3, v3, v8
	s_delay_alu instid0(VALU_DEP_1) | instskip(NEXT) | instid1(VALU_DEP_1)
	v_mul_hi_u32 v3, v20, v3
	v_mul_lo_u32 v8, v3, s30
	s_delay_alu instid0(VALU_DEP_1) | instskip(NEXT) | instid1(VALU_DEP_1)
	v_dual_add_nc_u32 v9, 1, v3 :: v_dual_sub_nc_u32 v8, v20, v8
	v_subrev_nc_u32_e32 v10, s30, v8
	v_cmp_le_u32_e32 vcc_lo, s30, v8
	s_delay_alu instid0(VALU_DEP_2) | instskip(NEXT) | instid1(VALU_DEP_1)
	v_dual_cndmask_b32 v8, v8, v10 :: v_dual_cndmask_b32 v3, v3, v9
	v_cmp_le_u32_e32 vcc_lo, s30, v8
	s_delay_alu instid0(VALU_DEP_2) | instskip(NEXT) | instid1(VALU_DEP_1)
	v_add_nc_u32_e32 v9, 1, v3
	v_cndmask_b32_e32 v18, v3, v9, vcc_lo
.LBB63_35:                              ;   in Loop: Header=BB63_3 Depth=1
	s_or_b32 exec_lo, exec_lo, s0
	s_delay_alu instid0(VALU_DEP_1)
	v_mul_u64_e32 v[10:11], s[30:31], v[18:19]
	s_wait_loadcnt 0x3
	v_dual_lshlrev_b32 v23, 16, v22 :: v_dual_lshlrev_b32 v9, 16, v25
	s_wait_loadcnt 0x2
	v_lshlrev_b32_e32 v22, 16, v14
	v_lshlrev_b64_e32 v[28:29], 1, v[6:7]
	s_wait_loadcnt 0x0
	v_dual_lshlrev_b32 v33, 16, v5 :: v_dual_lshlrev_b32 v3, 16, v30
	v_mul_u64_e32 v[18:19], s[8:9], v[18:19]
	v_pk_mul_f32 v[14:15], v[22:23], v[22:23]
	v_alignbit_b32 v6, v7, v6, 31
	s_mov_b32 s0, exec_lo
	s_delay_alu instid0(VALU_DEP_2) | instskip(SKIP_1) | instid1(VALU_DEP_2)
	v_dual_mov_b32 v8, v15 :: v_dual_lshlrev_b32 v5, 16, v24
	v_mad_nc_u64_u32 v[14:15], s4, v28, s[4:5]
	v_pk_add_f32 v[26:27], v[8:9], 1.0 op_sel_hi:[1,0] neg_lo:[1,0] neg_hi:[1,0]
	s_delay_alu instid0(VALU_DEP_1) | instskip(SKIP_1) | instid1(VALU_DEP_2)
	v_mul_f32_e32 v8, v27, v33
	v_sub_nc_u64_e32 v[34:35], v[12:13], v[10:11]
	v_pk_mul_f32 v[10:11], v[26:27], v[8:9] op_sel_hi:[1,0]
	v_mad_u32 v8, s5, v28, v15
	s_delay_alu instid0(VALU_DEP_2) | instskip(NEXT) | instid1(VALU_DEP_4)
	v_dual_sub_f32 v11, 1.0, v5 :: v_dual_mul_f32 v3, v10, v3
	v_add_nc_u64_e32 v[30:31], v[0:1], v[34:35]
	s_delay_alu instid0(VALU_DEP_3) | instskip(NEXT) | instid1(VALU_DEP_2)
	v_mad_u32 v15, s4, v6, v8
	v_mul_u64_e32 v[30:31], s[10:11], v[30:31]
	v_lshl_add_u64 v[6:7], v[18:19], 1, s[28:29]
	s_delay_alu instid0(VALU_DEP_3) | instskip(NEXT) | instid1(VALU_DEP_1)
	v_add_nc_u64_e32 v[24:25], v[0:1], v[14:15]
	v_dual_mul_f32 v3, v11, v3 :: v_dual_ashrrev_i32 v18, 31, v25
	s_delay_alu instid0(VALU_DEP_1) | instskip(NEXT) | instid1(VALU_DEP_1)
	v_mul_f32_e32 v8, v3, v5
	v_bfe_u32 v3, v8, 16, 1
	s_delay_alu instid0(VALU_DEP_1) | instskip(SKIP_1) | instid1(VALU_DEP_2)
	v_add3_u32 v3, v8, v3, 0x7fff
	v_lshl_add_u64 v[6:7], v[30:31], 1, v[6:7]
	v_lshrrev_b32_e32 v11, 16, v3
	v_cmp_o_f32_e32 vcc_lo, v8, v8
	v_or_b32_e32 v3, s31, v25
                                        ; implicit-def: $vgpr30_vgpr31
	s_delay_alu instid0(VALU_DEP_3)
	v_cndmask_b32_e32 v8, 0x7fc0, v11, vcc_lo
	global_store_b16 v[6:7], v8, off
	s_wait_xcnt 0x0
	v_cmpx_ne_u64_e32 0, v[2:3]
	s_xor_b32 s33, exec_lo, s0
	s_cbranch_execz .LBB63_37
; %bb.36:                               ;   in Loop: Header=BB63_3 Depth=1
	s_ashr_i32 s64, s31, 31
	v_dual_mov_b32 v19, v18 :: v_dual_mov_b32 v31, v2
	s_mov_b32 s65, s64
	v_mov_b32_e32 v41, v2
	s_add_nc_u64 s[66:67], s[30:31], s[64:65]
	s_delay_alu instid0(VALU_DEP_2)
	v_add_nc_u64_e32 v[6:7], v[24:25], v[18:19]
	s_xor_b64 s[66:67], s[66:67], s[64:65]
	v_mov_b32_e32 v37, v2
	s_cvt_f32_u32 s0, s66
	s_cvt_f32_u32 s2, s67
	s_sub_nc_u64 s[70:71], 0, s[66:67]
	s_delay_alu instid0(VALU_DEP_2) | instskip(NEXT) | instid1(SALU_CYCLE_1)
	v_xor_b32_e32 v36, v7, v18
	s_fmamk_f32 s0, s2, 0x4f800000, s0
	v_xor_b32_e32 v30, v6, v18
	s_delay_alu instid0(SALU_CYCLE_2) | instskip(NEXT) | instid1(TRANS32_DEP_1)
	v_s_rcp_f32 s0, s0
	s_mul_f32 s0, s0, 0x5f7ffffc
	s_delay_alu instid0(SALU_CYCLE_3) | instskip(NEXT) | instid1(SALU_CYCLE_3)
	s_mul_f32 s2, s0, 0x2f800000
	s_trunc_f32 s2, s2
	s_delay_alu instid0(SALU_CYCLE_3) | instskip(SKIP_1) | instid1(SALU_CYCLE_2)
	s_fmamk_f32 s0, s2, 0xcf800000, s0
	s_cvt_u32_f32 s69, s2
	s_cvt_u32_f32 s68, s0
	s_delay_alu instid0(SALU_CYCLE_3) | instskip(NEXT) | instid1(SALU_CYCLE_1)
	s_mul_u64 s[72:73], s[70:71], s[68:69]
	s_mul_hi_u32 s75, s68, s73
	s_mul_i32 s74, s68, s73
	s_mul_hi_u32 s2, s68, s72
	s_mul_i32 s63, s69, s72
	s_add_nc_u64 s[74:75], s[2:3], s[74:75]
	s_mul_hi_u32 s0, s69, s72
	s_mul_hi_u32 s65, s69, s73
	s_add_co_u32 s2, s74, s63
	s_add_co_ci_u32 s2, s75, s0
	s_mul_i32 s72, s69, s73
	s_add_co_ci_u32 s73, s65, 0
	s_delay_alu instid0(SALU_CYCLE_1) | instskip(NEXT) | instid1(SALU_CYCLE_1)
	s_add_nc_u64 s[72:73], s[2:3], s[72:73]
	s_add_co_u32 s68, s68, s72
	s_cselect_b32 s0, -1, 0
	s_delay_alu instid0(SALU_CYCLE_1) | instskip(SKIP_1) | instid1(SALU_CYCLE_1)
	s_cmp_lg_u32 s0, 0
	s_add_co_ci_u32 s69, s69, s73
	s_mul_u64 s[70:71], s[70:71], s[68:69]
	s_delay_alu instid0(SALU_CYCLE_1)
	s_mul_hi_u32 s73, s68, s71
	s_mul_i32 s72, s68, s71
	s_mul_hi_u32 s2, s68, s70
	s_mul_i32 s63, s69, s70
	s_add_nc_u64 s[72:73], s[2:3], s[72:73]
	s_mul_hi_u32 s0, s69, s70
	s_mul_hi_u32 s65, s69, s71
	s_add_co_u32 s2, s72, s63
	s_add_co_ci_u32 s2, s73, s0
	s_mul_i32 s70, s69, s71
	s_add_co_ci_u32 s71, s65, 0
	s_delay_alu instid0(SALU_CYCLE_1) | instskip(NEXT) | instid1(SALU_CYCLE_1)
	s_add_nc_u64 s[70:71], s[2:3], s[70:71]
	s_add_co_u32 s0, s68, s70
	s_cselect_b32 s2, -1, 0
	v_nop
	v_mul_hi_u32 v40, v30, s0
	s_cmp_lg_u32 s2, 0
	s_add_co_ci_u32 s2, s69, s71
	s_and_b64 s[68:69], s[0:1], s[56:57]
	v_mul_u64_e32 v[34:35], s[2:3], v[30:31]
	v_mul_u64_e32 v[6:7], s[68:69], v[36:37]
	;; [unrolled: 1-line block ×3, first 2 shown]
	s_delay_alu instid0(VALU_DEP_3) | instskip(NEXT) | instid1(VALU_DEP_1)
	v_add_nc_u64_e32 v[34:35], v[40:41], v[34:35]
	v_add_co_u32 v3, vcc_lo, v34, v6
	s_delay_alu instid0(VALU_DEP_2) | instskip(NEXT) | instid1(VALU_DEP_4)
	v_add_co_ci_u32_e32 v40, vcc_lo, v35, v7, vcc_lo
	v_add_co_ci_u32_e32 v39, vcc_lo, 0, v39, vcc_lo
	s_delay_alu instid0(VALU_DEP_1) | instskip(NEXT) | instid1(VALU_DEP_1)
	v_add_nc_u64_e32 v[6:7], v[40:41], v[38:39]
	v_mul_u64_e32 v[34:35], s[66:67], v[6:7]
	s_delay_alu instid0(VALU_DEP_1) | instskip(NEXT) | instid1(VALU_DEP_2)
	v_sub_nc_u32_e32 v3, v36, v35
	v_sub_co_u32 v11, vcc_lo, v30, v34
	s_delay_alu instid0(VALU_DEP_1) | instskip(NEXT) | instid1(VALU_DEP_3)
	v_sub_co_ci_u32_e64 v26, null, v36, v35, vcc_lo
	v_subrev_co_ci_u32_e64 v3, null, s67, v3, vcc_lo
	s_delay_alu instid0(VALU_DEP_3) | instskip(SKIP_1) | instid1(VALU_DEP_3)
	v_sub_co_u32 v19, s0, v11, s66
	v_add_nc_u64_e32 v[34:35], 1, v[6:7]
	v_subrev_co_ci_u32_e64 v3, null, 0, v3, s0
	s_delay_alu instid0(VALU_DEP_3) | instskip(SKIP_1) | instid1(VALU_DEP_3)
	v_cmp_le_u32_e32 vcc_lo, s66, v19
	v_cndmask_b32_e64 v19, 0, -1, vcc_lo
	v_cmp_le_u32_e32 vcc_lo, s67, v3
	v_cndmask_b32_e64 v30, 0, -1, vcc_lo
	;; [unrolled: 2-line block ×4, first 2 shown]
	v_cmp_eq_u32_e32 vcc_lo, s67, v3
	v_cndmask_b32_e32 v3, v30, v19, vcc_lo
	v_cmp_eq_u32_e32 vcc_lo, s67, v26
	v_add_nc_u64_e32 v[30:31], 2, v[6:7]
	v_cndmask_b32_e32 v11, v36, v11, vcc_lo
	s_delay_alu instid0(VALU_DEP_4) | instskip(NEXT) | instid1(VALU_DEP_2)
	v_cmp_ne_u32_e32 vcc_lo, 0, v3
	v_cmp_ne_u32_e64 s0, 0, v11
	s_delay_alu instid0(VALU_DEP_4) | instskip(NEXT) | instid1(VALU_DEP_1)
	v_dual_cndmask_b32 v3, v35, v31, vcc_lo :: v_dual_cndmask_b32 v11, v34, v30, vcc_lo
	v_dual_cndmask_b32 v3, v7, v3, s0 :: v_dual_bitop2_b32 v30, s64, v18 bitop3:0x14
	s_delay_alu instid0(VALU_DEP_1) | instskip(NEXT) | instid1(VALU_DEP_2)
	v_mov_b32_e32 v31, v30
	v_dual_cndmask_b32 v6, v6, v11, s0 :: v_dual_bitop2_b32 v7, v3, v30 bitop3:0x14
	s_delay_alu instid0(VALU_DEP_1) | instskip(NEXT) | instid1(VALU_DEP_1)
	v_xor_b32_e32 v6, v6, v30
	v_sub_nc_u64_e32 v[30:31], v[6:7], v[30:31]
.LBB63_37:                              ;   in Loop: Header=BB63_3 Depth=1
	s_and_not1_saveexec_b32 s0, s33
	s_cbranch_execz .LBB63_39
; %bb.38:                               ;   in Loop: Header=BB63_3 Depth=1
	v_rcp_iflag_f32_e32 v3, v17
	s_sub_co_i32 s2, 0, s30
	v_mov_b32_e32 v31, v2
	s_delay_alu instid0(TRANS32_DEP_1) | instskip(NEXT) | instid1(VALU_DEP_1)
	v_mul_f32_e32 v3, 0x4f7ffffe, v3
	v_cvt_u32_f32_e32 v3, v3
	s_delay_alu instid0(VALU_DEP_1) | instskip(NEXT) | instid1(VALU_DEP_1)
	v_mul_lo_u32 v6, s2, v3
	v_mul_hi_u32 v6, v3, v6
	s_delay_alu instid0(VALU_DEP_1) | instskip(NEXT) | instid1(VALU_DEP_1)
	v_add_nc_u32_e32 v3, v3, v6
	v_mul_hi_u32 v3, v24, v3
	s_delay_alu instid0(VALU_DEP_1) | instskip(NEXT) | instid1(VALU_DEP_1)
	v_mul_lo_u32 v6, v3, s30
	v_dual_add_nc_u32 v7, 1, v3 :: v_dual_sub_nc_u32 v6, v24, v6
	s_delay_alu instid0(VALU_DEP_1) | instskip(SKIP_1) | instid1(VALU_DEP_2)
	v_subrev_nc_u32_e32 v11, s30, v6
	v_cmp_le_u32_e32 vcc_lo, s30, v6
	v_cndmask_b32_e32 v6, v6, v11, vcc_lo
	s_delay_alu instid0(VALU_DEP_4) | instskip(NEXT) | instid1(VALU_DEP_2)
	v_cndmask_b32_e32 v3, v3, v7, vcc_lo
	v_cmp_le_u32_e32 vcc_lo, s30, v6
	s_delay_alu instid0(VALU_DEP_2) | instskip(NEXT) | instid1(VALU_DEP_1)
	v_add_nc_u32_e32 v7, 1, v3
	v_cndmask_b32_e32 v30, v3, v7, vcc_lo
.LBB63_39:                              ;   in Loop: Header=BB63_3 Depth=1
	s_or_b32 exec_lo, exec_lo, s0
	s_delay_alu instid0(VALU_DEP_1) | instskip(SKIP_4) | instid1(VALU_DEP_2)
	v_mul_u64_e32 v[6:7], s[30:31], v[30:31]
	v_add_nc_u64_e32 v[28:29], 2, v[28:29]
	v_sub_f32_e32 v3, v22, v23
	v_mul_u64_e32 v[22:23], s[8:9], v[30:31]
	s_mov_b32 s0, exec_lo
	v_mul_f32_e32 v3, v3, v33
	s_delay_alu instid0(VALU_DEP_1) | instskip(NEXT) | instid1(VALU_DEP_1)
	v_mul_f32_e32 v3, v27, v3
	v_mul_f32_e32 v11, v3, v9
	s_delay_alu instid0(VALU_DEP_1) | instskip(NEXT) | instid1(VALU_DEP_1)
	v_bfe_u32 v3, v11, 16, 1
	v_add3_u32 v3, v11, v3, 0x7fff
	s_delay_alu instid0(VALU_DEP_1) | instskip(SKIP_4) | instid1(VALU_DEP_4)
	v_lshrrev_b32_e32 v19, 16, v3
	v_sub_nc_u64_e32 v[34:35], v[14:15], v[6:7]
	v_mul_u64_e32 v[6:7], s[4:5], v[28:29]
	v_lshl_add_u64 v[22:23], v[22:23], 1, s[28:29]
	v_cmp_o_f32_e32 vcc_lo, v11, v11
	v_add_nc_u64_e32 v[28:29], v[0:1], v[34:35]
	v_cndmask_b32_e32 v11, 0x7fc0, v19, vcc_lo
	s_delay_alu instid0(VALU_DEP_2) | instskip(SKIP_1) | instid1(VALU_DEP_1)
	v_mul_u64_e32 v[28:29], s[10:11], v[28:29]
	v_add_nc_u64_e32 v[26:27], v[0:1], v[6:7]
	v_or_b32_e32 v3, s31, v27
	s_delay_alu instid0(VALU_DEP_3)
	v_lshl_add_u64 v[28:29], v[28:29], 1, v[22:23]
	v_ashrrev_i32_e32 v22, 31, v27
	global_store_b16 v[28:29], v11, off
                                        ; implicit-def: $vgpr28_vgpr29
	s_wait_xcnt 0x0
	v_cmpx_ne_u64_e32 0, v[2:3]
	s_xor_b32 s33, exec_lo, s0
	s_cbranch_execz .LBB63_41
; %bb.40:                               ;   in Loop: Header=BB63_3 Depth=1
	s_ashr_i32 s64, s31, 31
	v_dual_mov_b32 v23, v22 :: v_dual_mov_b32 v31, v2
	s_mov_b32 s65, s64
	v_mov_b32_e32 v37, v2
	s_add_nc_u64 s[66:67], s[30:31], s[64:65]
	s_delay_alu instid0(VALU_DEP_2)
	v_add_nc_u64_e32 v[28:29], v[26:27], v[22:23]
	s_xor_b64 s[66:67], s[66:67], s[64:65]
	v_mov_b32_e32 v41, v2
	s_cvt_f32_u32 s0, s66
	s_cvt_f32_u32 s2, s67
	s_sub_nc_u64 s[70:71], 0, s[66:67]
	s_delay_alu instid0(VALU_DEP_2) | instskip(NEXT) | instid1(SALU_CYCLE_1)
	v_xor_b32_e32 v30, v28, v22
	s_fmamk_f32 s0, s2, 0x4f800000, s0
	v_xor_b32_e32 v36, v29, v22
	s_delay_alu instid0(SALU_CYCLE_2) | instskip(NEXT) | instid1(TRANS32_DEP_1)
	v_s_rcp_f32 s0, s0
	s_mul_f32 s0, s0, 0x5f7ffffc
	s_delay_alu instid0(SALU_CYCLE_3) | instskip(NEXT) | instid1(SALU_CYCLE_3)
	s_mul_f32 s2, s0, 0x2f800000
	s_trunc_f32 s2, s2
	s_delay_alu instid0(SALU_CYCLE_3) | instskip(SKIP_1) | instid1(SALU_CYCLE_2)
	s_fmamk_f32 s0, s2, 0xcf800000, s0
	s_cvt_u32_f32 s69, s2
	s_cvt_u32_f32 s68, s0
	s_delay_alu instid0(SALU_CYCLE_3) | instskip(NEXT) | instid1(SALU_CYCLE_1)
	s_mul_u64 s[72:73], s[70:71], s[68:69]
	s_mul_hi_u32 s75, s68, s73
	s_mul_i32 s74, s68, s73
	s_mul_hi_u32 s2, s68, s72
	s_mul_i32 s63, s69, s72
	s_add_nc_u64 s[74:75], s[2:3], s[74:75]
	s_mul_hi_u32 s0, s69, s72
	s_mul_hi_u32 s65, s69, s73
	s_add_co_u32 s2, s74, s63
	s_add_co_ci_u32 s2, s75, s0
	s_mul_i32 s72, s69, s73
	s_add_co_ci_u32 s73, s65, 0
	s_delay_alu instid0(SALU_CYCLE_1) | instskip(NEXT) | instid1(SALU_CYCLE_1)
	s_add_nc_u64 s[72:73], s[2:3], s[72:73]
	s_add_co_u32 s68, s68, s72
	s_cselect_b32 s0, -1, 0
	s_delay_alu instid0(SALU_CYCLE_1) | instskip(SKIP_1) | instid1(SALU_CYCLE_1)
	s_cmp_lg_u32 s0, 0
	s_add_co_ci_u32 s69, s69, s73
	s_mul_u64 s[70:71], s[70:71], s[68:69]
	s_delay_alu instid0(SALU_CYCLE_1)
	s_mul_hi_u32 s73, s68, s71
	s_mul_i32 s72, s68, s71
	s_mul_hi_u32 s2, s68, s70
	s_mul_i32 s63, s69, s70
	s_add_nc_u64 s[72:73], s[2:3], s[72:73]
	s_mul_hi_u32 s0, s69, s70
	s_mul_hi_u32 s65, s69, s71
	s_add_co_u32 s2, s72, s63
	s_add_co_ci_u32 s2, s73, s0
	s_mul_i32 s70, s69, s71
	s_add_co_ci_u32 s71, s65, 0
	s_delay_alu instid0(SALU_CYCLE_1) | instskip(NEXT) | instid1(SALU_CYCLE_1)
	s_add_nc_u64 s[70:71], s[2:3], s[70:71]
	s_add_co_u32 s0, s68, s70
	s_cselect_b32 s2, -1, 0
	v_nop
	v_mul_hi_u32 v40, v30, s0
	s_cmp_lg_u32 s2, 0
	s_add_co_ci_u32 s2, s69, s71
	s_and_b64 s[68:69], s[0:1], s[56:57]
	v_mul_u64_e32 v[34:35], s[2:3], v[30:31]
	v_mul_u64_e32 v[28:29], s[68:69], v[36:37]
	;; [unrolled: 1-line block ×3, first 2 shown]
	s_delay_alu instid0(VALU_DEP_3) | instskip(NEXT) | instid1(VALU_DEP_1)
	v_add_nc_u64_e32 v[34:35], v[40:41], v[34:35]
	v_add_co_u32 v3, vcc_lo, v34, v28
	s_delay_alu instid0(VALU_DEP_2) | instskip(NEXT) | instid1(VALU_DEP_4)
	v_add_co_ci_u32_e32 v40, vcc_lo, v35, v29, vcc_lo
	v_add_co_ci_u32_e32 v39, vcc_lo, 0, v39, vcc_lo
	s_delay_alu instid0(VALU_DEP_1) | instskip(NEXT) | instid1(VALU_DEP_1)
	v_add_nc_u64_e32 v[28:29], v[40:41], v[38:39]
	v_mul_u64_e32 v[34:35], s[66:67], v[28:29]
	s_delay_alu instid0(VALU_DEP_1) | instskip(NEXT) | instid1(VALU_DEP_2)
	v_sub_nc_u32_e32 v3, v36, v35
	v_sub_co_u32 v17, vcc_lo, v30, v34
	s_delay_alu instid0(VALU_DEP_1) | instskip(NEXT) | instid1(VALU_DEP_3)
	v_sub_co_ci_u32_e64 v23, null, v36, v35, vcc_lo
	v_subrev_co_ci_u32_e64 v3, null, s67, v3, vcc_lo
	s_delay_alu instid0(VALU_DEP_3) | instskip(SKIP_1) | instid1(VALU_DEP_3)
	v_sub_co_u32 v19, s0, v17, s66
	v_add_nc_u64_e32 v[34:35], 1, v[28:29]
	v_subrev_co_ci_u32_e64 v3, null, 0, v3, s0
	s_delay_alu instid0(VALU_DEP_3) | instskip(SKIP_1) | instid1(VALU_DEP_3)
	v_cmp_le_u32_e32 vcc_lo, s66, v19
	v_cndmask_b32_e64 v19, 0, -1, vcc_lo
	v_cmp_le_u32_e32 vcc_lo, s67, v3
	v_cndmask_b32_e64 v30, 0, -1, vcc_lo
	v_cmp_le_u32_e32 vcc_lo, s66, v17
	v_cndmask_b32_e64 v17, 0, -1, vcc_lo
	v_cmp_le_u32_e32 vcc_lo, s67, v23
	v_cndmask_b32_e64 v36, 0, -1, vcc_lo
	v_cmp_eq_u32_e32 vcc_lo, s67, v3
	v_cndmask_b32_e32 v3, v30, v19, vcc_lo
	v_cmp_eq_u32_e32 vcc_lo, s67, v23
	v_add_nc_u64_e32 v[30:31], 2, v[28:29]
	v_cndmask_b32_e32 v17, v36, v17, vcc_lo
	s_delay_alu instid0(VALU_DEP_4) | instskip(NEXT) | instid1(VALU_DEP_2)
	v_cmp_ne_u32_e32 vcc_lo, 0, v3
	v_cmp_ne_u32_e64 s0, 0, v17
	s_delay_alu instid0(VALU_DEP_4) | instskip(NEXT) | instid1(VALU_DEP_1)
	v_dual_cndmask_b32 v3, v35, v31, vcc_lo :: v_dual_cndmask_b32 v17, v34, v30, vcc_lo
	v_dual_cndmask_b32 v3, v29, v3, s0 :: v_dual_bitop2_b32 v30, s64, v22 bitop3:0x14
	s_delay_alu instid0(VALU_DEP_1) | instskip(NEXT) | instid1(VALU_DEP_2)
	v_dual_cndmask_b32 v17, v28, v17, s0 :: v_dual_mov_b32 v31, v30
	v_xor_b32_e32 v29, v3, v30
	s_delay_alu instid0(VALU_DEP_2) | instskip(NEXT) | instid1(VALU_DEP_1)
	v_xor_b32_e32 v28, v17, v30
                                        ; implicit-def: $vgpr17
	v_sub_nc_u64_e32 v[28:29], v[28:29], v[30:31]
.LBB63_41:                              ;   in Loop: Header=BB63_3 Depth=1
	s_and_not1_saveexec_b32 s0, s33
	s_cbranch_execz .LBB63_43
; %bb.42:                               ;   in Loop: Header=BB63_3 Depth=1
	v_rcp_iflag_f32_e32 v3, v17
	s_sub_co_i32 s2, 0, s30
	v_mov_b32_e32 v29, v2
	s_delay_alu instid0(TRANS32_DEP_1) | instskip(NEXT) | instid1(VALU_DEP_1)
	v_mul_f32_e32 v3, 0x4f7ffffe, v3
	v_cvt_u32_f32_e32 v3, v3
	s_delay_alu instid0(VALU_DEP_1) | instskip(NEXT) | instid1(VALU_DEP_1)
	v_mul_lo_u32 v17, s2, v3
	v_mul_hi_u32 v17, v3, v17
	s_delay_alu instid0(VALU_DEP_1) | instskip(NEXT) | instid1(VALU_DEP_1)
	v_add_nc_u32_e32 v3, v3, v17
	v_mul_hi_u32 v3, v26, v3
	s_delay_alu instid0(VALU_DEP_1) | instskip(NEXT) | instid1(VALU_DEP_1)
	v_mul_lo_u32 v17, v3, s30
	v_dual_add_nc_u32 v19, 1, v3 :: v_dual_sub_nc_u32 v17, v26, v17
	s_delay_alu instid0(VALU_DEP_1) | instskip(SKIP_1) | instid1(VALU_DEP_2)
	v_subrev_nc_u32_e32 v23, s30, v17
	v_cmp_le_u32_e32 vcc_lo, s30, v17
	v_cndmask_b32_e32 v17, v17, v23, vcc_lo
	s_delay_alu instid0(VALU_DEP_4) | instskip(NEXT) | instid1(VALU_DEP_2)
	v_cndmask_b32_e32 v3, v3, v19, vcc_lo
	v_cmp_le_u32_e32 vcc_lo, s30, v17
	s_delay_alu instid0(VALU_DEP_2) | instskip(NEXT) | instid1(VALU_DEP_1)
	v_add_nc_u32_e32 v19, 1, v3
	v_cndmask_b32_e32 v28, v3, v19, vcc_lo
.LBB63_43:                              ;   in Loop: Header=BB63_3 Depth=1
	s_or_b32 exec_lo, exec_lo, s0
	s_delay_alu instid0(VALU_DEP_1) | instskip(SKIP_4) | instid1(VALU_DEP_2)
	v_mul_u64_e32 v[30:31], s[30:31], v[28:29]
	v_mul_u64_e32 v[28:29], s[8:9], v[28:29]
	v_bfe_u32 v3, v10, 16, 1
	v_cmp_o_f32_e32 vcc_lo, v10, v10
	s_mov_b32 s0, exec_lo
	v_add3_u32 v3, v10, v3, 0x7fff
	s_delay_alu instid0(VALU_DEP_1) | instskip(NEXT) | instid1(VALU_DEP_1)
	v_dual_lshrrev_b32 v17, 16, v3 :: v_dual_bitop2_b32 v3, s37, v21 bitop3:0x54
	v_cndmask_b32_e32 v17, 0x7fc0, v17, vcc_lo
	v_sub_nc_u64_e32 v[30:31], v[6:7], v[30:31]
	v_lshl_add_u64 v[28:29], v[28:29], 1, s[28:29]
	s_delay_alu instid0(VALU_DEP_2) | instskip(NEXT) | instid1(VALU_DEP_1)
	v_add_nc_u64_e32 v[30:31], v[0:1], v[30:31]
	v_mul_u64_e32 v[30:31], s[10:11], v[30:31]
	s_delay_alu instid0(VALU_DEP_1)
	v_lshl_add_u64 v[28:29], v[30:31], 1, v[28:29]
	global_store_b16 v[28:29], v17, off
                                        ; implicit-def: $vgpr28_vgpr29
	s_wait_xcnt 0x0
	v_cmpx_ne_u64_e32 0, v[2:3]
	s_xor_b32 s33, exec_lo, s0
	s_cbranch_execz .LBB63_45
; %bb.44:                               ;   in Loop: Header=BB63_3 Depth=1
	s_ashr_i32 s64, s37, 31
	v_dual_mov_b32 v17, v16 :: v_dual_mov_b32 v29, v2
	s_mov_b32 s65, s64
	v_mov_b32_e32 v35, v2
	s_add_nc_u64 s[66:67], s[36:37], s[64:65]
	s_delay_alu instid0(VALU_DEP_2)
	v_add_nc_u64_e32 v[20:21], v[20:21], v[16:17]
	s_xor_b64 s[66:67], s[66:67], s[64:65]
	v_mov_b32_e32 v39, v2
	s_cvt_f32_u32 s0, s66
	s_cvt_f32_u32 s2, s67
	s_sub_nc_u64 s[70:71], 0, s[66:67]
	s_delay_alu instid0(VALU_DEP_2) | instskip(NEXT) | instid1(SALU_CYCLE_1)
	v_xor_b32_e32 v28, v20, v16
	s_fmamk_f32 s0, s2, 0x4f800000, s0
	v_xor_b32_e32 v34, v21, v16
	v_xor_b32_e32 v16, s64, v16
	s_delay_alu instid0(SALU_CYCLE_1) | instskip(NEXT) | instid1(TRANS32_DEP_1)
	v_s_rcp_f32 s0, s0
	s_mul_f32 s0, s0, 0x5f7ffffc
	s_delay_alu instid0(SALU_CYCLE_3) | instskip(NEXT) | instid1(SALU_CYCLE_3)
	s_mul_f32 s2, s0, 0x2f800000
	s_trunc_f32 s2, s2
	s_delay_alu instid0(SALU_CYCLE_3) | instskip(SKIP_1) | instid1(SALU_CYCLE_2)
	s_fmamk_f32 s0, s2, 0xcf800000, s0
	s_cvt_u32_f32 s69, s2
	s_cvt_u32_f32 s68, s0
	s_delay_alu instid0(SALU_CYCLE_3) | instskip(NEXT) | instid1(SALU_CYCLE_1)
	s_mul_u64 s[72:73], s[70:71], s[68:69]
	s_mul_hi_u32 s75, s68, s73
	s_mul_i32 s74, s68, s73
	s_mul_hi_u32 s2, s68, s72
	s_mul_i32 s63, s69, s72
	s_add_nc_u64 s[74:75], s[2:3], s[74:75]
	s_mul_hi_u32 s0, s69, s72
	s_mul_hi_u32 s65, s69, s73
	s_add_co_u32 s2, s74, s63
	s_add_co_ci_u32 s2, s75, s0
	s_mul_i32 s72, s69, s73
	s_add_co_ci_u32 s73, s65, 0
	s_delay_alu instid0(SALU_CYCLE_1) | instskip(NEXT) | instid1(SALU_CYCLE_1)
	s_add_nc_u64 s[72:73], s[2:3], s[72:73]
	s_add_co_u32 s68, s68, s72
	s_cselect_b32 s0, -1, 0
	s_delay_alu instid0(SALU_CYCLE_1) | instskip(SKIP_1) | instid1(SALU_CYCLE_1)
	s_cmp_lg_u32 s0, 0
	s_add_co_ci_u32 s69, s69, s73
	s_mul_u64 s[70:71], s[70:71], s[68:69]
	s_delay_alu instid0(SALU_CYCLE_1)
	s_mul_hi_u32 s73, s68, s71
	s_mul_i32 s72, s68, s71
	s_mul_hi_u32 s2, s68, s70
	s_mul_i32 s63, s69, s70
	s_add_nc_u64 s[72:73], s[2:3], s[72:73]
	s_mul_hi_u32 s0, s69, s70
	s_mul_hi_u32 s65, s69, s71
	s_add_co_u32 s2, s72, s63
	s_add_co_ci_u32 s2, s73, s0
	s_mul_i32 s70, s69, s71
	s_add_co_ci_u32 s71, s65, 0
	s_delay_alu instid0(SALU_CYCLE_1) | instskip(NEXT) | instid1(SALU_CYCLE_1)
	s_add_nc_u64 s[70:71], s[2:3], s[70:71]
	s_add_co_u32 s0, s68, s70
	s_cselect_b32 s2, -1, 0
	v_nop
	v_mul_hi_u32 v38, v28, s0
	s_cmp_lg_u32 s2, 0
	s_add_co_ci_u32 s2, s69, s71
	s_and_b64 s[68:69], s[0:1], s[56:57]
	v_mul_u64_e32 v[30:31], s[2:3], v[28:29]
	v_mul_u64_e32 v[20:21], s[68:69], v[34:35]
	;; [unrolled: 1-line block ×3, first 2 shown]
	s_delay_alu instid0(VALU_DEP_3) | instskip(NEXT) | instid1(VALU_DEP_1)
	v_add_nc_u64_e32 v[30:31], v[38:39], v[30:31]
	v_add_co_u32 v3, vcc_lo, v30, v20
	s_delay_alu instid0(VALU_DEP_2) | instskip(NEXT) | instid1(VALU_DEP_4)
	v_add_co_ci_u32_e32 v38, vcc_lo, v31, v21, vcc_lo
	v_add_co_ci_u32_e32 v37, vcc_lo, 0, v37, vcc_lo
	s_delay_alu instid0(VALU_DEP_1) | instskip(NEXT) | instid1(VALU_DEP_1)
	v_add_nc_u64_e32 v[20:21], v[38:39], v[36:37]
	v_mul_u64_e32 v[30:31], s[66:67], v[20:21]
	s_delay_alu instid0(VALU_DEP_1) | instskip(NEXT) | instid1(VALU_DEP_2)
	v_sub_nc_u32_e32 v3, v34, v31
	v_sub_co_u32 v17, vcc_lo, v28, v30
	s_delay_alu instid0(VALU_DEP_1) | instskip(NEXT) | instid1(VALU_DEP_3)
	v_sub_co_ci_u32_e64 v23, null, v34, v31, vcc_lo
	v_subrev_co_ci_u32_e64 v3, null, s67, v3, vcc_lo
	s_delay_alu instid0(VALU_DEP_3) | instskip(SKIP_1) | instid1(VALU_DEP_3)
	v_sub_co_u32 v19, s0, v17, s66
	v_add_nc_u64_e32 v[30:31], 1, v[20:21]
	v_subrev_co_ci_u32_e64 v3, null, 0, v3, s0
	s_delay_alu instid0(VALU_DEP_3) | instskip(SKIP_1) | instid1(VALU_DEP_3)
	v_cmp_le_u32_e32 vcc_lo, s66, v19
	v_cndmask_b32_e64 v19, 0, -1, vcc_lo
	v_cmp_le_u32_e32 vcc_lo, s67, v3
	v_cndmask_b32_e64 v28, 0, -1, vcc_lo
	;; [unrolled: 2-line block ×4, first 2 shown]
	v_cmp_eq_u32_e32 vcc_lo, s67, v3
	v_cndmask_b32_e32 v3, v28, v19, vcc_lo
	v_cmp_eq_u32_e32 vcc_lo, s67, v23
	v_add_nc_u64_e32 v[28:29], 2, v[20:21]
	v_cndmask_b32_e32 v17, v34, v17, vcc_lo
	s_delay_alu instid0(VALU_DEP_4) | instskip(NEXT) | instid1(VALU_DEP_2)
	v_cmp_ne_u32_e32 vcc_lo, 0, v3
	v_cmp_ne_u32_e64 s0, 0, v17
	s_delay_alu instid0(VALU_DEP_4) | instskip(NEXT) | instid1(VALU_DEP_1)
	v_dual_cndmask_b32 v3, v31, v29, vcc_lo :: v_dual_cndmask_b32 v17, v30, v28, vcc_lo
	v_dual_cndmask_b32 v3, v21, v3, s0 :: v_dual_cndmask_b32 v19, v20, v17, s0
	s_delay_alu instid0(VALU_DEP_1) | instskip(NEXT) | instid1(VALU_DEP_2)
	v_dual_mov_b32 v17, v16 :: v_dual_bitop2_b32 v21, v3, v16 bitop3:0x14
	v_xor_b32_e32 v20, v19, v16
	s_delay_alu instid0(VALU_DEP_1)
	v_sub_nc_u64_e32 v[28:29], v[20:21], v[16:17]
                                        ; implicit-def: $vgpr20_vgpr21
.LBB63_45:                              ;   in Loop: Header=BB63_3 Depth=1
	s_or_saveexec_b32 s0, s33
	v_cvt_f32_u32_e32 v16, s36
	s_xor_b32 exec_lo, exec_lo, s0
	s_cbranch_execz .LBB63_47
; %bb.46:                               ;   in Loop: Header=BB63_3 Depth=1
	s_delay_alu instid0(VALU_DEP_1) | instskip(SKIP_2) | instid1(TRANS32_DEP_1)
	v_rcp_iflag_f32_e32 v3, v16
	s_sub_co_i32 s2, 0, s36
	v_mov_b32_e32 v29, v2
	v_mul_f32_e32 v3, 0x4f7ffffe, v3
	s_delay_alu instid0(VALU_DEP_1) | instskip(NEXT) | instid1(VALU_DEP_1)
	v_cvt_u32_f32_e32 v3, v3
	v_mul_lo_u32 v17, s2, v3
	s_delay_alu instid0(VALU_DEP_1) | instskip(NEXT) | instid1(VALU_DEP_1)
	v_mul_hi_u32 v17, v3, v17
	v_add_nc_u32_e32 v3, v3, v17
	s_delay_alu instid0(VALU_DEP_1) | instskip(NEXT) | instid1(VALU_DEP_1)
	v_mul_hi_u32 v3, v20, v3
	v_mul_lo_u32 v17, v3, s36
	s_delay_alu instid0(VALU_DEP_1) | instskip(NEXT) | instid1(VALU_DEP_1)
	v_sub_nc_u32_e32 v17, v20, v17
	v_subrev_nc_u32_e32 v20, s36, v17
	v_cmp_le_u32_e32 vcc_lo, s36, v17
	s_delay_alu instid0(VALU_DEP_2) | instskip(NEXT) | instid1(VALU_DEP_1)
	v_dual_add_nc_u32 v19, 1, v3 :: v_dual_cndmask_b32 v17, v17, v20, vcc_lo
	v_cndmask_b32_e32 v3, v3, v19, vcc_lo
	s_delay_alu instid0(VALU_DEP_2) | instskip(NEXT) | instid1(VALU_DEP_2)
	v_cmp_le_u32_e32 vcc_lo, s36, v17
	v_add_nc_u32_e32 v19, 1, v3
	s_delay_alu instid0(VALU_DEP_1)
	v_cndmask_b32_e32 v28, v3, v19, vcc_lo
.LBB63_47:                              ;   in Loop: Header=BB63_3 Depth=1
	s_or_b32 exec_lo, exec_lo, s0
	s_delay_alu instid0(VALU_DEP_1) | instskip(SKIP_2) | instid1(VALU_DEP_2)
	v_mul_u64_e32 v[20:21], s[36:37], v[28:29]
	v_or_b32_e32 v3, s37, v25
	s_mov_b32 s0, exec_lo
	v_sub_nc_u64_e32 v[12:13], v[12:13], v[20:21]
	v_mul_u64_e32 v[20:21], s[12:13], v[28:29]
	s_delay_alu instid0(VALU_DEP_2) | instskip(NEXT) | instid1(VALU_DEP_1)
	v_add_nc_u64_e32 v[12:13], v[0:1], v[12:13]
	v_mul_u64_e32 v[12:13], s[14:15], v[12:13]
	s_delay_alu instid0(VALU_DEP_3) | instskip(NEXT) | instid1(VALU_DEP_1)
	v_lshl_add_u64 v[20:21], v[20:21], 1, s[34:35]
	v_lshl_add_u64 v[12:13], v[12:13], 1, v[20:21]
	global_store_b16 v[12:13], v8, off
                                        ; implicit-def: $vgpr12_vgpr13
	s_wait_xcnt 0x0
	v_cmpx_ne_u64_e32 0, v[2:3]
	s_xor_b32 s33, exec_lo, s0
	s_cbranch_execz .LBB63_49
; %bb.48:                               ;   in Loop: Header=BB63_3 Depth=1
	s_ashr_i32 s64, s37, 31
	v_dual_mov_b32 v19, v18 :: v_dual_mov_b32 v21, v2
	s_mov_b32 s65, s64
	v_mov_b32_e32 v29, v2
	s_add_nc_u64 s[66:67], s[36:37], s[64:65]
	s_delay_alu instid0(VALU_DEP_2)
	v_add_nc_u64_e32 v[12:13], v[24:25], v[18:19]
	s_xor_b64 s[66:67], s[66:67], s[64:65]
	v_mov_b32_e32 v35, v2
	s_cvt_f32_u32 s0, s66
	s_cvt_f32_u32 s2, s67
	s_sub_nc_u64 s[70:71], 0, s[66:67]
	s_delay_alu instid0(VALU_DEP_2) | instskip(NEXT) | instid1(SALU_CYCLE_1)
	v_xor_b32_e32 v20, v12, v18
	s_fmamk_f32 s0, s2, 0x4f800000, s0
	v_xor_b32_e32 v28, v13, v18
	v_xor_b32_e32 v18, s64, v18
	s_delay_alu instid0(SALU_CYCLE_1) | instskip(NEXT) | instid1(TRANS32_DEP_1)
	v_s_rcp_f32 s0, s0
	s_mul_f32 s0, s0, 0x5f7ffffc
	s_delay_alu instid0(SALU_CYCLE_3) | instskip(NEXT) | instid1(SALU_CYCLE_3)
	s_mul_f32 s2, s0, 0x2f800000
	s_trunc_f32 s2, s2
	s_delay_alu instid0(SALU_CYCLE_3) | instskip(SKIP_1) | instid1(SALU_CYCLE_2)
	s_fmamk_f32 s0, s2, 0xcf800000, s0
	s_cvt_u32_f32 s69, s2
	s_cvt_u32_f32 s68, s0
	s_delay_alu instid0(SALU_CYCLE_3) | instskip(NEXT) | instid1(SALU_CYCLE_1)
	s_mul_u64 s[72:73], s[70:71], s[68:69]
	s_mul_hi_u32 s75, s68, s73
	s_mul_i32 s74, s68, s73
	s_mul_hi_u32 s2, s68, s72
	s_mul_i32 s63, s69, s72
	s_add_nc_u64 s[74:75], s[2:3], s[74:75]
	s_mul_hi_u32 s0, s69, s72
	s_mul_hi_u32 s65, s69, s73
	s_add_co_u32 s2, s74, s63
	s_add_co_ci_u32 s2, s75, s0
	s_mul_i32 s72, s69, s73
	s_add_co_ci_u32 s73, s65, 0
	s_delay_alu instid0(SALU_CYCLE_1) | instskip(NEXT) | instid1(SALU_CYCLE_1)
	s_add_nc_u64 s[72:73], s[2:3], s[72:73]
	s_add_co_u32 s68, s68, s72
	s_cselect_b32 s0, -1, 0
	s_delay_alu instid0(SALU_CYCLE_1) | instskip(SKIP_1) | instid1(SALU_CYCLE_1)
	s_cmp_lg_u32 s0, 0
	s_add_co_ci_u32 s69, s69, s73
	s_mul_u64 s[70:71], s[70:71], s[68:69]
	s_delay_alu instid0(SALU_CYCLE_1)
	s_mul_hi_u32 s73, s68, s71
	s_mul_i32 s72, s68, s71
	s_mul_hi_u32 s2, s68, s70
	s_mul_i32 s63, s69, s70
	s_add_nc_u64 s[72:73], s[2:3], s[72:73]
	s_mul_hi_u32 s0, s69, s70
	s_mul_hi_u32 s65, s69, s71
	s_add_co_u32 s2, s72, s63
	s_add_co_ci_u32 s2, s73, s0
	s_mul_i32 s70, s69, s71
	s_add_co_ci_u32 s71, s65, 0
	s_delay_alu instid0(SALU_CYCLE_1) | instskip(NEXT) | instid1(SALU_CYCLE_1)
	s_add_nc_u64 s[70:71], s[2:3], s[70:71]
	s_add_co_u32 s0, s68, s70
	s_cselect_b32 s2, -1, 0
	v_nop
	v_mul_hi_u32 v34, v20, s0
	s_cmp_lg_u32 s2, 0
	s_add_co_ci_u32 s2, s69, s71
	s_and_b64 s[68:69], s[0:1], s[56:57]
	v_mul_u64_e32 v[24:25], s[2:3], v[20:21]
	v_mul_u64_e32 v[12:13], s[68:69], v[28:29]
	;; [unrolled: 1-line block ×3, first 2 shown]
	s_delay_alu instid0(VALU_DEP_3) | instskip(NEXT) | instid1(VALU_DEP_1)
	v_add_nc_u64_e32 v[24:25], v[34:35], v[24:25]
	v_add_co_u32 v3, vcc_lo, v24, v12
	s_delay_alu instid0(VALU_DEP_2) | instskip(NEXT) | instid1(VALU_DEP_4)
	v_add_co_ci_u32_e32 v34, vcc_lo, v25, v13, vcc_lo
	v_add_co_ci_u32_e32 v31, vcc_lo, 0, v31, vcc_lo
	s_delay_alu instid0(VALU_DEP_1) | instskip(NEXT) | instid1(VALU_DEP_1)
	v_add_nc_u64_e32 v[12:13], v[34:35], v[30:31]
	v_mul_u64_e32 v[24:25], s[66:67], v[12:13]
	s_delay_alu instid0(VALU_DEP_1) | instskip(NEXT) | instid1(VALU_DEP_2)
	v_sub_nc_u32_e32 v3, v28, v25
	v_sub_co_u32 v8, vcc_lo, v20, v24
	s_delay_alu instid0(VALU_DEP_1) | instskip(NEXT) | instid1(VALU_DEP_3)
	v_sub_co_ci_u32_e64 v19, null, v28, v25, vcc_lo
	v_subrev_co_ci_u32_e64 v3, null, s67, v3, vcc_lo
	s_delay_alu instid0(VALU_DEP_3) | instskip(SKIP_1) | instid1(VALU_DEP_3)
	v_sub_co_u32 v17, s0, v8, s66
	v_add_nc_u64_e32 v[24:25], 1, v[12:13]
	v_subrev_co_ci_u32_e64 v3, null, 0, v3, s0
	s_delay_alu instid0(VALU_DEP_3) | instskip(SKIP_1) | instid1(VALU_DEP_3)
	v_cmp_le_u32_e32 vcc_lo, s66, v17
	v_cndmask_b32_e64 v17, 0, -1, vcc_lo
	v_cmp_le_u32_e32 vcc_lo, s67, v3
	v_cndmask_b32_e64 v20, 0, -1, vcc_lo
	v_cmp_le_u32_e32 vcc_lo, s66, v8
	v_cndmask_b32_e64 v8, 0, -1, vcc_lo
	v_cmp_le_u32_e32 vcc_lo, s67, v19
	v_cndmask_b32_e64 v23, 0, -1, vcc_lo
	v_cmp_eq_u32_e32 vcc_lo, s67, v3
	v_cndmask_b32_e32 v3, v20, v17, vcc_lo
	v_cmp_eq_u32_e32 vcc_lo, s67, v19
	v_add_nc_u64_e32 v[20:21], 2, v[12:13]
	v_cndmask_b32_e32 v8, v23, v8, vcc_lo
	s_delay_alu instid0(VALU_DEP_4) | instskip(NEXT) | instid1(VALU_DEP_2)
	v_cmp_ne_u32_e32 vcc_lo, 0, v3
	v_cmp_ne_u32_e64 s0, 0, v8
	s_delay_alu instid0(VALU_DEP_4) | instskip(NEXT) | instid1(VALU_DEP_1)
	v_dual_cndmask_b32 v3, v25, v21 :: v_dual_cndmask_b32 v8, v24, v20
                                        ; implicit-def: $vgpr24_vgpr25
	v_dual_cndmask_b32 v3, v13, v3, s0 :: v_dual_cndmask_b32 v8, v12, v8, s0
	s_delay_alu instid0(VALU_DEP_1) | instskip(NEXT) | instid1(VALU_DEP_2)
	v_dual_mov_b32 v19, v18 :: v_dual_bitop2_b32 v13, v3, v18 bitop3:0x14
	v_xor_b32_e32 v12, v8, v18
	s_delay_alu instid0(VALU_DEP_1)
	v_sub_nc_u64_e32 v[12:13], v[12:13], v[18:19]
.LBB63_49:                              ;   in Loop: Header=BB63_3 Depth=1
	s_and_not1_saveexec_b32 s0, s33
	s_cbranch_execz .LBB63_51
; %bb.50:                               ;   in Loop: Header=BB63_3 Depth=1
	v_rcp_iflag_f32_e32 v3, v16
	s_sub_co_i32 s2, 0, s36
	v_nop
	s_delay_alu instid0(TRANS32_DEP_1) | instskip(NEXT) | instid1(VALU_DEP_1)
	v_mul_f32_e32 v3, 0x4f7ffffe, v3
	v_cvt_u32_f32_e32 v3, v3
	s_delay_alu instid0(VALU_DEP_1) | instskip(NEXT) | instid1(VALU_DEP_1)
	v_mul_lo_u32 v8, s2, v3
	v_mul_hi_u32 v8, v3, v8
	s_delay_alu instid0(VALU_DEP_1) | instskip(NEXT) | instid1(VALU_DEP_1)
	v_add_nc_u32_e32 v3, v3, v8
	v_mul_hi_u32 v3, v24, v3
	s_delay_alu instid0(VALU_DEP_1) | instskip(NEXT) | instid1(VALU_DEP_1)
	v_mul_lo_u32 v8, v3, s36
	v_dual_add_nc_u32 v12, 1, v3 :: v_dual_sub_nc_u32 v8, v24, v8
	s_delay_alu instid0(VALU_DEP_1) | instskip(SKIP_1) | instid1(VALU_DEP_2)
	v_subrev_nc_u32_e32 v13, s36, v8
	v_cmp_le_u32_e32 vcc_lo, s36, v8
	v_dual_cndmask_b32 v8, v8, v13 :: v_dual_mov_b32 v13, v2
	s_delay_alu instid0(VALU_DEP_4) | instskip(NEXT) | instid1(VALU_DEP_2)
	v_cndmask_b32_e32 v3, v3, v12, vcc_lo
	v_cmp_le_u32_e32 vcc_lo, s36, v8
	s_delay_alu instid0(VALU_DEP_2) | instskip(NEXT) | instid1(VALU_DEP_1)
	v_add_nc_u32_e32 v12, 1, v3
	v_cndmask_b32_e32 v12, v3, v12, vcc_lo
.LBB63_51:                              ;   in Loop: Header=BB63_3 Depth=1
	s_or_b32 exec_lo, exec_lo, s0
	s_delay_alu instid0(VALU_DEP_1) | instskip(SKIP_3) | instid1(VALU_DEP_3)
	v_mul_u64_e32 v[18:19], s[36:37], v[12:13]
	v_mul_u64_e32 v[12:13], s[12:13], v[12:13]
	v_or_b32_e32 v3, s37, v27
	s_mov_b32 s0, exec_lo
	v_sub_nc_u64_e32 v[14:15], v[14:15], v[18:19]
	s_delay_alu instid0(VALU_DEP_3) | instskip(NEXT) | instid1(VALU_DEP_2)
	v_lshl_add_u64 v[12:13], v[12:13], 1, s[34:35]
	v_add_nc_u64_e32 v[14:15], v[0:1], v[14:15]
	s_delay_alu instid0(VALU_DEP_1) | instskip(NEXT) | instid1(VALU_DEP_1)
	v_mul_u64_e32 v[14:15], s[14:15], v[14:15]
	v_lshl_add_u64 v[12:13], v[14:15], 1, v[12:13]
	global_store_b16 v[12:13], v11, off
                                        ; implicit-def: $vgpr12_vgpr13
	s_wait_xcnt 0x0
	v_cmpx_ne_u64_e32 0, v[2:3]
	s_xor_b32 s33, exec_lo, s0
	s_cbranch_execz .LBB63_53
; %bb.52:                               ;   in Loop: Header=BB63_3 Depth=1
	s_ashr_i32 s64, s37, 31
	v_dual_mov_b32 v23, v22 :: v_dual_mov_b32 v15, v2
	s_mov_b32 s65, s64
	v_mov_b32_e32 v19, v2
	s_add_nc_u64 s[66:67], s[36:37], s[64:65]
	s_delay_alu instid0(VALU_DEP_2)
	v_add_nc_u64_e32 v[12:13], v[26:27], v[22:23]
	s_xor_b64 s[66:67], s[66:67], s[64:65]
	v_mov_b32_e32 v25, v2
	s_cvt_f32_u32 s0, s66
	s_cvt_f32_u32 s2, s67
	s_sub_nc_u64 s[70:71], 0, s[66:67]
                                        ; implicit-def: $vgpr26_vgpr27
	s_delay_alu instid0(VALU_DEP_2) | instskip(NEXT) | instid1(SALU_CYCLE_1)
	v_xor_b32_e32 v14, v12, v22
	s_fmamk_f32 s0, s2, 0x4f800000, s0
	v_xor_b32_e32 v18, v13, v22
	s_delay_alu instid0(SALU_CYCLE_2) | instskip(NEXT) | instid1(TRANS32_DEP_1)
	v_s_rcp_f32 s0, s0
	s_mul_f32 s0, s0, 0x5f7ffffc
	s_delay_alu instid0(SALU_CYCLE_3) | instskip(NEXT) | instid1(SALU_CYCLE_3)
	s_mul_f32 s2, s0, 0x2f800000
	s_trunc_f32 s2, s2
	s_delay_alu instid0(SALU_CYCLE_3) | instskip(SKIP_1) | instid1(SALU_CYCLE_2)
	s_fmamk_f32 s0, s2, 0xcf800000, s0
	s_cvt_u32_f32 s69, s2
	s_cvt_u32_f32 s68, s0
	s_delay_alu instid0(SALU_CYCLE_3) | instskip(NEXT) | instid1(SALU_CYCLE_1)
	s_mul_u64 s[72:73], s[70:71], s[68:69]
	s_mul_hi_u32 s75, s68, s73
	s_mul_i32 s74, s68, s73
	s_mul_hi_u32 s2, s68, s72
	s_mul_i32 s63, s69, s72
	s_add_nc_u64 s[74:75], s[2:3], s[74:75]
	s_mul_hi_u32 s0, s69, s72
	s_mul_hi_u32 s65, s69, s73
	s_add_co_u32 s2, s74, s63
	s_add_co_ci_u32 s2, s75, s0
	s_mul_i32 s72, s69, s73
	s_add_co_ci_u32 s73, s65, 0
	s_delay_alu instid0(SALU_CYCLE_1) | instskip(NEXT) | instid1(SALU_CYCLE_1)
	s_add_nc_u64 s[72:73], s[2:3], s[72:73]
	s_add_co_u32 s68, s68, s72
	s_cselect_b32 s0, -1, 0
	s_delay_alu instid0(SALU_CYCLE_1) | instskip(SKIP_1) | instid1(SALU_CYCLE_1)
	s_cmp_lg_u32 s0, 0
	s_add_co_ci_u32 s69, s69, s73
	s_mul_u64 s[70:71], s[70:71], s[68:69]
	s_delay_alu instid0(SALU_CYCLE_1)
	s_mul_hi_u32 s73, s68, s71
	s_mul_i32 s72, s68, s71
	s_mul_hi_u32 s2, s68, s70
	s_mul_i32 s63, s69, s70
	s_add_nc_u64 s[72:73], s[2:3], s[72:73]
	s_mul_hi_u32 s0, s69, s70
	s_mul_hi_u32 s65, s69, s71
	s_add_co_u32 s2, s72, s63
	s_add_co_ci_u32 s2, s73, s0
	s_mul_i32 s70, s69, s71
	s_add_co_ci_u32 s71, s65, 0
	s_delay_alu instid0(SALU_CYCLE_1) | instskip(NEXT) | instid1(SALU_CYCLE_1)
	s_add_nc_u64 s[70:71], s[2:3], s[70:71]
	s_add_co_u32 s0, s68, s70
	s_cselect_b32 s2, -1, 0
	v_nop
	v_mul_hi_u32 v24, v14, s0
	s_cmp_lg_u32 s2, 0
	s_add_co_ci_u32 s2, s69, s71
	s_and_b64 s[68:69], s[0:1], s[56:57]
	v_mul_u64_e32 v[16:17], s[2:3], v[14:15]
	v_mul_u64_e32 v[12:13], s[68:69], v[18:19]
	;; [unrolled: 1-line block ×3, first 2 shown]
	s_delay_alu instid0(VALU_DEP_3) | instskip(NEXT) | instid1(VALU_DEP_1)
	v_add_nc_u64_e32 v[16:17], v[24:25], v[16:17]
	v_add_co_u32 v3, vcc_lo, v16, v12
	s_delay_alu instid0(VALU_DEP_2) | instskip(NEXT) | instid1(VALU_DEP_4)
	v_add_co_ci_u32_e32 v24, vcc_lo, v17, v13, vcc_lo
	v_add_co_ci_u32_e32 v21, vcc_lo, 0, v21, vcc_lo
	s_delay_alu instid0(VALU_DEP_1) | instskip(NEXT) | instid1(VALU_DEP_1)
	v_add_nc_u64_e32 v[12:13], v[24:25], v[20:21]
	v_mul_u64_e32 v[16:17], s[66:67], v[12:13]
	s_delay_alu instid0(VALU_DEP_1) | instskip(NEXT) | instid1(VALU_DEP_2)
	v_sub_nc_u32_e32 v3, v18, v17
	v_sub_co_u32 v8, vcc_lo, v14, v16
	s_delay_alu instid0(VALU_DEP_1) | instskip(NEXT) | instid1(VALU_DEP_3)
	v_sub_co_ci_u32_e64 v18, null, v18, v17, vcc_lo
	v_subrev_co_ci_u32_e64 v3, null, s67, v3, vcc_lo
	s_delay_alu instid0(VALU_DEP_3) | instskip(SKIP_1) | instid1(VALU_DEP_3)
	v_sub_co_u32 v11, s0, v8, s66
	v_add_nc_u64_e32 v[16:17], 1, v[12:13]
	v_subrev_co_ci_u32_e64 v3, null, 0, v3, s0
	s_delay_alu instid0(VALU_DEP_3) | instskip(SKIP_1) | instid1(VALU_DEP_3)
	v_cmp_le_u32_e32 vcc_lo, s66, v11
	v_cndmask_b32_e64 v11, 0, -1, vcc_lo
	v_cmp_le_u32_e32 vcc_lo, s67, v3
	v_cndmask_b32_e64 v14, 0, -1, vcc_lo
	;; [unrolled: 2-line block ×4, first 2 shown]
	v_cmp_eq_u32_e32 vcc_lo, s67, v3
	v_cndmask_b32_e32 v3, v14, v11, vcc_lo
	v_cmp_eq_u32_e32 vcc_lo, s67, v18
	v_add_nc_u64_e32 v[14:15], 2, v[12:13]
	v_cndmask_b32_e32 v8, v19, v8, vcc_lo
	s_delay_alu instid0(VALU_DEP_4) | instskip(NEXT) | instid1(VALU_DEP_2)
	v_cmp_ne_u32_e32 vcc_lo, 0, v3
	v_cmp_ne_u32_e64 s0, 0, v8
	s_delay_alu instid0(VALU_DEP_4) | instskip(SKIP_1) | instid1(VALU_DEP_2)
	v_dual_cndmask_b32 v3, v17, v15 :: v_dual_cndmask_b32 v8, v16, v14
	v_xor_b32_e32 v14, s64, v22
                                        ; implicit-def: $vgpr16
	v_dual_cndmask_b32 v3, v13, v3, s0 :: v_dual_cndmask_b32 v8, v12, v8, s0
	s_delay_alu instid0(VALU_DEP_1) | instskip(NEXT) | instid1(VALU_DEP_2)
	v_dual_mov_b32 v15, v14 :: v_dual_bitop2_b32 v13, v3, v14 bitop3:0x14
	v_xor_b32_e32 v12, v8, v14
	s_delay_alu instid0(VALU_DEP_1)
	v_sub_nc_u64_e32 v[12:13], v[12:13], v[14:15]
.LBB63_53:                              ;   in Loop: Header=BB63_3 Depth=1
	s_and_not1_saveexec_b32 s0, s33
	s_cbranch_execz .LBB63_55
; %bb.54:                               ;   in Loop: Header=BB63_3 Depth=1
	v_rcp_iflag_f32_e32 v3, v16
	s_sub_co_i32 s2, 0, s36
	v_mov_b32_e32 v13, v2
	s_delay_alu instid0(TRANS32_DEP_1) | instskip(NEXT) | instid1(VALU_DEP_1)
	v_mul_f32_e32 v3, 0x4f7ffffe, v3
	v_cvt_u32_f32_e32 v3, v3
	s_delay_alu instid0(VALU_DEP_1) | instskip(NEXT) | instid1(VALU_DEP_1)
	v_mul_lo_u32 v8, s2, v3
	v_mul_hi_u32 v8, v3, v8
	s_delay_alu instid0(VALU_DEP_1) | instskip(NEXT) | instid1(VALU_DEP_1)
	v_add_nc_u32_e32 v3, v3, v8
	v_mul_hi_u32 v3, v26, v3
	s_delay_alu instid0(VALU_DEP_1) | instskip(NEXT) | instid1(VALU_DEP_1)
	v_mul_lo_u32 v8, v3, s36
	v_sub_nc_u32_e32 v8, v26, v8
	s_delay_alu instid0(VALU_DEP_1) | instskip(SKIP_1) | instid1(VALU_DEP_2)
	v_subrev_nc_u32_e32 v12, s36, v8
	v_cmp_le_u32_e32 vcc_lo, s36, v8
	v_dual_cndmask_b32 v8, v8, v12 :: v_dual_add_nc_u32 v11, 1, v3
	s_delay_alu instid0(VALU_DEP_1) | instskip(NEXT) | instid1(VALU_DEP_2)
	v_cndmask_b32_e32 v3, v3, v11, vcc_lo
	v_cmp_le_u32_e32 vcc_lo, s36, v8
	s_delay_alu instid0(VALU_DEP_2) | instskip(NEXT) | instid1(VALU_DEP_1)
	v_add_nc_u32_e32 v11, 1, v3
	v_cndmask_b32_e32 v12, v3, v11, vcc_lo
.LBB63_55:                              ;   in Loop: Header=BB63_3 Depth=1
	s_or_b32 exec_lo, exec_lo, s0
	s_delay_alu instid0(VALU_DEP_1) | instskip(SKIP_3) | instid1(VALU_DEP_1)
	v_mul_u64_e32 v[14:15], s[36:37], v[12:13]
	v_mul_u64_e32 v[12:13], s[12:13], v[12:13]
	v_mul_f32_e32 v5, v10, v5
	s_mov_b32 s0, exec_lo
	v_bfe_u32 v3, v5, 16, 1
	s_delay_alu instid0(VALU_DEP_1) | instskip(NEXT) | instid1(VALU_DEP_1)
	v_add3_u32 v3, v5, v3, 0x7fff
	v_lshrrev_b32_e32 v8, 16, v3
	v_cmp_o_f32_e32 vcc_lo, v5, v5
	v_or_b32_e32 v3, s45, v1
	s_delay_alu instid0(VALU_DEP_3) | instskip(SKIP_2) | instid1(VALU_DEP_2)
	v_cndmask_b32_e32 v5, 0x7fc0, v8, vcc_lo
	v_sub_nc_u64_e32 v[6:7], v[6:7], v[14:15]
	v_lshl_add_u64 v[10:11], v[12:13], 1, s[34:35]
	v_add_nc_u64_e32 v[6:7], v[0:1], v[6:7]
	s_delay_alu instid0(VALU_DEP_1) | instskip(NEXT) | instid1(VALU_DEP_1)
	v_mul_u64_e32 v[6:7], s[14:15], v[6:7]
	v_lshl_add_u64 v[6:7], v[6:7], 1, v[10:11]
	global_store_b16 v[6:7], v5, off
                                        ; implicit-def: $vgpr6_vgpr7
	s_wait_xcnt 0x0
	v_cmpx_ne_u64_e32 0, v[2:3]
	s_xor_b32 s33, exec_lo, s0
	s_cbranch_execz .LBB63_57
; %bb.56:                               ;   in Loop: Header=BB63_3 Depth=1
	s_ashr_i32 s64, s45, 31
	v_dual_mov_b32 v5, v4 :: v_dual_mov_b32 v11, v2
	s_mov_b32 s65, s64
	v_mov_b32_e32 v19, v2
	s_add_nc_u64 s[66:67], s[44:45], s[64:65]
	s_delay_alu instid0(VALU_DEP_2)
	v_add_nc_u64_e32 v[6:7], v[0:1], v[4:5]
	s_xor_b64 s[66:67], s[66:67], s[64:65]
	v_mov_b32_e32 v15, v2
	s_cvt_f32_u32 s0, s66
	s_cvt_f32_u32 s2, s67
	s_sub_nc_u64 s[70:71], 0, s[66:67]
	s_delay_alu instid0(VALU_DEP_2) | instskip(NEXT) | instid1(SALU_CYCLE_1)
	v_xor_b32_e32 v10, v6, v4
	s_fmamk_f32 s0, s2, 0x4f800000, s0
	v_xor_b32_e32 v14, v7, v4
	s_delay_alu instid0(SALU_CYCLE_2) | instskip(NEXT) | instid1(TRANS32_DEP_1)
	v_s_rcp_f32 s0, s0
	s_mul_f32 s0, s0, 0x5f7ffffc
	s_delay_alu instid0(SALU_CYCLE_3) | instskip(NEXT) | instid1(SALU_CYCLE_3)
	s_mul_f32 s2, s0, 0x2f800000
	s_trunc_f32 s2, s2
	s_delay_alu instid0(SALU_CYCLE_3) | instskip(SKIP_1) | instid1(SALU_CYCLE_2)
	s_fmamk_f32 s0, s2, 0xcf800000, s0
	s_cvt_u32_f32 s69, s2
	s_cvt_u32_f32 s68, s0
	s_delay_alu instid0(SALU_CYCLE_3) | instskip(NEXT) | instid1(SALU_CYCLE_1)
	s_mul_u64 s[72:73], s[70:71], s[68:69]
	s_mul_hi_u32 s75, s68, s73
	s_mul_i32 s74, s68, s73
	s_mul_hi_u32 s2, s68, s72
	s_mul_i32 s63, s69, s72
	s_add_nc_u64 s[74:75], s[2:3], s[74:75]
	s_mul_hi_u32 s0, s69, s72
	s_mul_hi_u32 s65, s69, s73
	s_add_co_u32 s2, s74, s63
	s_add_co_ci_u32 s2, s75, s0
	s_mul_i32 s72, s69, s73
	s_add_co_ci_u32 s73, s65, 0
	s_delay_alu instid0(SALU_CYCLE_1) | instskip(NEXT) | instid1(SALU_CYCLE_1)
	s_add_nc_u64 s[72:73], s[2:3], s[72:73]
	s_add_co_u32 s68, s68, s72
	s_cselect_b32 s0, -1, 0
	s_delay_alu instid0(SALU_CYCLE_1) | instskip(SKIP_1) | instid1(SALU_CYCLE_1)
	s_cmp_lg_u32 s0, 0
	s_add_co_ci_u32 s69, s69, s73
	s_mul_u64 s[70:71], s[70:71], s[68:69]
	s_delay_alu instid0(SALU_CYCLE_1)
	s_mul_hi_u32 s73, s68, s71
	s_mul_i32 s72, s68, s71
	s_mul_hi_u32 s2, s68, s70
	s_mul_i32 s63, s69, s70
	s_add_nc_u64 s[72:73], s[2:3], s[72:73]
	s_mul_hi_u32 s0, s69, s70
	s_mul_hi_u32 s65, s69, s71
	s_add_co_u32 s2, s72, s63
	s_add_co_ci_u32 s2, s73, s0
	s_mul_i32 s70, s69, s71
	s_add_co_ci_u32 s71, s65, 0
	s_delay_alu instid0(SALU_CYCLE_1) | instskip(NEXT) | instid1(SALU_CYCLE_1)
	s_add_nc_u64 s[70:71], s[2:3], s[70:71]
	s_add_co_u32 s0, s68, s70
	s_cselect_b32 s2, -1, 0
	v_nop
	v_mul_hi_u32 v18, v10, s0
	s_cmp_lg_u32 s2, 0
	s_add_co_ci_u32 s2, s69, s71
	s_and_b64 s[68:69], s[0:1], s[56:57]
	v_mul_u64_e32 v[12:13], s[2:3], v[10:11]
	v_mul_u64_e32 v[6:7], s[68:69], v[14:15]
	;; [unrolled: 1-line block ×3, first 2 shown]
	s_delay_alu instid0(VALU_DEP_3) | instskip(NEXT) | instid1(VALU_DEP_1)
	v_add_nc_u64_e32 v[12:13], v[18:19], v[12:13]
	v_add_co_u32 v3, vcc_lo, v12, v6
	s_delay_alu instid0(VALU_DEP_2) | instskip(NEXT) | instid1(VALU_DEP_4)
	v_add_co_ci_u32_e32 v18, vcc_lo, v13, v7, vcc_lo
	v_add_co_ci_u32_e32 v17, vcc_lo, 0, v17, vcc_lo
	s_delay_alu instid0(VALU_DEP_1) | instskip(SKIP_1) | instid1(VALU_DEP_2)
	v_add_nc_u64_e32 v[6:7], v[18:19], v[16:17]
	v_xor_b32_e32 v4, s64, v4
	v_mul_u64_e32 v[12:13], s[66:67], v[6:7]
	s_delay_alu instid0(VALU_DEP_1) | instskip(NEXT) | instid1(VALU_DEP_2)
	v_sub_nc_u32_e32 v3, v14, v13
	v_sub_co_u32 v5, vcc_lo, v10, v12
	s_delay_alu instid0(VALU_DEP_1) | instskip(NEXT) | instid1(VALU_DEP_3)
	v_sub_co_ci_u32_e64 v14, null, v14, v13, vcc_lo
	v_subrev_co_ci_u32_e64 v3, null, s67, v3, vcc_lo
	s_delay_alu instid0(VALU_DEP_3) | instskip(SKIP_1) | instid1(VALU_DEP_3)
	v_sub_co_u32 v8, s0, v5, s66
	v_add_nc_u64_e32 v[12:13], 1, v[6:7]
	v_subrev_co_ci_u32_e64 v3, null, 0, v3, s0
	s_delay_alu instid0(VALU_DEP_3) | instskip(SKIP_1) | instid1(VALU_DEP_3)
	v_cmp_le_u32_e32 vcc_lo, s66, v8
	v_cndmask_b32_e64 v8, 0, -1, vcc_lo
	v_cmp_le_u32_e32 vcc_lo, s67, v3
	v_cndmask_b32_e64 v10, 0, -1, vcc_lo
	;; [unrolled: 2-line block ×4, first 2 shown]
	v_cmp_eq_u32_e32 vcc_lo, s67, v3
	v_cndmask_b32_e32 v3, v10, v8, vcc_lo
	v_cmp_eq_u32_e32 vcc_lo, s67, v14
	v_add_nc_u64_e32 v[10:11], 2, v[6:7]
	v_cndmask_b32_e32 v5, v15, v5, vcc_lo
	s_delay_alu instid0(VALU_DEP_4) | instskip(NEXT) | instid1(VALU_DEP_2)
	v_cmp_ne_u32_e32 vcc_lo, 0, v3
	v_cmp_ne_u32_e64 s0, 0, v5
	s_delay_alu instid0(VALU_DEP_4) | instskip(NEXT) | instid1(VALU_DEP_1)
	v_dual_cndmask_b32 v3, v13, v11, vcc_lo :: v_dual_cndmask_b32 v5, v12, v10, vcc_lo
	v_dual_cndmask_b32 v3, v7, v3, s0 :: v_dual_cndmask_b32 v6, v6, v5, s0
	s_delay_alu instid0(VALU_DEP_1) | instskip(NEXT) | instid1(VALU_DEP_2)
	v_dual_mov_b32 v5, v4 :: v_dual_bitop2_b32 v7, v3, v4 bitop3:0x14
	v_xor_b32_e32 v6, v6, v4
	s_delay_alu instid0(VALU_DEP_1)
	v_sub_nc_u64_e32 v[6:7], v[6:7], v[4:5]
.LBB63_57:                              ;   in Loop: Header=BB63_3 Depth=1
	s_and_not1_saveexec_b32 s0, s33
	s_cbranch_execz .LBB63_2
; %bb.58:                               ;   in Loop: Header=BB63_3 Depth=1
	v_cvt_f32_u32_e32 v3, s44
	s_sub_co_i32 s2, 0, s44
	v_mov_b32_e32 v7, v2
	s_delay_alu instid0(VALU_DEP_2) | instskip(SKIP_1) | instid1(TRANS32_DEP_1)
	v_rcp_iflag_f32_e32 v3, v3
	v_nop
	v_mul_f32_e32 v3, 0x4f7ffffe, v3
	s_delay_alu instid0(VALU_DEP_1) | instskip(NEXT) | instid1(VALU_DEP_1)
	v_cvt_u32_f32_e32 v3, v3
	v_mul_lo_u32 v4, s2, v3
	s_delay_alu instid0(VALU_DEP_1) | instskip(NEXT) | instid1(VALU_DEP_1)
	v_mul_hi_u32 v4, v3, v4
	v_add_nc_u32_e32 v3, v3, v4
	s_delay_alu instid0(VALU_DEP_1) | instskip(NEXT) | instid1(VALU_DEP_1)
	v_mul_hi_u32 v3, v0, v3
	v_mul_lo_u32 v4, v3, s44
	s_delay_alu instid0(VALU_DEP_1) | instskip(NEXT) | instid1(VALU_DEP_1)
	v_dual_add_nc_u32 v5, 1, v3 :: v_dual_sub_nc_u32 v4, v0, v4
	v_subrev_nc_u32_e32 v6, s44, v4
	v_cmp_le_u32_e32 vcc_lo, s44, v4
	s_delay_alu instid0(VALU_DEP_2) | instskip(NEXT) | instid1(VALU_DEP_1)
	v_dual_cndmask_b32 v4, v4, v6 :: v_dual_cndmask_b32 v3, v3, v5
	v_cmp_le_u32_e32 vcc_lo, s44, v4
	s_delay_alu instid0(VALU_DEP_2) | instskip(NEXT) | instid1(VALU_DEP_1)
	v_add_nc_u32_e32 v5, 1, v3
	v_cndmask_b32_e32 v6, v3, v5, vcc_lo
	s_branch .LBB63_2
.LBB63_59:
	s_endpgm
	.section	.rodata,"a",@progbits
	.p2align	6, 0x0
	.amdhsa_kernel _ZN2at6native12_GLOBAL__N_16kernel17gru_cell_backwardIN3c108BFloat16EflLi2EEEvNS_4cuda6detail10TensorInfoIT_T1_EESB_SB_SB_SB_SA_SA_
		.amdhsa_group_segment_fixed_size 0
		.amdhsa_private_segment_fixed_size 0
		.amdhsa_kernarg_size 2352
		.amdhsa_user_sgpr_count 2
		.amdhsa_user_sgpr_dispatch_ptr 0
		.amdhsa_user_sgpr_queue_ptr 0
		.amdhsa_user_sgpr_kernarg_segment_ptr 1
		.amdhsa_user_sgpr_dispatch_id 0
		.amdhsa_user_sgpr_kernarg_preload_length 0
		.amdhsa_user_sgpr_kernarg_preload_offset 0
		.amdhsa_user_sgpr_private_segment_size 0
		.amdhsa_wavefront_size32 1
		.amdhsa_uses_dynamic_stack 0
		.amdhsa_enable_private_segment 0
		.amdhsa_system_sgpr_workgroup_id_x 1
		.amdhsa_system_sgpr_workgroup_id_y 0
		.amdhsa_system_sgpr_workgroup_id_z 0
		.amdhsa_system_sgpr_workgroup_info 0
		.amdhsa_system_vgpr_workitem_id 0
		.amdhsa_next_free_vgpr 42
		.amdhsa_next_free_sgpr 76
		.amdhsa_named_barrier_count 0
		.amdhsa_reserve_vcc 1
		.amdhsa_float_round_mode_32 0
		.amdhsa_float_round_mode_16_64 0
		.amdhsa_float_denorm_mode_32 3
		.amdhsa_float_denorm_mode_16_64 3
		.amdhsa_fp16_overflow 0
		.amdhsa_memory_ordered 1
		.amdhsa_forward_progress 1
		.amdhsa_inst_pref_size 94
		.amdhsa_round_robin_scheduling 0
		.amdhsa_exception_fp_ieee_invalid_op 0
		.amdhsa_exception_fp_denorm_src 0
		.amdhsa_exception_fp_ieee_div_zero 0
		.amdhsa_exception_fp_ieee_overflow 0
		.amdhsa_exception_fp_ieee_underflow 0
		.amdhsa_exception_fp_ieee_inexact 0
		.amdhsa_exception_int_div_zero 0
	.end_amdhsa_kernel
	.section	.text._ZN2at6native12_GLOBAL__N_16kernel17gru_cell_backwardIN3c108BFloat16EflLi2EEEvNS_4cuda6detail10TensorInfoIT_T1_EESB_SB_SB_SB_SA_SA_,"axG",@progbits,_ZN2at6native12_GLOBAL__N_16kernel17gru_cell_backwardIN3c108BFloat16EflLi2EEEvNS_4cuda6detail10TensorInfoIT_T1_EESB_SB_SB_SB_SA_SA_,comdat
.Lfunc_end63:
	.size	_ZN2at6native12_GLOBAL__N_16kernel17gru_cell_backwardIN3c108BFloat16EflLi2EEEvNS_4cuda6detail10TensorInfoIT_T1_EESB_SB_SB_SB_SA_SA_, .Lfunc_end63-_ZN2at6native12_GLOBAL__N_16kernel17gru_cell_backwardIN3c108BFloat16EflLi2EEEvNS_4cuda6detail10TensorInfoIT_T1_EESB_SB_SB_SB_SA_SA_
                                        ; -- End function
	.set _ZN2at6native12_GLOBAL__N_16kernel17gru_cell_backwardIN3c108BFloat16EflLi2EEEvNS_4cuda6detail10TensorInfoIT_T1_EESB_SB_SB_SB_SA_SA_.num_vgpr, 42
	.set _ZN2at6native12_GLOBAL__N_16kernel17gru_cell_backwardIN3c108BFloat16EflLi2EEEvNS_4cuda6detail10TensorInfoIT_T1_EESB_SB_SB_SB_SA_SA_.num_agpr, 0
	.set _ZN2at6native12_GLOBAL__N_16kernel17gru_cell_backwardIN3c108BFloat16EflLi2EEEvNS_4cuda6detail10TensorInfoIT_T1_EESB_SB_SB_SB_SA_SA_.numbered_sgpr, 76
	.set _ZN2at6native12_GLOBAL__N_16kernel17gru_cell_backwardIN3c108BFloat16EflLi2EEEvNS_4cuda6detail10TensorInfoIT_T1_EESB_SB_SB_SB_SA_SA_.num_named_barrier, 0
	.set _ZN2at6native12_GLOBAL__N_16kernel17gru_cell_backwardIN3c108BFloat16EflLi2EEEvNS_4cuda6detail10TensorInfoIT_T1_EESB_SB_SB_SB_SA_SA_.private_seg_size, 0
	.set _ZN2at6native12_GLOBAL__N_16kernel17gru_cell_backwardIN3c108BFloat16EflLi2EEEvNS_4cuda6detail10TensorInfoIT_T1_EESB_SB_SB_SB_SA_SA_.uses_vcc, 1
	.set _ZN2at6native12_GLOBAL__N_16kernel17gru_cell_backwardIN3c108BFloat16EflLi2EEEvNS_4cuda6detail10TensorInfoIT_T1_EESB_SB_SB_SB_SA_SA_.uses_flat_scratch, 0
	.set _ZN2at6native12_GLOBAL__N_16kernel17gru_cell_backwardIN3c108BFloat16EflLi2EEEvNS_4cuda6detail10TensorInfoIT_T1_EESB_SB_SB_SB_SA_SA_.has_dyn_sized_stack, 0
	.set _ZN2at6native12_GLOBAL__N_16kernel17gru_cell_backwardIN3c108BFloat16EflLi2EEEvNS_4cuda6detail10TensorInfoIT_T1_EESB_SB_SB_SB_SA_SA_.has_recursion, 0
	.set _ZN2at6native12_GLOBAL__N_16kernel17gru_cell_backwardIN3c108BFloat16EflLi2EEEvNS_4cuda6detail10TensorInfoIT_T1_EESB_SB_SB_SB_SA_SA_.has_indirect_call, 0
	.section	.AMDGPU.csdata,"",@progbits
; Kernel info:
; codeLenInByte = 11968
; TotalNumSgprs: 78
; NumVgprs: 42
; ScratchSize: 0
; MemoryBound: 0
; FloatMode: 240
; IeeeMode: 1
; LDSByteSize: 0 bytes/workgroup (compile time only)
; SGPRBlocks: 0
; VGPRBlocks: 2
; NumSGPRsForWavesPerEU: 78
; NumVGPRsForWavesPerEU: 42
; NamedBarCnt: 0
; Occupancy: 16
; WaveLimiterHint : 1
; COMPUTE_PGM_RSRC2:SCRATCH_EN: 0
; COMPUTE_PGM_RSRC2:USER_SGPR: 2
; COMPUTE_PGM_RSRC2:TRAP_HANDLER: 0
; COMPUTE_PGM_RSRC2:TGID_X_EN: 1
; COMPUTE_PGM_RSRC2:TGID_Y_EN: 0
; COMPUTE_PGM_RSRC2:TGID_Z_EN: 0
; COMPUTE_PGM_RSRC2:TIDIG_COMP_CNT: 0
	.section	.AMDGPU.gpr_maximums,"",@progbits
	.set amdgpu.max_num_vgpr, 0
	.set amdgpu.max_num_agpr, 0
	.set amdgpu.max_num_sgpr, 0
	.section	.AMDGPU.csdata,"",@progbits
	.type	__hip_cuid_de80d22f30b26415,@object ; @__hip_cuid_de80d22f30b26415
	.section	.bss,"aw",@nobits
	.globl	__hip_cuid_de80d22f30b26415
__hip_cuid_de80d22f30b26415:
	.byte	0                               ; 0x0
	.size	__hip_cuid_de80d22f30b26415, 1

	.ident	"AMD clang version 22.0.0git (https://github.com/RadeonOpenCompute/llvm-project roc-7.2.4 26084 f58b06dce1f9c15707c5f808fd002e18c2accf7e)"
	.section	".note.GNU-stack","",@progbits
	.addrsig
	.addrsig_sym __hip_cuid_de80d22f30b26415
	.amdgpu_metadata
---
amdhsa.kernels:
  - .args:
      - .offset:         0
        .size:           216
        .value_kind:     by_value
      - .offset:         216
        .size:           216
        .value_kind:     by_value
      - .offset:         432
        .size:           216
        .value_kind:     by_value
      - .offset:         648
        .size:           216
        .value_kind:     by_value
      - .offset:         864
        .size:           216
        .value_kind:     by_value
      - .offset:         1080
        .size:           216
        .value_kind:     by_value
      - .offset:         1296
        .size:           216
        .value_kind:     by_value
      - .offset:         1512
        .size:           216
        .value_kind:     by_value
      - .offset:         1728
        .size:           4
        .value_kind:     by_value
      - .offset:         1732
        .size:           4
        .value_kind:     by_value
      - .offset:         1736
        .size:           4
        .value_kind:     hidden_block_count_x
      - .offset:         1740
        .size:           4
        .value_kind:     hidden_block_count_y
      - .offset:         1744
        .size:           4
        .value_kind:     hidden_block_count_z
      - .offset:         1748
        .size:           2
        .value_kind:     hidden_group_size_x
      - .offset:         1750
        .size:           2
        .value_kind:     hidden_group_size_y
      - .offset:         1752
        .size:           2
        .value_kind:     hidden_group_size_z
      - .offset:         1754
        .size:           2
        .value_kind:     hidden_remainder_x
      - .offset:         1756
        .size:           2
        .value_kind:     hidden_remainder_y
      - .offset:         1758
        .size:           2
        .value_kind:     hidden_remainder_z
      - .offset:         1776
        .size:           8
        .value_kind:     hidden_global_offset_x
      - .offset:         1784
        .size:           8
        .value_kind:     hidden_global_offset_y
      - .offset:         1792
        .size:           8
        .value_kind:     hidden_global_offset_z
      - .offset:         1800
        .size:           2
        .value_kind:     hidden_grid_dims
    .group_segment_fixed_size: 0
    .kernarg_segment_align: 8
    .kernarg_segment_size: 1992
    .language:       OpenCL C
    .language_version:
      - 2
      - 0
    .max_flat_workgroup_size: 512
    .name:           _ZN2at6native12_GLOBAL__N_16kernel17lstm_cell_forwardIddiLi1EEEvNS_4cuda6detail10TensorInfoIT_T1_EES9_S9_S9_S9_S9_S9_S9_S8_S8_
    .private_segment_fixed_size: 0
    .sgpr_count:     47
    .sgpr_spill_count: 0
    .symbol:         _ZN2at6native12_GLOBAL__N_16kernel17lstm_cell_forwardIddiLi1EEEvNS_4cuda6detail10TensorInfoIT_T1_EES9_S9_S9_S9_S9_S9_S9_S8_S8_.kd
    .uniform_work_group_size: 1
    .uses_dynamic_stack: false
    .vgpr_count:     62
    .vgpr_spill_count: 0
    .wavefront_size: 32
  - .args:
      - .offset:         0
        .size:           216
        .value_kind:     by_value
      - .offset:         216
        .size:           216
        .value_kind:     by_value
      - .offset:         432
        .size:           216
        .value_kind:     by_value
      - .offset:         648
        .size:           216
        .value_kind:     by_value
      - .offset:         864
        .size:           216
        .value_kind:     by_value
      - .offset:         1080
        .size:           216
        .value_kind:     by_value
      - .offset:         1296
        .size:           216
        .value_kind:     by_value
      - .offset:         1512
        .size:           216
        .value_kind:     by_value
      - .offset:         1728
        .size:           4
        .value_kind:     by_value
      - .offset:         1732
        .size:           4
        .value_kind:     by_value
      - .offset:         1736
        .size:           4
        .value_kind:     hidden_block_count_x
      - .offset:         1740
        .size:           4
        .value_kind:     hidden_block_count_y
      - .offset:         1744
        .size:           4
        .value_kind:     hidden_block_count_z
      - .offset:         1748
        .size:           2
        .value_kind:     hidden_group_size_x
      - .offset:         1750
        .size:           2
        .value_kind:     hidden_group_size_y
      - .offset:         1752
        .size:           2
        .value_kind:     hidden_group_size_z
      - .offset:         1754
        .size:           2
        .value_kind:     hidden_remainder_x
      - .offset:         1756
        .size:           2
        .value_kind:     hidden_remainder_y
      - .offset:         1758
        .size:           2
        .value_kind:     hidden_remainder_z
      - .offset:         1776
        .size:           8
        .value_kind:     hidden_global_offset_x
      - .offset:         1784
        .size:           8
        .value_kind:     hidden_global_offset_y
      - .offset:         1792
        .size:           8
        .value_kind:     hidden_global_offset_z
      - .offset:         1800
        .size:           2
        .value_kind:     hidden_grid_dims
    .group_segment_fixed_size: 0
    .kernarg_segment_align: 8
    .kernarg_segment_size: 1992
    .language:       OpenCL C
    .language_version:
      - 2
      - 0
    .max_flat_workgroup_size: 512
    .name:           _ZN2at6native12_GLOBAL__N_16kernel17lstm_cell_forwardIddiLi2EEEvNS_4cuda6detail10TensorInfoIT_T1_EES9_S9_S9_S9_S9_S9_S9_S8_S8_
    .private_segment_fixed_size: 0
    .sgpr_count:     85
    .sgpr_spill_count: 0
    .symbol:         _ZN2at6native12_GLOBAL__N_16kernel17lstm_cell_forwardIddiLi2EEEvNS_4cuda6detail10TensorInfoIT_T1_EES9_S9_S9_S9_S9_S9_S9_S8_S8_.kd
    .uniform_work_group_size: 1
    .uses_dynamic_stack: false
    .vgpr_count:     72
    .vgpr_spill_count: 0
    .wavefront_size: 32
  - .args:
      - .offset:         0
        .size:           416
        .value_kind:     by_value
      - .offset:         416
        .size:           416
        .value_kind:     by_value
      - .offset:         832
        .size:           416
        .value_kind:     by_value
      - .offset:         1248
        .size:           416
        .value_kind:     by_value
      - .offset:         1664
        .size:           416
        .value_kind:     by_value
      - .offset:         2080
        .size:           416
        .value_kind:     by_value
      - .offset:         2496
        .size:           416
        .value_kind:     by_value
      - .offset:         2912
        .size:           416
        .value_kind:     by_value
      - .offset:         3328
        .size:           8
        .value_kind:     by_value
      - .offset:         3336
        .size:           8
        .value_kind:     by_value
      - .offset:         3344
        .size:           4
        .value_kind:     hidden_block_count_x
      - .offset:         3348
        .size:           4
        .value_kind:     hidden_block_count_y
      - .offset:         3352
        .size:           4
        .value_kind:     hidden_block_count_z
      - .offset:         3356
        .size:           2
        .value_kind:     hidden_group_size_x
      - .offset:         3358
        .size:           2
        .value_kind:     hidden_group_size_y
      - .offset:         3360
        .size:           2
        .value_kind:     hidden_group_size_z
      - .offset:         3362
        .size:           2
        .value_kind:     hidden_remainder_x
      - .offset:         3364
        .size:           2
        .value_kind:     hidden_remainder_y
      - .offset:         3366
        .size:           2
        .value_kind:     hidden_remainder_z
      - .offset:         3384
        .size:           8
        .value_kind:     hidden_global_offset_x
      - .offset:         3392
        .size:           8
        .value_kind:     hidden_global_offset_y
      - .offset:         3400
        .size:           8
        .value_kind:     hidden_global_offset_z
      - .offset:         3408
        .size:           2
        .value_kind:     hidden_grid_dims
    .group_segment_fixed_size: 0
    .kernarg_segment_align: 8
    .kernarg_segment_size: 3600
    .language:       OpenCL C
    .language_version:
      - 2
      - 0
    .max_flat_workgroup_size: 512
    .name:           _ZN2at6native12_GLOBAL__N_16kernel17lstm_cell_forwardIddlLi1EEEvNS_4cuda6detail10TensorInfoIT_T1_EES9_S9_S9_S9_S9_S9_S9_S8_S8_
    .private_segment_fixed_size: 0
    .sgpr_count:     66
    .sgpr_spill_count: 0
    .symbol:         _ZN2at6native12_GLOBAL__N_16kernel17lstm_cell_forwardIddlLi1EEEvNS_4cuda6detail10TensorInfoIT_T1_EES9_S9_S9_S9_S9_S9_S9_S8_S8_.kd
    .uniform_work_group_size: 1
    .uses_dynamic_stack: false
    .vgpr_count:     70
    .vgpr_spill_count: 0
    .wavefront_size: 32
  - .args:
      - .offset:         0
        .size:           416
        .value_kind:     by_value
      - .offset:         416
        .size:           416
        .value_kind:     by_value
      - .offset:         832
        .size:           416
        .value_kind:     by_value
      - .offset:         1248
        .size:           416
        .value_kind:     by_value
      - .offset:         1664
        .size:           416
        .value_kind:     by_value
      - .offset:         2080
        .size:           416
        .value_kind:     by_value
      - .offset:         2496
        .size:           416
        .value_kind:     by_value
      - .offset:         2912
        .size:           416
        .value_kind:     by_value
      - .offset:         3328
        .size:           8
        .value_kind:     by_value
      - .offset:         3336
        .size:           8
        .value_kind:     by_value
      - .offset:         3344
        .size:           4
        .value_kind:     hidden_block_count_x
      - .offset:         3348
        .size:           4
        .value_kind:     hidden_block_count_y
      - .offset:         3352
        .size:           4
        .value_kind:     hidden_block_count_z
      - .offset:         3356
        .size:           2
        .value_kind:     hidden_group_size_x
      - .offset:         3358
        .size:           2
        .value_kind:     hidden_group_size_y
      - .offset:         3360
        .size:           2
        .value_kind:     hidden_group_size_z
      - .offset:         3362
        .size:           2
        .value_kind:     hidden_remainder_x
      - .offset:         3364
        .size:           2
        .value_kind:     hidden_remainder_y
      - .offset:         3366
        .size:           2
        .value_kind:     hidden_remainder_z
      - .offset:         3384
        .size:           8
        .value_kind:     hidden_global_offset_x
      - .offset:         3392
        .size:           8
        .value_kind:     hidden_global_offset_y
      - .offset:         3400
        .size:           8
        .value_kind:     hidden_global_offset_z
      - .offset:         3408
        .size:           2
        .value_kind:     hidden_grid_dims
    .group_segment_fixed_size: 0
    .kernarg_segment_align: 8
    .kernarg_segment_size: 3600
    .language:       OpenCL C
    .language_version:
      - 2
      - 0
    .max_flat_workgroup_size: 512
    .name:           _ZN2at6native12_GLOBAL__N_16kernel17lstm_cell_forwardIddlLi2EEEvNS_4cuda6detail10TensorInfoIT_T1_EES9_S9_S9_S9_S9_S9_S9_S8_S8_
    .private_segment_fixed_size: 0
    .sgpr_count:     102
    .sgpr_spill_count: 0
    .symbol:         _ZN2at6native12_GLOBAL__N_16kernel17lstm_cell_forwardIddlLi2EEEvNS_4cuda6detail10TensorInfoIT_T1_EES9_S9_S9_S9_S9_S9_S9_S8_S8_.kd
    .uniform_work_group_size: 1
    .uses_dynamic_stack: false
    .vgpr_count:     76
    .vgpr_spill_count: 0
    .wavefront_size: 32
  - .args:
      - .offset:         0
        .size:           216
        .value_kind:     by_value
      - .offset:         216
        .size:           216
        .value_kind:     by_value
      - .offset:         432
        .size:           216
        .value_kind:     by_value
      - .offset:         648
        .size:           216
        .value_kind:     by_value
      - .offset:         864
        .size:           216
        .value_kind:     by_value
      - .offset:         1080
        .size:           216
        .value_kind:     by_value
      - .offset:         1296
        .size:           216
        .value_kind:     by_value
      - .offset:         1512
        .size:           216
        .value_kind:     by_value
      - .offset:         1728
        .size:           4
        .value_kind:     by_value
      - .offset:         1732
        .size:           4
        .value_kind:     by_value
      - .offset:         1736
        .size:           4
        .value_kind:     hidden_block_count_x
      - .offset:         1740
        .size:           4
        .value_kind:     hidden_block_count_y
      - .offset:         1744
        .size:           4
        .value_kind:     hidden_block_count_z
      - .offset:         1748
        .size:           2
        .value_kind:     hidden_group_size_x
      - .offset:         1750
        .size:           2
        .value_kind:     hidden_group_size_y
      - .offset:         1752
        .size:           2
        .value_kind:     hidden_group_size_z
      - .offset:         1754
        .size:           2
        .value_kind:     hidden_remainder_x
      - .offset:         1756
        .size:           2
        .value_kind:     hidden_remainder_y
      - .offset:         1758
        .size:           2
        .value_kind:     hidden_remainder_z
      - .offset:         1776
        .size:           8
        .value_kind:     hidden_global_offset_x
      - .offset:         1784
        .size:           8
        .value_kind:     hidden_global_offset_y
      - .offset:         1792
        .size:           8
        .value_kind:     hidden_global_offset_z
      - .offset:         1800
        .size:           2
        .value_kind:     hidden_grid_dims
    .group_segment_fixed_size: 0
    .kernarg_segment_align: 8
    .kernarg_segment_size: 1992
    .language:       OpenCL C
    .language_version:
      - 2
      - 0
    .max_flat_workgroup_size: 512
    .name:           _ZN2at6native12_GLOBAL__N_16kernel17lstm_cell_forwardIffiLi1EEEvNS_4cuda6detail10TensorInfoIT_T1_EES9_S9_S9_S9_S9_S9_S9_S8_S8_
    .private_segment_fixed_size: 0
    .sgpr_count:     41
    .sgpr_spill_count: 0
    .symbol:         _ZN2at6native12_GLOBAL__N_16kernel17lstm_cell_forwardIffiLi1EEEvNS_4cuda6detail10TensorInfoIT_T1_EES9_S9_S9_S9_S9_S9_S9_S8_S8_.kd
    .uniform_work_group_size: 1
    .uses_dynamic_stack: false
    .vgpr_count:     34
    .vgpr_spill_count: 0
    .wavefront_size: 32
  - .args:
      - .offset:         0
        .size:           216
        .value_kind:     by_value
      - .offset:         216
        .size:           216
        .value_kind:     by_value
      - .offset:         432
        .size:           216
        .value_kind:     by_value
      - .offset:         648
        .size:           216
        .value_kind:     by_value
      - .offset:         864
        .size:           216
        .value_kind:     by_value
      - .offset:         1080
        .size:           216
        .value_kind:     by_value
      - .offset:         1296
        .size:           216
        .value_kind:     by_value
      - .offset:         1512
        .size:           216
        .value_kind:     by_value
      - .offset:         1728
        .size:           4
        .value_kind:     by_value
      - .offset:         1732
        .size:           4
        .value_kind:     by_value
      - .offset:         1736
        .size:           4
        .value_kind:     hidden_block_count_x
      - .offset:         1740
        .size:           4
        .value_kind:     hidden_block_count_y
      - .offset:         1744
        .size:           4
        .value_kind:     hidden_block_count_z
      - .offset:         1748
        .size:           2
        .value_kind:     hidden_group_size_x
      - .offset:         1750
        .size:           2
        .value_kind:     hidden_group_size_y
      - .offset:         1752
        .size:           2
        .value_kind:     hidden_group_size_z
      - .offset:         1754
        .size:           2
        .value_kind:     hidden_remainder_x
      - .offset:         1756
        .size:           2
        .value_kind:     hidden_remainder_y
      - .offset:         1758
        .size:           2
        .value_kind:     hidden_remainder_z
      - .offset:         1776
        .size:           8
        .value_kind:     hidden_global_offset_x
      - .offset:         1784
        .size:           8
        .value_kind:     hidden_global_offset_y
      - .offset:         1792
        .size:           8
        .value_kind:     hidden_global_offset_z
      - .offset:         1800
        .size:           2
        .value_kind:     hidden_grid_dims
    .group_segment_fixed_size: 0
    .kernarg_segment_align: 8
    .kernarg_segment_size: 1992
    .language:       OpenCL C
    .language_version:
      - 2
      - 0
    .max_flat_workgroup_size: 512
    .name:           _ZN2at6native12_GLOBAL__N_16kernel17lstm_cell_forwardIffiLi2EEEvNS_4cuda6detail10TensorInfoIT_T1_EES9_S9_S9_S9_S9_S9_S9_S8_S8_
    .private_segment_fixed_size: 0
    .sgpr_count:     79
    .sgpr_spill_count: 0
    .symbol:         _ZN2at6native12_GLOBAL__N_16kernel17lstm_cell_forwardIffiLi2EEEvNS_4cuda6detail10TensorInfoIT_T1_EES9_S9_S9_S9_S9_S9_S9_S8_S8_.kd
    .uniform_work_group_size: 1
    .uses_dynamic_stack: false
    .vgpr_count:     55
    .vgpr_spill_count: 0
    .wavefront_size: 32
  - .args:
      - .offset:         0
        .size:           416
        .value_kind:     by_value
      - .offset:         416
        .size:           416
        .value_kind:     by_value
      - .offset:         832
        .size:           416
        .value_kind:     by_value
      - .offset:         1248
        .size:           416
        .value_kind:     by_value
      - .offset:         1664
        .size:           416
        .value_kind:     by_value
      - .offset:         2080
        .size:           416
        .value_kind:     by_value
      - .offset:         2496
        .size:           416
        .value_kind:     by_value
      - .offset:         2912
        .size:           416
        .value_kind:     by_value
      - .offset:         3328
        .size:           8
        .value_kind:     by_value
      - .offset:         3336
        .size:           8
        .value_kind:     by_value
      - .offset:         3344
        .size:           4
        .value_kind:     hidden_block_count_x
      - .offset:         3348
        .size:           4
        .value_kind:     hidden_block_count_y
      - .offset:         3352
        .size:           4
        .value_kind:     hidden_block_count_z
      - .offset:         3356
        .size:           2
        .value_kind:     hidden_group_size_x
      - .offset:         3358
        .size:           2
        .value_kind:     hidden_group_size_y
      - .offset:         3360
        .size:           2
        .value_kind:     hidden_group_size_z
      - .offset:         3362
        .size:           2
        .value_kind:     hidden_remainder_x
      - .offset:         3364
        .size:           2
        .value_kind:     hidden_remainder_y
      - .offset:         3366
        .size:           2
        .value_kind:     hidden_remainder_z
      - .offset:         3384
        .size:           8
        .value_kind:     hidden_global_offset_x
      - .offset:         3392
        .size:           8
        .value_kind:     hidden_global_offset_y
      - .offset:         3400
        .size:           8
        .value_kind:     hidden_global_offset_z
      - .offset:         3408
        .size:           2
        .value_kind:     hidden_grid_dims
    .group_segment_fixed_size: 0
    .kernarg_segment_align: 8
    .kernarg_segment_size: 3600
    .language:       OpenCL C
    .language_version:
      - 2
      - 0
    .max_flat_workgroup_size: 512
    .name:           _ZN2at6native12_GLOBAL__N_16kernel17lstm_cell_forwardIfflLi1EEEvNS_4cuda6detail10TensorInfoIT_T1_EES9_S9_S9_S9_S9_S9_S9_S8_S8_
    .private_segment_fixed_size: 0
    .sgpr_count:     61
    .sgpr_spill_count: 0
    .symbol:         _ZN2at6native12_GLOBAL__N_16kernel17lstm_cell_forwardIfflLi1EEEvNS_4cuda6detail10TensorInfoIT_T1_EES9_S9_S9_S9_S9_S9_S9_S8_S8_.kd
    .uniform_work_group_size: 1
    .uses_dynamic_stack: false
    .vgpr_count:     52
    .vgpr_spill_count: 0
    .wavefront_size: 32
  - .args:
      - .offset:         0
        .size:           416
        .value_kind:     by_value
      - .offset:         416
        .size:           416
        .value_kind:     by_value
      - .offset:         832
        .size:           416
        .value_kind:     by_value
      - .offset:         1248
        .size:           416
        .value_kind:     by_value
      - .offset:         1664
        .size:           416
        .value_kind:     by_value
      - .offset:         2080
        .size:           416
        .value_kind:     by_value
      - .offset:         2496
        .size:           416
        .value_kind:     by_value
      - .offset:         2912
        .size:           416
        .value_kind:     by_value
      - .offset:         3328
        .size:           8
        .value_kind:     by_value
      - .offset:         3336
        .size:           8
        .value_kind:     by_value
      - .offset:         3344
        .size:           4
        .value_kind:     hidden_block_count_x
      - .offset:         3348
        .size:           4
        .value_kind:     hidden_block_count_y
      - .offset:         3352
        .size:           4
        .value_kind:     hidden_block_count_z
      - .offset:         3356
        .size:           2
        .value_kind:     hidden_group_size_x
      - .offset:         3358
        .size:           2
        .value_kind:     hidden_group_size_y
      - .offset:         3360
        .size:           2
        .value_kind:     hidden_group_size_z
      - .offset:         3362
        .size:           2
        .value_kind:     hidden_remainder_x
      - .offset:         3364
        .size:           2
        .value_kind:     hidden_remainder_y
      - .offset:         3366
        .size:           2
        .value_kind:     hidden_remainder_z
      - .offset:         3384
        .size:           8
        .value_kind:     hidden_global_offset_x
      - .offset:         3392
        .size:           8
        .value_kind:     hidden_global_offset_y
      - .offset:         3400
        .size:           8
        .value_kind:     hidden_global_offset_z
      - .offset:         3408
        .size:           2
        .value_kind:     hidden_grid_dims
    .group_segment_fixed_size: 0
    .kernarg_segment_align: 8
    .kernarg_segment_size: 3600
    .language:       OpenCL C
    .language_version:
      - 2
      - 0
    .max_flat_workgroup_size: 512
    .name:           _ZN2at6native12_GLOBAL__N_16kernel17lstm_cell_forwardIfflLi2EEEvNS_4cuda6detail10TensorInfoIT_T1_EES9_S9_S9_S9_S9_S9_S9_S8_S8_
    .private_segment_fixed_size: 0
    .sgpr_count:     97
    .sgpr_spill_count: 0
    .symbol:         _ZN2at6native12_GLOBAL__N_16kernel17lstm_cell_forwardIfflLi2EEEvNS_4cuda6detail10TensorInfoIT_T1_EES9_S9_S9_S9_S9_S9_S9_S8_S8_.kd
    .uniform_work_group_size: 1
    .uses_dynamic_stack: false
    .vgpr_count:     54
    .vgpr_spill_count: 0
    .wavefront_size: 32
  - .args:
      - .offset:         0
        .size:           216
        .value_kind:     by_value
      - .offset:         216
        .size:           216
        .value_kind:     by_value
      - .offset:         432
        .size:           216
        .value_kind:     by_value
      - .offset:         648
        .size:           216
        .value_kind:     by_value
      - .offset:         864
        .size:           216
        .value_kind:     by_value
      - .offset:         1080
        .size:           216
        .value_kind:     by_value
      - .offset:         1296
        .size:           216
        .value_kind:     by_value
      - .offset:         1512
        .size:           216
        .value_kind:     by_value
      - .offset:         1728
        .size:           4
        .value_kind:     by_value
      - .offset:         1732
        .size:           4
        .value_kind:     by_value
      - .offset:         1736
        .size:           4
        .value_kind:     hidden_block_count_x
      - .offset:         1740
        .size:           4
        .value_kind:     hidden_block_count_y
      - .offset:         1744
        .size:           4
        .value_kind:     hidden_block_count_z
      - .offset:         1748
        .size:           2
        .value_kind:     hidden_group_size_x
      - .offset:         1750
        .size:           2
        .value_kind:     hidden_group_size_y
      - .offset:         1752
        .size:           2
        .value_kind:     hidden_group_size_z
      - .offset:         1754
        .size:           2
        .value_kind:     hidden_remainder_x
      - .offset:         1756
        .size:           2
        .value_kind:     hidden_remainder_y
      - .offset:         1758
        .size:           2
        .value_kind:     hidden_remainder_z
      - .offset:         1776
        .size:           8
        .value_kind:     hidden_global_offset_x
      - .offset:         1784
        .size:           8
        .value_kind:     hidden_global_offset_y
      - .offset:         1792
        .size:           8
        .value_kind:     hidden_global_offset_z
      - .offset:         1800
        .size:           2
        .value_kind:     hidden_grid_dims
    .group_segment_fixed_size: 0
    .kernarg_segment_align: 8
    .kernarg_segment_size: 1992
    .language:       OpenCL C
    .language_version:
      - 2
      - 0
    .max_flat_workgroup_size: 512
    .name:           _ZN2at6native12_GLOBAL__N_16kernel17lstm_cell_forwardIN3c104HalfEfiLi1EEEvNS_4cuda6detail10TensorInfoIT_T1_EESB_SB_SB_SB_SB_SB_SB_SA_SA_
    .private_segment_fixed_size: 0
    .sgpr_count:     41
    .sgpr_spill_count: 0
    .symbol:         _ZN2at6native12_GLOBAL__N_16kernel17lstm_cell_forwardIN3c104HalfEfiLi1EEEvNS_4cuda6detail10TensorInfoIT_T1_EESB_SB_SB_SB_SB_SB_SB_SA_SA_.kd
    .uniform_work_group_size: 1
    .uses_dynamic_stack: false
    .vgpr_count:     34
    .vgpr_spill_count: 0
    .wavefront_size: 32
  - .args:
      - .offset:         0
        .size:           216
        .value_kind:     by_value
      - .offset:         216
        .size:           216
        .value_kind:     by_value
      - .offset:         432
        .size:           216
        .value_kind:     by_value
      - .offset:         648
        .size:           216
        .value_kind:     by_value
      - .offset:         864
        .size:           216
        .value_kind:     by_value
      - .offset:         1080
        .size:           216
        .value_kind:     by_value
      - .offset:         1296
        .size:           216
        .value_kind:     by_value
      - .offset:         1512
        .size:           216
        .value_kind:     by_value
      - .offset:         1728
        .size:           4
        .value_kind:     by_value
      - .offset:         1732
        .size:           4
        .value_kind:     by_value
      - .offset:         1736
        .size:           4
        .value_kind:     hidden_block_count_x
      - .offset:         1740
        .size:           4
        .value_kind:     hidden_block_count_y
      - .offset:         1744
        .size:           4
        .value_kind:     hidden_block_count_z
      - .offset:         1748
        .size:           2
        .value_kind:     hidden_group_size_x
      - .offset:         1750
        .size:           2
        .value_kind:     hidden_group_size_y
      - .offset:         1752
        .size:           2
        .value_kind:     hidden_group_size_z
      - .offset:         1754
        .size:           2
        .value_kind:     hidden_remainder_x
      - .offset:         1756
        .size:           2
        .value_kind:     hidden_remainder_y
      - .offset:         1758
        .size:           2
        .value_kind:     hidden_remainder_z
      - .offset:         1776
        .size:           8
        .value_kind:     hidden_global_offset_x
      - .offset:         1784
        .size:           8
        .value_kind:     hidden_global_offset_y
      - .offset:         1792
        .size:           8
        .value_kind:     hidden_global_offset_z
      - .offset:         1800
        .size:           2
        .value_kind:     hidden_grid_dims
    .group_segment_fixed_size: 0
    .kernarg_segment_align: 8
    .kernarg_segment_size: 1992
    .language:       OpenCL C
    .language_version:
      - 2
      - 0
    .max_flat_workgroup_size: 512
    .name:           _ZN2at6native12_GLOBAL__N_16kernel17lstm_cell_forwardIN3c104HalfEfiLi2EEEvNS_4cuda6detail10TensorInfoIT_T1_EESB_SB_SB_SB_SB_SB_SB_SA_SA_
    .private_segment_fixed_size: 0
    .sgpr_count:     80
    .sgpr_spill_count: 0
    .symbol:         _ZN2at6native12_GLOBAL__N_16kernel17lstm_cell_forwardIN3c104HalfEfiLi2EEEvNS_4cuda6detail10TensorInfoIT_T1_EESB_SB_SB_SB_SB_SB_SB_SA_SA_.kd
    .uniform_work_group_size: 1
    .uses_dynamic_stack: false
    .vgpr_count:     55
    .vgpr_spill_count: 0
    .wavefront_size: 32
  - .args:
      - .offset:         0
        .size:           416
        .value_kind:     by_value
      - .offset:         416
        .size:           416
        .value_kind:     by_value
      - .offset:         832
        .size:           416
        .value_kind:     by_value
      - .offset:         1248
        .size:           416
        .value_kind:     by_value
      - .offset:         1664
        .size:           416
        .value_kind:     by_value
      - .offset:         2080
        .size:           416
        .value_kind:     by_value
      - .offset:         2496
        .size:           416
        .value_kind:     by_value
      - .offset:         2912
        .size:           416
        .value_kind:     by_value
      - .offset:         3328
        .size:           8
        .value_kind:     by_value
      - .offset:         3336
        .size:           8
        .value_kind:     by_value
      - .offset:         3344
        .size:           4
        .value_kind:     hidden_block_count_x
      - .offset:         3348
        .size:           4
        .value_kind:     hidden_block_count_y
      - .offset:         3352
        .size:           4
        .value_kind:     hidden_block_count_z
      - .offset:         3356
        .size:           2
        .value_kind:     hidden_group_size_x
      - .offset:         3358
        .size:           2
        .value_kind:     hidden_group_size_y
      - .offset:         3360
        .size:           2
        .value_kind:     hidden_group_size_z
      - .offset:         3362
        .size:           2
        .value_kind:     hidden_remainder_x
      - .offset:         3364
        .size:           2
        .value_kind:     hidden_remainder_y
      - .offset:         3366
        .size:           2
        .value_kind:     hidden_remainder_z
      - .offset:         3384
        .size:           8
        .value_kind:     hidden_global_offset_x
      - .offset:         3392
        .size:           8
        .value_kind:     hidden_global_offset_y
      - .offset:         3400
        .size:           8
        .value_kind:     hidden_global_offset_z
      - .offset:         3408
        .size:           2
        .value_kind:     hidden_grid_dims
    .group_segment_fixed_size: 0
    .kernarg_segment_align: 8
    .kernarg_segment_size: 3600
    .language:       OpenCL C
    .language_version:
      - 2
      - 0
    .max_flat_workgroup_size: 512
    .name:           _ZN2at6native12_GLOBAL__N_16kernel17lstm_cell_forwardIN3c104HalfEflLi1EEEvNS_4cuda6detail10TensorInfoIT_T1_EESB_SB_SB_SB_SB_SB_SB_SA_SA_
    .private_segment_fixed_size: 0
    .sgpr_count:     61
    .sgpr_spill_count: 0
    .symbol:         _ZN2at6native12_GLOBAL__N_16kernel17lstm_cell_forwardIN3c104HalfEflLi1EEEvNS_4cuda6detail10TensorInfoIT_T1_EESB_SB_SB_SB_SB_SB_SB_SA_SA_.kd
    .uniform_work_group_size: 1
    .uses_dynamic_stack: false
    .vgpr_count:     47
    .vgpr_spill_count: 0
    .wavefront_size: 32
  - .args:
      - .offset:         0
        .size:           416
        .value_kind:     by_value
      - .offset:         416
        .size:           416
        .value_kind:     by_value
      - .offset:         832
        .size:           416
        .value_kind:     by_value
      - .offset:         1248
        .size:           416
        .value_kind:     by_value
      - .offset:         1664
        .size:           416
        .value_kind:     by_value
      - .offset:         2080
        .size:           416
        .value_kind:     by_value
      - .offset:         2496
        .size:           416
        .value_kind:     by_value
      - .offset:         2912
        .size:           416
        .value_kind:     by_value
      - .offset:         3328
        .size:           8
        .value_kind:     by_value
      - .offset:         3336
        .size:           8
        .value_kind:     by_value
      - .offset:         3344
        .size:           4
        .value_kind:     hidden_block_count_x
      - .offset:         3348
        .size:           4
        .value_kind:     hidden_block_count_y
      - .offset:         3352
        .size:           4
        .value_kind:     hidden_block_count_z
      - .offset:         3356
        .size:           2
        .value_kind:     hidden_group_size_x
      - .offset:         3358
        .size:           2
        .value_kind:     hidden_group_size_y
      - .offset:         3360
        .size:           2
        .value_kind:     hidden_group_size_z
      - .offset:         3362
        .size:           2
        .value_kind:     hidden_remainder_x
      - .offset:         3364
        .size:           2
        .value_kind:     hidden_remainder_y
      - .offset:         3366
        .size:           2
        .value_kind:     hidden_remainder_z
      - .offset:         3384
        .size:           8
        .value_kind:     hidden_global_offset_x
      - .offset:         3392
        .size:           8
        .value_kind:     hidden_global_offset_y
      - .offset:         3400
        .size:           8
        .value_kind:     hidden_global_offset_z
      - .offset:         3408
        .size:           2
        .value_kind:     hidden_grid_dims
    .group_segment_fixed_size: 0
    .kernarg_segment_align: 8
    .kernarg_segment_size: 3600
    .language:       OpenCL C
    .language_version:
      - 2
      - 0
    .max_flat_workgroup_size: 512
    .name:           _ZN2at6native12_GLOBAL__N_16kernel17lstm_cell_forwardIN3c104HalfEflLi2EEEvNS_4cuda6detail10TensorInfoIT_T1_EESB_SB_SB_SB_SB_SB_SB_SA_SA_
    .private_segment_fixed_size: 0
    .sgpr_count:     97
    .sgpr_spill_count: 0
    .symbol:         _ZN2at6native12_GLOBAL__N_16kernel17lstm_cell_forwardIN3c104HalfEflLi2EEEvNS_4cuda6detail10TensorInfoIT_T1_EESB_SB_SB_SB_SB_SB_SB_SA_SA_.kd
    .uniform_work_group_size: 1
    .uses_dynamic_stack: false
    .vgpr_count:     52
    .vgpr_spill_count: 0
    .wavefront_size: 32
  - .args:
      - .offset:         0
        .size:           216
        .value_kind:     by_value
      - .offset:         216
        .size:           216
        .value_kind:     by_value
      - .offset:         432
        .size:           216
        .value_kind:     by_value
      - .offset:         648
        .size:           216
        .value_kind:     by_value
      - .offset:         864
        .size:           216
        .value_kind:     by_value
      - .offset:         1080
        .size:           216
        .value_kind:     by_value
      - .offset:         1296
        .size:           216
        .value_kind:     by_value
      - .offset:         1512
        .size:           216
        .value_kind:     by_value
      - .offset:         1728
        .size:           4
        .value_kind:     by_value
      - .offset:         1732
        .size:           4
        .value_kind:     by_value
      - .offset:         1736
        .size:           4
        .value_kind:     hidden_block_count_x
      - .offset:         1740
        .size:           4
        .value_kind:     hidden_block_count_y
      - .offset:         1744
        .size:           4
        .value_kind:     hidden_block_count_z
      - .offset:         1748
        .size:           2
        .value_kind:     hidden_group_size_x
      - .offset:         1750
        .size:           2
        .value_kind:     hidden_group_size_y
      - .offset:         1752
        .size:           2
        .value_kind:     hidden_group_size_z
      - .offset:         1754
        .size:           2
        .value_kind:     hidden_remainder_x
      - .offset:         1756
        .size:           2
        .value_kind:     hidden_remainder_y
      - .offset:         1758
        .size:           2
        .value_kind:     hidden_remainder_z
      - .offset:         1776
        .size:           8
        .value_kind:     hidden_global_offset_x
      - .offset:         1784
        .size:           8
        .value_kind:     hidden_global_offset_y
      - .offset:         1792
        .size:           8
        .value_kind:     hidden_global_offset_z
      - .offset:         1800
        .size:           2
        .value_kind:     hidden_grid_dims
    .group_segment_fixed_size: 0
    .kernarg_segment_align: 8
    .kernarg_segment_size: 1992
    .language:       OpenCL C
    .language_version:
      - 2
      - 0
    .max_flat_workgroup_size: 512
    .name:           _ZN2at6native12_GLOBAL__N_16kernel17lstm_cell_forwardIN3c108BFloat16EfiLi1EEEvNS_4cuda6detail10TensorInfoIT_T1_EESB_SB_SB_SB_SB_SB_SB_SA_SA_
    .private_segment_fixed_size: 0
    .sgpr_count:     41
    .sgpr_spill_count: 0
    .symbol:         _ZN2at6native12_GLOBAL__N_16kernel17lstm_cell_forwardIN3c108BFloat16EfiLi1EEEvNS_4cuda6detail10TensorInfoIT_T1_EESB_SB_SB_SB_SB_SB_SB_SA_SA_.kd
    .uniform_work_group_size: 1
    .uses_dynamic_stack: false
    .vgpr_count:     34
    .vgpr_spill_count: 0
    .wavefront_size: 32
  - .args:
      - .offset:         0
        .size:           216
        .value_kind:     by_value
      - .offset:         216
        .size:           216
        .value_kind:     by_value
      - .offset:         432
        .size:           216
        .value_kind:     by_value
      - .offset:         648
        .size:           216
        .value_kind:     by_value
      - .offset:         864
        .size:           216
        .value_kind:     by_value
      - .offset:         1080
        .size:           216
        .value_kind:     by_value
      - .offset:         1296
        .size:           216
        .value_kind:     by_value
      - .offset:         1512
        .size:           216
        .value_kind:     by_value
      - .offset:         1728
        .size:           4
        .value_kind:     by_value
      - .offset:         1732
        .size:           4
        .value_kind:     by_value
      - .offset:         1736
        .size:           4
        .value_kind:     hidden_block_count_x
      - .offset:         1740
        .size:           4
        .value_kind:     hidden_block_count_y
      - .offset:         1744
        .size:           4
        .value_kind:     hidden_block_count_z
      - .offset:         1748
        .size:           2
        .value_kind:     hidden_group_size_x
      - .offset:         1750
        .size:           2
        .value_kind:     hidden_group_size_y
      - .offset:         1752
        .size:           2
        .value_kind:     hidden_group_size_z
      - .offset:         1754
        .size:           2
        .value_kind:     hidden_remainder_x
      - .offset:         1756
        .size:           2
        .value_kind:     hidden_remainder_y
      - .offset:         1758
        .size:           2
        .value_kind:     hidden_remainder_z
      - .offset:         1776
        .size:           8
        .value_kind:     hidden_global_offset_x
      - .offset:         1784
        .size:           8
        .value_kind:     hidden_global_offset_y
      - .offset:         1792
        .size:           8
        .value_kind:     hidden_global_offset_z
      - .offset:         1800
        .size:           2
        .value_kind:     hidden_grid_dims
    .group_segment_fixed_size: 0
    .kernarg_segment_align: 8
    .kernarg_segment_size: 1992
    .language:       OpenCL C
    .language_version:
      - 2
      - 0
    .max_flat_workgroup_size: 512
    .name:           _ZN2at6native12_GLOBAL__N_16kernel17lstm_cell_forwardIN3c108BFloat16EfiLi2EEEvNS_4cuda6detail10TensorInfoIT_T1_EESB_SB_SB_SB_SB_SB_SB_SA_SA_
    .private_segment_fixed_size: 0
    .sgpr_count:     80
    .sgpr_spill_count: 0
    .symbol:         _ZN2at6native12_GLOBAL__N_16kernel17lstm_cell_forwardIN3c108BFloat16EfiLi2EEEvNS_4cuda6detail10TensorInfoIT_T1_EESB_SB_SB_SB_SB_SB_SB_SA_SA_.kd
    .uniform_work_group_size: 1
    .uses_dynamic_stack: false
    .vgpr_count:     55
    .vgpr_spill_count: 0
    .wavefront_size: 32
  - .args:
      - .offset:         0
        .size:           416
        .value_kind:     by_value
      - .offset:         416
        .size:           416
        .value_kind:     by_value
      - .offset:         832
        .size:           416
        .value_kind:     by_value
      - .offset:         1248
        .size:           416
        .value_kind:     by_value
      - .offset:         1664
        .size:           416
        .value_kind:     by_value
      - .offset:         2080
        .size:           416
        .value_kind:     by_value
      - .offset:         2496
        .size:           416
        .value_kind:     by_value
      - .offset:         2912
        .size:           416
        .value_kind:     by_value
      - .offset:         3328
        .size:           8
        .value_kind:     by_value
      - .offset:         3336
        .size:           8
        .value_kind:     by_value
      - .offset:         3344
        .size:           4
        .value_kind:     hidden_block_count_x
      - .offset:         3348
        .size:           4
        .value_kind:     hidden_block_count_y
      - .offset:         3352
        .size:           4
        .value_kind:     hidden_block_count_z
      - .offset:         3356
        .size:           2
        .value_kind:     hidden_group_size_x
      - .offset:         3358
        .size:           2
        .value_kind:     hidden_group_size_y
      - .offset:         3360
        .size:           2
        .value_kind:     hidden_group_size_z
      - .offset:         3362
        .size:           2
        .value_kind:     hidden_remainder_x
      - .offset:         3364
        .size:           2
        .value_kind:     hidden_remainder_y
      - .offset:         3366
        .size:           2
        .value_kind:     hidden_remainder_z
      - .offset:         3384
        .size:           8
        .value_kind:     hidden_global_offset_x
      - .offset:         3392
        .size:           8
        .value_kind:     hidden_global_offset_y
      - .offset:         3400
        .size:           8
        .value_kind:     hidden_global_offset_z
      - .offset:         3408
        .size:           2
        .value_kind:     hidden_grid_dims
    .group_segment_fixed_size: 0
    .kernarg_segment_align: 8
    .kernarg_segment_size: 3600
    .language:       OpenCL C
    .language_version:
      - 2
      - 0
    .max_flat_workgroup_size: 512
    .name:           _ZN2at6native12_GLOBAL__N_16kernel17lstm_cell_forwardIN3c108BFloat16EflLi1EEEvNS_4cuda6detail10TensorInfoIT_T1_EESB_SB_SB_SB_SB_SB_SB_SA_SA_
    .private_segment_fixed_size: 0
    .sgpr_count:     61
    .sgpr_spill_count: 0
    .symbol:         _ZN2at6native12_GLOBAL__N_16kernel17lstm_cell_forwardIN3c108BFloat16EflLi1EEEvNS_4cuda6detail10TensorInfoIT_T1_EESB_SB_SB_SB_SB_SB_SB_SA_SA_.kd
    .uniform_work_group_size: 1
    .uses_dynamic_stack: false
    .vgpr_count:     47
    .vgpr_spill_count: 0
    .wavefront_size: 32
  - .args:
      - .offset:         0
        .size:           416
        .value_kind:     by_value
      - .offset:         416
        .size:           416
        .value_kind:     by_value
      - .offset:         832
        .size:           416
        .value_kind:     by_value
      - .offset:         1248
        .size:           416
        .value_kind:     by_value
      - .offset:         1664
        .size:           416
        .value_kind:     by_value
      - .offset:         2080
        .size:           416
        .value_kind:     by_value
      - .offset:         2496
        .size:           416
        .value_kind:     by_value
      - .offset:         2912
        .size:           416
        .value_kind:     by_value
      - .offset:         3328
        .size:           8
        .value_kind:     by_value
      - .offset:         3336
        .size:           8
        .value_kind:     by_value
      - .offset:         3344
        .size:           4
        .value_kind:     hidden_block_count_x
      - .offset:         3348
        .size:           4
        .value_kind:     hidden_block_count_y
      - .offset:         3352
        .size:           4
        .value_kind:     hidden_block_count_z
      - .offset:         3356
        .size:           2
        .value_kind:     hidden_group_size_x
      - .offset:         3358
        .size:           2
        .value_kind:     hidden_group_size_y
      - .offset:         3360
        .size:           2
        .value_kind:     hidden_group_size_z
      - .offset:         3362
        .size:           2
        .value_kind:     hidden_remainder_x
      - .offset:         3364
        .size:           2
        .value_kind:     hidden_remainder_y
      - .offset:         3366
        .size:           2
        .value_kind:     hidden_remainder_z
      - .offset:         3384
        .size:           8
        .value_kind:     hidden_global_offset_x
      - .offset:         3392
        .size:           8
        .value_kind:     hidden_global_offset_y
      - .offset:         3400
        .size:           8
        .value_kind:     hidden_global_offset_z
      - .offset:         3408
        .size:           2
        .value_kind:     hidden_grid_dims
    .group_segment_fixed_size: 0
    .kernarg_segment_align: 8
    .kernarg_segment_size: 3600
    .language:       OpenCL C
    .language_version:
      - 2
      - 0
    .max_flat_workgroup_size: 512
    .name:           _ZN2at6native12_GLOBAL__N_16kernel17lstm_cell_forwardIN3c108BFloat16EflLi2EEEvNS_4cuda6detail10TensorInfoIT_T1_EESB_SB_SB_SB_SB_SB_SB_SA_SA_
    .private_segment_fixed_size: 0
    .sgpr_count:     97
    .sgpr_spill_count: 0
    .symbol:         _ZN2at6native12_GLOBAL__N_16kernel17lstm_cell_forwardIN3c108BFloat16EflLi2EEEvNS_4cuda6detail10TensorInfoIT_T1_EESB_SB_SB_SB_SB_SB_SB_SA_SA_.kd
    .uniform_work_group_size: 1
    .uses_dynamic_stack: false
    .vgpr_count:     52
    .vgpr_spill_count: 0
    .wavefront_size: 32
  - .args:
      - .offset:         0
        .size:           216
        .value_kind:     by_value
      - .offset:         216
        .size:           216
        .value_kind:     by_value
      - .offset:         432
        .size:           216
        .value_kind:     by_value
      - .offset:         648
        .size:           216
        .value_kind:     by_value
      - .offset:         864
        .size:           216
        .value_kind:     by_value
      - .offset:         1080
        .size:           216
        .value_kind:     by_value
      - .offset:         1296
        .size:           216
        .value_kind:     by_value
      - .offset:         1512
        .size:           4
        .value_kind:     by_value
      - .offset:         1516
        .size:           4
        .value_kind:     by_value
      - .offset:         1520
        .size:           4
        .value_kind:     hidden_block_count_x
      - .offset:         1524
        .size:           4
        .value_kind:     hidden_block_count_y
      - .offset:         1528
        .size:           4
        .value_kind:     hidden_block_count_z
      - .offset:         1532
        .size:           2
        .value_kind:     hidden_group_size_x
      - .offset:         1534
        .size:           2
        .value_kind:     hidden_group_size_y
      - .offset:         1536
        .size:           2
        .value_kind:     hidden_group_size_z
      - .offset:         1538
        .size:           2
        .value_kind:     hidden_remainder_x
      - .offset:         1540
        .size:           2
        .value_kind:     hidden_remainder_y
      - .offset:         1542
        .size:           2
        .value_kind:     hidden_remainder_z
      - .offset:         1560
        .size:           8
        .value_kind:     hidden_global_offset_x
      - .offset:         1568
        .size:           8
        .value_kind:     hidden_global_offset_y
      - .offset:         1576
        .size:           8
        .value_kind:     hidden_global_offset_z
      - .offset:         1584
        .size:           2
        .value_kind:     hidden_grid_dims
    .group_segment_fixed_size: 0
    .kernarg_segment_align: 8
    .kernarg_segment_size: 1776
    .language:       OpenCL C
    .language_version:
      - 2
      - 0
    .max_flat_workgroup_size: 512
    .name:           _ZN2at6native12_GLOBAL__N_16kernel18lstm_cell_backwardIddiLi1EEEvNS_4cuda6detail10TensorInfoIT_T1_EES9_S9_S9_S9_S9_S9_S8_S8_
    .private_segment_fixed_size: 0
    .sgpr_count:     39
    .sgpr_spill_count: 0
    .symbol:         _ZN2at6native12_GLOBAL__N_16kernel18lstm_cell_backwardIddiLi1EEEvNS_4cuda6detail10TensorInfoIT_T1_EES9_S9_S9_S9_S9_S9_S8_S8_.kd
    .uniform_work_group_size: 1
    .uses_dynamic_stack: false
    .vgpr_count:     52
    .vgpr_spill_count: 0
    .wavefront_size: 32
  - .args:
      - .offset:         0
        .size:           216
        .value_kind:     by_value
      - .offset:         216
        .size:           216
        .value_kind:     by_value
      - .offset:         432
        .size:           216
        .value_kind:     by_value
      - .offset:         648
        .size:           216
        .value_kind:     by_value
      - .offset:         864
        .size:           216
        .value_kind:     by_value
      - .offset:         1080
        .size:           216
        .value_kind:     by_value
      - .offset:         1296
        .size:           216
        .value_kind:     by_value
      - .offset:         1512
        .size:           4
        .value_kind:     by_value
      - .offset:         1516
        .size:           4
        .value_kind:     by_value
      - .offset:         1520
        .size:           4
        .value_kind:     hidden_block_count_x
      - .offset:         1524
        .size:           4
        .value_kind:     hidden_block_count_y
      - .offset:         1528
        .size:           4
        .value_kind:     hidden_block_count_z
      - .offset:         1532
        .size:           2
        .value_kind:     hidden_group_size_x
      - .offset:         1534
        .size:           2
        .value_kind:     hidden_group_size_y
      - .offset:         1536
        .size:           2
        .value_kind:     hidden_group_size_z
      - .offset:         1538
        .size:           2
        .value_kind:     hidden_remainder_x
      - .offset:         1540
        .size:           2
        .value_kind:     hidden_remainder_y
      - .offset:         1542
        .size:           2
        .value_kind:     hidden_remainder_z
      - .offset:         1560
        .size:           8
        .value_kind:     hidden_global_offset_x
      - .offset:         1568
        .size:           8
        .value_kind:     hidden_global_offset_y
      - .offset:         1576
        .size:           8
        .value_kind:     hidden_global_offset_z
      - .offset:         1584
        .size:           2
        .value_kind:     hidden_grid_dims
    .group_segment_fixed_size: 0
    .kernarg_segment_align: 8
    .kernarg_segment_size: 1776
    .language:       OpenCL C
    .language_version:
      - 2
      - 0
    .max_flat_workgroup_size: 512
    .name:           _ZN2at6native12_GLOBAL__N_16kernel18lstm_cell_backwardIddiLi2EEEvNS_4cuda6detail10TensorInfoIT_T1_EES9_S9_S9_S9_S9_S9_S8_S8_
    .private_segment_fixed_size: 0
    .sgpr_count:     85
    .sgpr_spill_count: 0
    .symbol:         _ZN2at6native12_GLOBAL__N_16kernel18lstm_cell_backwardIddiLi2EEEvNS_4cuda6detail10TensorInfoIT_T1_EES9_S9_S9_S9_S9_S9_S8_S8_.kd
    .uniform_work_group_size: 1
    .uses_dynamic_stack: false
    .vgpr_count:     60
    .vgpr_spill_count: 0
    .wavefront_size: 32
  - .args:
      - .offset:         0
        .size:           416
        .value_kind:     by_value
      - .offset:         416
        .size:           416
        .value_kind:     by_value
      - .offset:         832
        .size:           416
        .value_kind:     by_value
      - .offset:         1248
        .size:           416
        .value_kind:     by_value
      - .offset:         1664
        .size:           416
        .value_kind:     by_value
      - .offset:         2080
        .size:           416
        .value_kind:     by_value
      - .offset:         2496
        .size:           416
        .value_kind:     by_value
      - .offset:         2912
        .size:           8
        .value_kind:     by_value
      - .offset:         2920
        .size:           8
        .value_kind:     by_value
      - .offset:         2928
        .size:           4
        .value_kind:     hidden_block_count_x
      - .offset:         2932
        .size:           4
        .value_kind:     hidden_block_count_y
      - .offset:         2936
        .size:           4
        .value_kind:     hidden_block_count_z
      - .offset:         2940
        .size:           2
        .value_kind:     hidden_group_size_x
      - .offset:         2942
        .size:           2
        .value_kind:     hidden_group_size_y
      - .offset:         2944
        .size:           2
        .value_kind:     hidden_group_size_z
      - .offset:         2946
        .size:           2
        .value_kind:     hidden_remainder_x
      - .offset:         2948
        .size:           2
        .value_kind:     hidden_remainder_y
      - .offset:         2950
        .size:           2
        .value_kind:     hidden_remainder_z
      - .offset:         2968
        .size:           8
        .value_kind:     hidden_global_offset_x
      - .offset:         2976
        .size:           8
        .value_kind:     hidden_global_offset_y
      - .offset:         2984
        .size:           8
        .value_kind:     hidden_global_offset_z
      - .offset:         2992
        .size:           2
        .value_kind:     hidden_grid_dims
    .group_segment_fixed_size: 0
    .kernarg_segment_align: 8
    .kernarg_segment_size: 3184
    .language:       OpenCL C
    .language_version:
      - 2
      - 0
    .max_flat_workgroup_size: 512
    .name:           _ZN2at6native12_GLOBAL__N_16kernel18lstm_cell_backwardIddlLi1EEEvNS_4cuda6detail10TensorInfoIT_T1_EES9_S9_S9_S9_S9_S9_S8_S8_
    .private_segment_fixed_size: 0
    .sgpr_count:     55
    .sgpr_spill_count: 0
    .symbol:         _ZN2at6native12_GLOBAL__N_16kernel18lstm_cell_backwardIddlLi1EEEvNS_4cuda6detail10TensorInfoIT_T1_EES9_S9_S9_S9_S9_S9_S8_S8_.kd
    .uniform_work_group_size: 1
    .uses_dynamic_stack: false
    .vgpr_count:     62
    .vgpr_spill_count: 0
    .wavefront_size: 32
  - .args:
      - .offset:         0
        .size:           416
        .value_kind:     by_value
      - .offset:         416
        .size:           416
        .value_kind:     by_value
      - .offset:         832
        .size:           416
        .value_kind:     by_value
      - .offset:         1248
        .size:           416
        .value_kind:     by_value
      - .offset:         1664
        .size:           416
        .value_kind:     by_value
      - .offset:         2080
        .size:           416
        .value_kind:     by_value
      - .offset:         2496
        .size:           416
        .value_kind:     by_value
      - .offset:         2912
        .size:           8
        .value_kind:     by_value
      - .offset:         2920
        .size:           8
        .value_kind:     by_value
      - .offset:         2928
        .size:           4
        .value_kind:     hidden_block_count_x
      - .offset:         2932
        .size:           4
        .value_kind:     hidden_block_count_y
      - .offset:         2936
        .size:           4
        .value_kind:     hidden_block_count_z
      - .offset:         2940
        .size:           2
        .value_kind:     hidden_group_size_x
      - .offset:         2942
        .size:           2
        .value_kind:     hidden_group_size_y
      - .offset:         2944
        .size:           2
        .value_kind:     hidden_group_size_z
      - .offset:         2946
        .size:           2
        .value_kind:     hidden_remainder_x
      - .offset:         2948
        .size:           2
        .value_kind:     hidden_remainder_y
      - .offset:         2950
        .size:           2
        .value_kind:     hidden_remainder_z
      - .offset:         2968
        .size:           8
        .value_kind:     hidden_global_offset_x
      - .offset:         2976
        .size:           8
        .value_kind:     hidden_global_offset_y
      - .offset:         2984
        .size:           8
        .value_kind:     hidden_global_offset_z
      - .offset:         2992
        .size:           2
        .value_kind:     hidden_grid_dims
    .group_segment_fixed_size: 0
    .kernarg_segment_align: 8
    .kernarg_segment_size: 3184
    .language:       OpenCL C
    .language_version:
      - 2
      - 0
    .max_flat_workgroup_size: 512
    .name:           _ZN2at6native12_GLOBAL__N_16kernel18lstm_cell_backwardIddlLi2EEEvNS_4cuda6detail10TensorInfoIT_T1_EES9_S9_S9_S9_S9_S9_S8_S8_
    .private_segment_fixed_size: 0
    .sgpr_count:     103
    .sgpr_spill_count: 0
    .symbol:         _ZN2at6native12_GLOBAL__N_16kernel18lstm_cell_backwardIddlLi2EEEvNS_4cuda6detail10TensorInfoIT_T1_EES9_S9_S9_S9_S9_S9_S8_S8_.kd
    .uniform_work_group_size: 1
    .uses_dynamic_stack: false
    .vgpr_count:     62
    .vgpr_spill_count: 0
    .wavefront_size: 32
  - .args:
      - .offset:         0
        .size:           216
        .value_kind:     by_value
      - .offset:         216
        .size:           216
        .value_kind:     by_value
      - .offset:         432
        .size:           216
        .value_kind:     by_value
      - .offset:         648
        .size:           216
        .value_kind:     by_value
      - .offset:         864
        .size:           216
        .value_kind:     by_value
      - .offset:         1080
        .size:           216
        .value_kind:     by_value
      - .offset:         1296
        .size:           216
        .value_kind:     by_value
      - .offset:         1512
        .size:           4
        .value_kind:     by_value
      - .offset:         1516
        .size:           4
        .value_kind:     by_value
      - .offset:         1520
        .size:           4
        .value_kind:     hidden_block_count_x
      - .offset:         1524
        .size:           4
        .value_kind:     hidden_block_count_y
      - .offset:         1528
        .size:           4
        .value_kind:     hidden_block_count_z
      - .offset:         1532
        .size:           2
        .value_kind:     hidden_group_size_x
      - .offset:         1534
        .size:           2
        .value_kind:     hidden_group_size_y
      - .offset:         1536
        .size:           2
        .value_kind:     hidden_group_size_z
      - .offset:         1538
        .size:           2
        .value_kind:     hidden_remainder_x
      - .offset:         1540
        .size:           2
        .value_kind:     hidden_remainder_y
      - .offset:         1542
        .size:           2
        .value_kind:     hidden_remainder_z
      - .offset:         1560
        .size:           8
        .value_kind:     hidden_global_offset_x
      - .offset:         1568
        .size:           8
        .value_kind:     hidden_global_offset_y
      - .offset:         1576
        .size:           8
        .value_kind:     hidden_global_offset_z
      - .offset:         1584
        .size:           2
        .value_kind:     hidden_grid_dims
    .group_segment_fixed_size: 0
    .kernarg_segment_align: 8
    .kernarg_segment_size: 1776
    .language:       OpenCL C
    .language_version:
      - 2
      - 0
    .max_flat_workgroup_size: 512
    .name:           _ZN2at6native12_GLOBAL__N_16kernel18lstm_cell_backwardIffiLi1EEEvNS_4cuda6detail10TensorInfoIT_T1_EES9_S9_S9_S9_S9_S9_S8_S8_
    .private_segment_fixed_size: 0
    .sgpr_count:     38
    .sgpr_spill_count: 0
    .symbol:         _ZN2at6native12_GLOBAL__N_16kernel18lstm_cell_backwardIffiLi1EEEvNS_4cuda6detail10TensorInfoIT_T1_EES9_S9_S9_S9_S9_S9_S8_S8_.kd
    .uniform_work_group_size: 1
    .uses_dynamic_stack: false
    .vgpr_count:     23
    .vgpr_spill_count: 0
    .wavefront_size: 32
  - .args:
      - .offset:         0
        .size:           216
        .value_kind:     by_value
      - .offset:         216
        .size:           216
        .value_kind:     by_value
      - .offset:         432
        .size:           216
        .value_kind:     by_value
      - .offset:         648
        .size:           216
        .value_kind:     by_value
      - .offset:         864
        .size:           216
        .value_kind:     by_value
      - .offset:         1080
        .size:           216
        .value_kind:     by_value
      - .offset:         1296
        .size:           216
        .value_kind:     by_value
      - .offset:         1512
        .size:           4
        .value_kind:     by_value
      - .offset:         1516
        .size:           4
        .value_kind:     by_value
      - .offset:         1520
        .size:           4
        .value_kind:     hidden_block_count_x
      - .offset:         1524
        .size:           4
        .value_kind:     hidden_block_count_y
      - .offset:         1528
        .size:           4
        .value_kind:     hidden_block_count_z
      - .offset:         1532
        .size:           2
        .value_kind:     hidden_group_size_x
      - .offset:         1534
        .size:           2
        .value_kind:     hidden_group_size_y
      - .offset:         1536
        .size:           2
        .value_kind:     hidden_group_size_z
      - .offset:         1538
        .size:           2
        .value_kind:     hidden_remainder_x
      - .offset:         1540
        .size:           2
        .value_kind:     hidden_remainder_y
      - .offset:         1542
        .size:           2
        .value_kind:     hidden_remainder_z
      - .offset:         1560
        .size:           8
        .value_kind:     hidden_global_offset_x
      - .offset:         1568
        .size:           8
        .value_kind:     hidden_global_offset_y
      - .offset:         1576
        .size:           8
        .value_kind:     hidden_global_offset_z
      - .offset:         1584
        .size:           2
        .value_kind:     hidden_grid_dims
    .group_segment_fixed_size: 0
    .kernarg_segment_align: 8
    .kernarg_segment_size: 1776
    .language:       OpenCL C
    .language_version:
      - 2
      - 0
    .max_flat_workgroup_size: 512
    .name:           _ZN2at6native12_GLOBAL__N_16kernel18lstm_cell_backwardIffiLi2EEEvNS_4cuda6detail10TensorInfoIT_T1_EES9_S9_S9_S9_S9_S9_S8_S8_
    .private_segment_fixed_size: 0
    .sgpr_count:     82
    .sgpr_spill_count: 0
    .symbol:         _ZN2at6native12_GLOBAL__N_16kernel18lstm_cell_backwardIffiLi2EEEvNS_4cuda6detail10TensorInfoIT_T1_EES9_S9_S9_S9_S9_S9_S8_S8_.kd
    .uniform_work_group_size: 1
    .uses_dynamic_stack: false
    .vgpr_count:     42
    .vgpr_spill_count: 0
    .wavefront_size: 32
  - .args:
      - .offset:         0
        .size:           416
        .value_kind:     by_value
      - .offset:         416
        .size:           416
        .value_kind:     by_value
      - .offset:         832
        .size:           416
        .value_kind:     by_value
      - .offset:         1248
        .size:           416
        .value_kind:     by_value
      - .offset:         1664
        .size:           416
        .value_kind:     by_value
      - .offset:         2080
        .size:           416
        .value_kind:     by_value
      - .offset:         2496
        .size:           416
        .value_kind:     by_value
      - .offset:         2912
        .size:           8
        .value_kind:     by_value
      - .offset:         2920
        .size:           8
        .value_kind:     by_value
      - .offset:         2928
        .size:           4
        .value_kind:     hidden_block_count_x
      - .offset:         2932
        .size:           4
        .value_kind:     hidden_block_count_y
      - .offset:         2936
        .size:           4
        .value_kind:     hidden_block_count_z
      - .offset:         2940
        .size:           2
        .value_kind:     hidden_group_size_x
      - .offset:         2942
        .size:           2
        .value_kind:     hidden_group_size_y
      - .offset:         2944
        .size:           2
        .value_kind:     hidden_group_size_z
      - .offset:         2946
        .size:           2
        .value_kind:     hidden_remainder_x
      - .offset:         2948
        .size:           2
        .value_kind:     hidden_remainder_y
      - .offset:         2950
        .size:           2
        .value_kind:     hidden_remainder_z
      - .offset:         2968
        .size:           8
        .value_kind:     hidden_global_offset_x
      - .offset:         2976
        .size:           8
        .value_kind:     hidden_global_offset_y
      - .offset:         2984
        .size:           8
        .value_kind:     hidden_global_offset_z
      - .offset:         2992
        .size:           2
        .value_kind:     hidden_grid_dims
    .group_segment_fixed_size: 0
    .kernarg_segment_align: 8
    .kernarg_segment_size: 3184
    .language:       OpenCL C
    .language_version:
      - 2
      - 0
    .max_flat_workgroup_size: 512
    .name:           _ZN2at6native12_GLOBAL__N_16kernel18lstm_cell_backwardIfflLi1EEEvNS_4cuda6detail10TensorInfoIT_T1_EES9_S9_S9_S9_S9_S9_S8_S8_
    .private_segment_fixed_size: 0
    .sgpr_count:     53
    .sgpr_spill_count: 0
    .symbol:         _ZN2at6native12_GLOBAL__N_16kernel18lstm_cell_backwardIfflLi1EEEvNS_4cuda6detail10TensorInfoIT_T1_EES9_S9_S9_S9_S9_S9_S8_S8_.kd
    .uniform_work_group_size: 1
    .uses_dynamic_stack: false
    .vgpr_count:     36
    .vgpr_spill_count: 0
    .wavefront_size: 32
  - .args:
      - .offset:         0
        .size:           416
        .value_kind:     by_value
      - .offset:         416
        .size:           416
        .value_kind:     by_value
      - .offset:         832
        .size:           416
        .value_kind:     by_value
      - .offset:         1248
        .size:           416
        .value_kind:     by_value
      - .offset:         1664
        .size:           416
        .value_kind:     by_value
      - .offset:         2080
        .size:           416
        .value_kind:     by_value
      - .offset:         2496
        .size:           416
        .value_kind:     by_value
      - .offset:         2912
        .size:           8
        .value_kind:     by_value
      - .offset:         2920
        .size:           8
        .value_kind:     by_value
      - .offset:         2928
        .size:           4
        .value_kind:     hidden_block_count_x
      - .offset:         2932
        .size:           4
        .value_kind:     hidden_block_count_y
      - .offset:         2936
        .size:           4
        .value_kind:     hidden_block_count_z
      - .offset:         2940
        .size:           2
        .value_kind:     hidden_group_size_x
      - .offset:         2942
        .size:           2
        .value_kind:     hidden_group_size_y
      - .offset:         2944
        .size:           2
        .value_kind:     hidden_group_size_z
      - .offset:         2946
        .size:           2
        .value_kind:     hidden_remainder_x
      - .offset:         2948
        .size:           2
        .value_kind:     hidden_remainder_y
      - .offset:         2950
        .size:           2
        .value_kind:     hidden_remainder_z
      - .offset:         2968
        .size:           8
        .value_kind:     hidden_global_offset_x
      - .offset:         2976
        .size:           8
        .value_kind:     hidden_global_offset_y
      - .offset:         2984
        .size:           8
        .value_kind:     hidden_global_offset_z
      - .offset:         2992
        .size:           2
        .value_kind:     hidden_grid_dims
    .group_segment_fixed_size: 0
    .kernarg_segment_align: 8
    .kernarg_segment_size: 3184
    .language:       OpenCL C
    .language_version:
      - 2
      - 0
    .max_flat_workgroup_size: 512
    .name:           _ZN2at6native12_GLOBAL__N_16kernel18lstm_cell_backwardIfflLi2EEEvNS_4cuda6detail10TensorInfoIT_T1_EES9_S9_S9_S9_S9_S9_S8_S8_
    .private_segment_fixed_size: 0
    .sgpr_count:     100
    .sgpr_spill_count: 0
    .symbol:         _ZN2at6native12_GLOBAL__N_16kernel18lstm_cell_backwardIfflLi2EEEvNS_4cuda6detail10TensorInfoIT_T1_EES9_S9_S9_S9_S9_S9_S8_S8_.kd
    .uniform_work_group_size: 1
    .uses_dynamic_stack: false
    .vgpr_count:     46
    .vgpr_spill_count: 0
    .wavefront_size: 32
  - .args:
      - .offset:         0
        .size:           216
        .value_kind:     by_value
      - .offset:         216
        .size:           216
        .value_kind:     by_value
      - .offset:         432
        .size:           216
        .value_kind:     by_value
      - .offset:         648
        .size:           216
        .value_kind:     by_value
      - .offset:         864
        .size:           216
        .value_kind:     by_value
      - .offset:         1080
        .size:           216
        .value_kind:     by_value
      - .offset:         1296
        .size:           216
        .value_kind:     by_value
      - .offset:         1512
        .size:           4
        .value_kind:     by_value
      - .offset:         1516
        .size:           4
        .value_kind:     by_value
      - .offset:         1520
        .size:           4
        .value_kind:     hidden_block_count_x
      - .offset:         1524
        .size:           4
        .value_kind:     hidden_block_count_y
      - .offset:         1528
        .size:           4
        .value_kind:     hidden_block_count_z
      - .offset:         1532
        .size:           2
        .value_kind:     hidden_group_size_x
      - .offset:         1534
        .size:           2
        .value_kind:     hidden_group_size_y
      - .offset:         1536
        .size:           2
        .value_kind:     hidden_group_size_z
      - .offset:         1538
        .size:           2
        .value_kind:     hidden_remainder_x
      - .offset:         1540
        .size:           2
        .value_kind:     hidden_remainder_y
      - .offset:         1542
        .size:           2
        .value_kind:     hidden_remainder_z
      - .offset:         1560
        .size:           8
        .value_kind:     hidden_global_offset_x
      - .offset:         1568
        .size:           8
        .value_kind:     hidden_global_offset_y
      - .offset:         1576
        .size:           8
        .value_kind:     hidden_global_offset_z
      - .offset:         1584
        .size:           2
        .value_kind:     hidden_grid_dims
    .group_segment_fixed_size: 0
    .kernarg_segment_align: 8
    .kernarg_segment_size: 1776
    .language:       OpenCL C
    .language_version:
      - 2
      - 0
    .max_flat_workgroup_size: 512
    .name:           _ZN2at6native12_GLOBAL__N_16kernel18lstm_cell_backwardIN3c104HalfEfiLi1EEEvNS_4cuda6detail10TensorInfoIT_T1_EESB_SB_SB_SB_SB_SB_SA_SA_
    .private_segment_fixed_size: 0
    .sgpr_count:     39
    .sgpr_spill_count: 0
    .symbol:         _ZN2at6native12_GLOBAL__N_16kernel18lstm_cell_backwardIN3c104HalfEfiLi1EEEvNS_4cuda6detail10TensorInfoIT_T1_EESB_SB_SB_SB_SB_SB_SA_SA_.kd
    .uniform_work_group_size: 1
    .uses_dynamic_stack: false
    .vgpr_count:     25
    .vgpr_spill_count: 0
    .wavefront_size: 32
  - .args:
      - .offset:         0
        .size:           216
        .value_kind:     by_value
      - .offset:         216
        .size:           216
        .value_kind:     by_value
      - .offset:         432
        .size:           216
        .value_kind:     by_value
      - .offset:         648
        .size:           216
        .value_kind:     by_value
      - .offset:         864
        .size:           216
        .value_kind:     by_value
      - .offset:         1080
        .size:           216
        .value_kind:     by_value
      - .offset:         1296
        .size:           216
        .value_kind:     by_value
      - .offset:         1512
        .size:           4
        .value_kind:     by_value
      - .offset:         1516
        .size:           4
        .value_kind:     by_value
      - .offset:         1520
        .size:           4
        .value_kind:     hidden_block_count_x
      - .offset:         1524
        .size:           4
        .value_kind:     hidden_block_count_y
      - .offset:         1528
        .size:           4
        .value_kind:     hidden_block_count_z
      - .offset:         1532
        .size:           2
        .value_kind:     hidden_group_size_x
      - .offset:         1534
        .size:           2
        .value_kind:     hidden_group_size_y
      - .offset:         1536
        .size:           2
        .value_kind:     hidden_group_size_z
      - .offset:         1538
        .size:           2
        .value_kind:     hidden_remainder_x
      - .offset:         1540
        .size:           2
        .value_kind:     hidden_remainder_y
      - .offset:         1542
        .size:           2
        .value_kind:     hidden_remainder_z
      - .offset:         1560
        .size:           8
        .value_kind:     hidden_global_offset_x
      - .offset:         1568
        .size:           8
        .value_kind:     hidden_global_offset_y
      - .offset:         1576
        .size:           8
        .value_kind:     hidden_global_offset_z
      - .offset:         1584
        .size:           2
        .value_kind:     hidden_grid_dims
    .group_segment_fixed_size: 0
    .kernarg_segment_align: 8
    .kernarg_segment_size: 1776
    .language:       OpenCL C
    .language_version:
      - 2
      - 0
    .max_flat_workgroup_size: 512
    .name:           _ZN2at6native12_GLOBAL__N_16kernel18lstm_cell_backwardIN3c104HalfEfiLi2EEEvNS_4cuda6detail10TensorInfoIT_T1_EESB_SB_SB_SB_SB_SB_SA_SA_
    .private_segment_fixed_size: 0
    .sgpr_count:     83
    .sgpr_spill_count: 0
    .symbol:         _ZN2at6native12_GLOBAL__N_16kernel18lstm_cell_backwardIN3c104HalfEfiLi2EEEvNS_4cuda6detail10TensorInfoIT_T1_EESB_SB_SB_SB_SB_SB_SA_SA_.kd
    .uniform_work_group_size: 1
    .uses_dynamic_stack: false
    .vgpr_count:     46
    .vgpr_spill_count: 0
    .wavefront_size: 32
  - .args:
      - .offset:         0
        .size:           416
        .value_kind:     by_value
      - .offset:         416
        .size:           416
        .value_kind:     by_value
      - .offset:         832
        .size:           416
        .value_kind:     by_value
      - .offset:         1248
        .size:           416
        .value_kind:     by_value
      - .offset:         1664
        .size:           416
        .value_kind:     by_value
      - .offset:         2080
        .size:           416
        .value_kind:     by_value
      - .offset:         2496
        .size:           416
        .value_kind:     by_value
      - .offset:         2912
        .size:           8
        .value_kind:     by_value
      - .offset:         2920
        .size:           8
        .value_kind:     by_value
      - .offset:         2928
        .size:           4
        .value_kind:     hidden_block_count_x
      - .offset:         2932
        .size:           4
        .value_kind:     hidden_block_count_y
      - .offset:         2936
        .size:           4
        .value_kind:     hidden_block_count_z
      - .offset:         2940
        .size:           2
        .value_kind:     hidden_group_size_x
      - .offset:         2942
        .size:           2
        .value_kind:     hidden_group_size_y
      - .offset:         2944
        .size:           2
        .value_kind:     hidden_group_size_z
      - .offset:         2946
        .size:           2
        .value_kind:     hidden_remainder_x
      - .offset:         2948
        .size:           2
        .value_kind:     hidden_remainder_y
      - .offset:         2950
        .size:           2
        .value_kind:     hidden_remainder_z
      - .offset:         2968
        .size:           8
        .value_kind:     hidden_global_offset_x
      - .offset:         2976
        .size:           8
        .value_kind:     hidden_global_offset_y
      - .offset:         2984
        .size:           8
        .value_kind:     hidden_global_offset_z
      - .offset:         2992
        .size:           2
        .value_kind:     hidden_grid_dims
    .group_segment_fixed_size: 0
    .kernarg_segment_align: 8
    .kernarg_segment_size: 3184
    .language:       OpenCL C
    .language_version:
      - 2
      - 0
    .max_flat_workgroup_size: 512
    .name:           _ZN2at6native12_GLOBAL__N_16kernel18lstm_cell_backwardIN3c104HalfEflLi1EEEvNS_4cuda6detail10TensorInfoIT_T1_EESB_SB_SB_SB_SB_SB_SA_SA_
    .private_segment_fixed_size: 0
    .sgpr_count:     56
    .sgpr_spill_count: 0
    .symbol:         _ZN2at6native12_GLOBAL__N_16kernel18lstm_cell_backwardIN3c104HalfEflLi1EEEvNS_4cuda6detail10TensorInfoIT_T1_EESB_SB_SB_SB_SB_SB_SA_SA_.kd
    .uniform_work_group_size: 1
    .uses_dynamic_stack: false
    .vgpr_count:     38
    .vgpr_spill_count: 0
    .wavefront_size: 32
  - .args:
      - .offset:         0
        .size:           416
        .value_kind:     by_value
      - .offset:         416
        .size:           416
        .value_kind:     by_value
      - .offset:         832
        .size:           416
        .value_kind:     by_value
      - .offset:         1248
        .size:           416
        .value_kind:     by_value
      - .offset:         1664
        .size:           416
        .value_kind:     by_value
      - .offset:         2080
        .size:           416
        .value_kind:     by_value
      - .offset:         2496
        .size:           416
        .value_kind:     by_value
      - .offset:         2912
        .size:           8
        .value_kind:     by_value
      - .offset:         2920
        .size:           8
        .value_kind:     by_value
      - .offset:         2928
        .size:           4
        .value_kind:     hidden_block_count_x
      - .offset:         2932
        .size:           4
        .value_kind:     hidden_block_count_y
      - .offset:         2936
        .size:           4
        .value_kind:     hidden_block_count_z
      - .offset:         2940
        .size:           2
        .value_kind:     hidden_group_size_x
      - .offset:         2942
        .size:           2
        .value_kind:     hidden_group_size_y
      - .offset:         2944
        .size:           2
        .value_kind:     hidden_group_size_z
      - .offset:         2946
        .size:           2
        .value_kind:     hidden_remainder_x
      - .offset:         2948
        .size:           2
        .value_kind:     hidden_remainder_y
      - .offset:         2950
        .size:           2
        .value_kind:     hidden_remainder_z
      - .offset:         2968
        .size:           8
        .value_kind:     hidden_global_offset_x
      - .offset:         2976
        .size:           8
        .value_kind:     hidden_global_offset_y
      - .offset:         2984
        .size:           8
        .value_kind:     hidden_global_offset_z
      - .offset:         2992
        .size:           2
        .value_kind:     hidden_grid_dims
    .group_segment_fixed_size: 0
    .kernarg_segment_align: 8
    .kernarg_segment_size: 3184
    .language:       OpenCL C
    .language_version:
      - 2
      - 0
    .max_flat_workgroup_size: 512
    .name:           _ZN2at6native12_GLOBAL__N_16kernel18lstm_cell_backwardIN3c104HalfEflLi2EEEvNS_4cuda6detail10TensorInfoIT_T1_EESB_SB_SB_SB_SB_SB_SA_SA_
    .private_segment_fixed_size: 0
    .sgpr_count:     101
    .sgpr_spill_count: 0
    .symbol:         _ZN2at6native12_GLOBAL__N_16kernel18lstm_cell_backwardIN3c104HalfEflLi2EEEvNS_4cuda6detail10TensorInfoIT_T1_EESB_SB_SB_SB_SB_SB_SA_SA_.kd
    .uniform_work_group_size: 1
    .uses_dynamic_stack: false
    .vgpr_count:     46
    .vgpr_spill_count: 0
    .wavefront_size: 32
  - .args:
      - .offset:         0
        .size:           216
        .value_kind:     by_value
      - .offset:         216
        .size:           216
        .value_kind:     by_value
      - .offset:         432
        .size:           216
        .value_kind:     by_value
      - .offset:         648
        .size:           216
        .value_kind:     by_value
      - .offset:         864
        .size:           216
        .value_kind:     by_value
      - .offset:         1080
        .size:           216
        .value_kind:     by_value
      - .offset:         1296
        .size:           216
        .value_kind:     by_value
      - .offset:         1512
        .size:           4
        .value_kind:     by_value
      - .offset:         1516
        .size:           4
        .value_kind:     by_value
      - .offset:         1520
        .size:           4
        .value_kind:     hidden_block_count_x
      - .offset:         1524
        .size:           4
        .value_kind:     hidden_block_count_y
      - .offset:         1528
        .size:           4
        .value_kind:     hidden_block_count_z
      - .offset:         1532
        .size:           2
        .value_kind:     hidden_group_size_x
      - .offset:         1534
        .size:           2
        .value_kind:     hidden_group_size_y
      - .offset:         1536
        .size:           2
        .value_kind:     hidden_group_size_z
      - .offset:         1538
        .size:           2
        .value_kind:     hidden_remainder_x
      - .offset:         1540
        .size:           2
        .value_kind:     hidden_remainder_y
      - .offset:         1542
        .size:           2
        .value_kind:     hidden_remainder_z
      - .offset:         1560
        .size:           8
        .value_kind:     hidden_global_offset_x
      - .offset:         1568
        .size:           8
        .value_kind:     hidden_global_offset_y
      - .offset:         1576
        .size:           8
        .value_kind:     hidden_global_offset_z
      - .offset:         1584
        .size:           2
        .value_kind:     hidden_grid_dims
    .group_segment_fixed_size: 0
    .kernarg_segment_align: 8
    .kernarg_segment_size: 1776
    .language:       OpenCL C
    .language_version:
      - 2
      - 0
    .max_flat_workgroup_size: 512
    .name:           _ZN2at6native12_GLOBAL__N_16kernel18lstm_cell_backwardIN3c108BFloat16EfiLi1EEEvNS_4cuda6detail10TensorInfoIT_T1_EESB_SB_SB_SB_SB_SB_SA_SA_
    .private_segment_fixed_size: 0
    .sgpr_count:     38
    .sgpr_spill_count: 0
    .symbol:         _ZN2at6native12_GLOBAL__N_16kernel18lstm_cell_backwardIN3c108BFloat16EfiLi1EEEvNS_4cuda6detail10TensorInfoIT_T1_EESB_SB_SB_SB_SB_SB_SA_SA_.kd
    .uniform_work_group_size: 1
    .uses_dynamic_stack: false
    .vgpr_count:     24
    .vgpr_spill_count: 0
    .wavefront_size: 32
  - .args:
      - .offset:         0
        .size:           216
        .value_kind:     by_value
      - .offset:         216
        .size:           216
        .value_kind:     by_value
      - .offset:         432
        .size:           216
        .value_kind:     by_value
      - .offset:         648
        .size:           216
        .value_kind:     by_value
      - .offset:         864
        .size:           216
        .value_kind:     by_value
      - .offset:         1080
        .size:           216
        .value_kind:     by_value
      - .offset:         1296
        .size:           216
        .value_kind:     by_value
      - .offset:         1512
        .size:           4
        .value_kind:     by_value
      - .offset:         1516
        .size:           4
        .value_kind:     by_value
      - .offset:         1520
        .size:           4
        .value_kind:     hidden_block_count_x
      - .offset:         1524
        .size:           4
        .value_kind:     hidden_block_count_y
      - .offset:         1528
        .size:           4
        .value_kind:     hidden_block_count_z
      - .offset:         1532
        .size:           2
        .value_kind:     hidden_group_size_x
      - .offset:         1534
        .size:           2
        .value_kind:     hidden_group_size_y
      - .offset:         1536
        .size:           2
        .value_kind:     hidden_group_size_z
      - .offset:         1538
        .size:           2
        .value_kind:     hidden_remainder_x
      - .offset:         1540
        .size:           2
        .value_kind:     hidden_remainder_y
      - .offset:         1542
        .size:           2
        .value_kind:     hidden_remainder_z
      - .offset:         1560
        .size:           8
        .value_kind:     hidden_global_offset_x
      - .offset:         1568
        .size:           8
        .value_kind:     hidden_global_offset_y
      - .offset:         1576
        .size:           8
        .value_kind:     hidden_global_offset_z
      - .offset:         1584
        .size:           2
        .value_kind:     hidden_grid_dims
    .group_segment_fixed_size: 0
    .kernarg_segment_align: 8
    .kernarg_segment_size: 1776
    .language:       OpenCL C
    .language_version:
      - 2
      - 0
    .max_flat_workgroup_size: 512
    .name:           _ZN2at6native12_GLOBAL__N_16kernel18lstm_cell_backwardIN3c108BFloat16EfiLi2EEEvNS_4cuda6detail10TensorInfoIT_T1_EESB_SB_SB_SB_SB_SB_SA_SA_
    .private_segment_fixed_size: 0
    .sgpr_count:     82
    .sgpr_spill_count: 0
    .symbol:         _ZN2at6native12_GLOBAL__N_16kernel18lstm_cell_backwardIN3c108BFloat16EfiLi2EEEvNS_4cuda6detail10TensorInfoIT_T1_EESB_SB_SB_SB_SB_SB_SA_SA_.kd
    .uniform_work_group_size: 1
    .uses_dynamic_stack: false
    .vgpr_count:     42
    .vgpr_spill_count: 0
    .wavefront_size: 32
  - .args:
      - .offset:         0
        .size:           416
        .value_kind:     by_value
      - .offset:         416
        .size:           416
        .value_kind:     by_value
      - .offset:         832
        .size:           416
        .value_kind:     by_value
      - .offset:         1248
        .size:           416
        .value_kind:     by_value
      - .offset:         1664
        .size:           416
        .value_kind:     by_value
      - .offset:         2080
        .size:           416
        .value_kind:     by_value
      - .offset:         2496
        .size:           416
        .value_kind:     by_value
      - .offset:         2912
        .size:           8
        .value_kind:     by_value
      - .offset:         2920
        .size:           8
        .value_kind:     by_value
      - .offset:         2928
        .size:           4
        .value_kind:     hidden_block_count_x
      - .offset:         2932
        .size:           4
        .value_kind:     hidden_block_count_y
      - .offset:         2936
        .size:           4
        .value_kind:     hidden_block_count_z
      - .offset:         2940
        .size:           2
        .value_kind:     hidden_group_size_x
      - .offset:         2942
        .size:           2
        .value_kind:     hidden_group_size_y
      - .offset:         2944
        .size:           2
        .value_kind:     hidden_group_size_z
      - .offset:         2946
        .size:           2
        .value_kind:     hidden_remainder_x
      - .offset:         2948
        .size:           2
        .value_kind:     hidden_remainder_y
      - .offset:         2950
        .size:           2
        .value_kind:     hidden_remainder_z
      - .offset:         2968
        .size:           8
        .value_kind:     hidden_global_offset_x
      - .offset:         2976
        .size:           8
        .value_kind:     hidden_global_offset_y
      - .offset:         2984
        .size:           8
        .value_kind:     hidden_global_offset_z
      - .offset:         2992
        .size:           2
        .value_kind:     hidden_grid_dims
    .group_segment_fixed_size: 0
    .kernarg_segment_align: 8
    .kernarg_segment_size: 3184
    .language:       OpenCL C
    .language_version:
      - 2
      - 0
    .max_flat_workgroup_size: 512
    .name:           _ZN2at6native12_GLOBAL__N_16kernel18lstm_cell_backwardIN3c108BFloat16EflLi1EEEvNS_4cuda6detail10TensorInfoIT_T1_EESB_SB_SB_SB_SB_SB_SA_SA_
    .private_segment_fixed_size: 0
    .sgpr_count:     53
    .sgpr_spill_count: 0
    .symbol:         _ZN2at6native12_GLOBAL__N_16kernel18lstm_cell_backwardIN3c108BFloat16EflLi1EEEvNS_4cuda6detail10TensorInfoIT_T1_EESB_SB_SB_SB_SB_SB_SA_SA_.kd
    .uniform_work_group_size: 1
    .uses_dynamic_stack: false
    .vgpr_count:     38
    .vgpr_spill_count: 0
    .wavefront_size: 32
  - .args:
      - .offset:         0
        .size:           416
        .value_kind:     by_value
      - .offset:         416
        .size:           416
        .value_kind:     by_value
      - .offset:         832
        .size:           416
        .value_kind:     by_value
      - .offset:         1248
        .size:           416
        .value_kind:     by_value
      - .offset:         1664
        .size:           416
        .value_kind:     by_value
      - .offset:         2080
        .size:           416
        .value_kind:     by_value
      - .offset:         2496
        .size:           416
        .value_kind:     by_value
      - .offset:         2912
        .size:           8
        .value_kind:     by_value
      - .offset:         2920
        .size:           8
        .value_kind:     by_value
      - .offset:         2928
        .size:           4
        .value_kind:     hidden_block_count_x
      - .offset:         2932
        .size:           4
        .value_kind:     hidden_block_count_y
      - .offset:         2936
        .size:           4
        .value_kind:     hidden_block_count_z
      - .offset:         2940
        .size:           2
        .value_kind:     hidden_group_size_x
      - .offset:         2942
        .size:           2
        .value_kind:     hidden_group_size_y
      - .offset:         2944
        .size:           2
        .value_kind:     hidden_group_size_z
      - .offset:         2946
        .size:           2
        .value_kind:     hidden_remainder_x
      - .offset:         2948
        .size:           2
        .value_kind:     hidden_remainder_y
      - .offset:         2950
        .size:           2
        .value_kind:     hidden_remainder_z
      - .offset:         2968
        .size:           8
        .value_kind:     hidden_global_offset_x
      - .offset:         2976
        .size:           8
        .value_kind:     hidden_global_offset_y
      - .offset:         2984
        .size:           8
        .value_kind:     hidden_global_offset_z
      - .offset:         2992
        .size:           2
        .value_kind:     hidden_grid_dims
    .group_segment_fixed_size: 0
    .kernarg_segment_align: 8
    .kernarg_segment_size: 3184
    .language:       OpenCL C
    .language_version:
      - 2
      - 0
    .max_flat_workgroup_size: 512
    .name:           _ZN2at6native12_GLOBAL__N_16kernel18lstm_cell_backwardIN3c108BFloat16EflLi2EEEvNS_4cuda6detail10TensorInfoIT_T1_EESB_SB_SB_SB_SB_SB_SA_SA_
    .private_segment_fixed_size: 0
    .sgpr_count:     100
    .sgpr_spill_count: 0
    .symbol:         _ZN2at6native12_GLOBAL__N_16kernel18lstm_cell_backwardIN3c108BFloat16EflLi2EEEvNS_4cuda6detail10TensorInfoIT_T1_EESB_SB_SB_SB_SB_SB_SA_SA_.kd
    .uniform_work_group_size: 1
    .uses_dynamic_stack: false
    .vgpr_count:     46
    .vgpr_spill_count: 0
    .wavefront_size: 32
  - .args:
      - .offset:         0
        .size:           216
        .value_kind:     by_value
      - .offset:         216
        .size:           216
        .value_kind:     by_value
      - .offset:         432
        .size:           216
        .value_kind:     by_value
      - .offset:         648
        .size:           216
        .value_kind:     by_value
      - .offset:         864
        .size:           216
        .value_kind:     by_value
      - .offset:         1080
        .size:           216
        .value_kind:     by_value
      - .offset:         1296
        .size:           216
        .value_kind:     by_value
      - .offset:         1512
        .size:           4
        .value_kind:     by_value
      - .offset:         1516
        .size:           4
        .value_kind:     by_value
      - .offset:         1520
        .size:           4
        .value_kind:     hidden_block_count_x
      - .offset:         1524
        .size:           4
        .value_kind:     hidden_block_count_y
      - .offset:         1528
        .size:           4
        .value_kind:     hidden_block_count_z
      - .offset:         1532
        .size:           2
        .value_kind:     hidden_group_size_x
      - .offset:         1534
        .size:           2
        .value_kind:     hidden_group_size_y
      - .offset:         1536
        .size:           2
        .value_kind:     hidden_group_size_z
      - .offset:         1538
        .size:           2
        .value_kind:     hidden_remainder_x
      - .offset:         1540
        .size:           2
        .value_kind:     hidden_remainder_y
      - .offset:         1542
        .size:           2
        .value_kind:     hidden_remainder_z
      - .offset:         1560
        .size:           8
        .value_kind:     hidden_global_offset_x
      - .offset:         1568
        .size:           8
        .value_kind:     hidden_global_offset_y
      - .offset:         1576
        .size:           8
        .value_kind:     hidden_global_offset_z
      - .offset:         1584
        .size:           2
        .value_kind:     hidden_grid_dims
    .group_segment_fixed_size: 0
    .kernarg_segment_align: 8
    .kernarg_segment_size: 1776
    .language:       OpenCL C
    .language_version:
      - 2
      - 0
    .max_flat_workgroup_size: 512
    .name:           _ZN2at6native12_GLOBAL__N_16kernel16gru_cell_forwardIddiLi1EEEvNS_4cuda6detail10TensorInfoIT_T1_EES9_S9_S9_S9_S9_S9_S8_S8_
    .private_segment_fixed_size: 0
    .sgpr_count:     43
    .sgpr_spill_count: 0
    .symbol:         _ZN2at6native12_GLOBAL__N_16kernel16gru_cell_forwardIddiLi1EEEvNS_4cuda6detail10TensorInfoIT_T1_EES9_S9_S9_S9_S9_S9_S8_S8_.kd
    .uniform_work_group_size: 1
    .uses_dynamic_stack: false
    .vgpr_count:     48
    .vgpr_spill_count: 0
    .wavefront_size: 32
  - .args:
      - .offset:         0
        .size:           216
        .value_kind:     by_value
      - .offset:         216
        .size:           216
        .value_kind:     by_value
      - .offset:         432
        .size:           216
        .value_kind:     by_value
      - .offset:         648
        .size:           216
        .value_kind:     by_value
      - .offset:         864
        .size:           216
        .value_kind:     by_value
      - .offset:         1080
        .size:           216
        .value_kind:     by_value
      - .offset:         1296
        .size:           216
        .value_kind:     by_value
      - .offset:         1512
        .size:           4
        .value_kind:     by_value
      - .offset:         1516
        .size:           4
        .value_kind:     by_value
      - .offset:         1520
        .size:           4
        .value_kind:     hidden_block_count_x
      - .offset:         1524
        .size:           4
        .value_kind:     hidden_block_count_y
      - .offset:         1528
        .size:           4
        .value_kind:     hidden_block_count_z
      - .offset:         1532
        .size:           2
        .value_kind:     hidden_group_size_x
      - .offset:         1534
        .size:           2
        .value_kind:     hidden_group_size_y
      - .offset:         1536
        .size:           2
        .value_kind:     hidden_group_size_z
      - .offset:         1538
        .size:           2
        .value_kind:     hidden_remainder_x
      - .offset:         1540
        .size:           2
        .value_kind:     hidden_remainder_y
      - .offset:         1542
        .size:           2
        .value_kind:     hidden_remainder_z
      - .offset:         1560
        .size:           8
        .value_kind:     hidden_global_offset_x
      - .offset:         1568
        .size:           8
        .value_kind:     hidden_global_offset_y
      - .offset:         1576
        .size:           8
        .value_kind:     hidden_global_offset_z
      - .offset:         1584
        .size:           2
        .value_kind:     hidden_grid_dims
    .group_segment_fixed_size: 0
    .kernarg_segment_align: 8
    .kernarg_segment_size: 1776
    .language:       OpenCL C
    .language_version:
      - 2
      - 0
    .max_flat_workgroup_size: 512
    .name:           _ZN2at6native12_GLOBAL__N_16kernel16gru_cell_forwardIddiLi2EEEvNS_4cuda6detail10TensorInfoIT_T1_EES9_S9_S9_S9_S9_S9_S8_S8_
    .private_segment_fixed_size: 0
    .sgpr_count:     75
    .sgpr_spill_count: 0
    .symbol:         _ZN2at6native12_GLOBAL__N_16kernel16gru_cell_forwardIddiLi2EEEvNS_4cuda6detail10TensorInfoIT_T1_EES9_S9_S9_S9_S9_S9_S8_S8_.kd
    .uniform_work_group_size: 1
    .uses_dynamic_stack: false
    .vgpr_count:     52
    .vgpr_spill_count: 0
    .wavefront_size: 32
  - .args:
      - .offset:         0
        .size:           416
        .value_kind:     by_value
      - .offset:         416
        .size:           416
        .value_kind:     by_value
      - .offset:         832
        .size:           416
        .value_kind:     by_value
      - .offset:         1248
        .size:           416
        .value_kind:     by_value
      - .offset:         1664
        .size:           416
        .value_kind:     by_value
      - .offset:         2080
        .size:           416
        .value_kind:     by_value
      - .offset:         2496
        .size:           416
        .value_kind:     by_value
      - .offset:         2912
        .size:           8
        .value_kind:     by_value
      - .offset:         2920
        .size:           8
        .value_kind:     by_value
      - .offset:         2928
        .size:           4
        .value_kind:     hidden_block_count_x
      - .offset:         2932
        .size:           4
        .value_kind:     hidden_block_count_y
      - .offset:         2936
        .size:           4
        .value_kind:     hidden_block_count_z
      - .offset:         2940
        .size:           2
        .value_kind:     hidden_group_size_x
      - .offset:         2942
        .size:           2
        .value_kind:     hidden_group_size_y
      - .offset:         2944
        .size:           2
        .value_kind:     hidden_group_size_z
      - .offset:         2946
        .size:           2
        .value_kind:     hidden_remainder_x
      - .offset:         2948
        .size:           2
        .value_kind:     hidden_remainder_y
      - .offset:         2950
        .size:           2
        .value_kind:     hidden_remainder_z
      - .offset:         2968
        .size:           8
        .value_kind:     hidden_global_offset_x
      - .offset:         2976
        .size:           8
        .value_kind:     hidden_global_offset_y
      - .offset:         2984
        .size:           8
        .value_kind:     hidden_global_offset_z
      - .offset:         2992
        .size:           2
        .value_kind:     hidden_grid_dims
    .group_segment_fixed_size: 0
    .kernarg_segment_align: 8
    .kernarg_segment_size: 3184
    .language:       OpenCL C
    .language_version:
      - 2
      - 0
    .max_flat_workgroup_size: 512
    .name:           _ZN2at6native12_GLOBAL__N_16kernel16gru_cell_forwardIddlLi1EEEvNS_4cuda6detail10TensorInfoIT_T1_EES9_S9_S9_S9_S9_S9_S8_S8_
    .private_segment_fixed_size: 0
    .sgpr_count:     66
    .sgpr_spill_count: 0
    .symbol:         _ZN2at6native12_GLOBAL__N_16kernel16gru_cell_forwardIddlLi1EEEvNS_4cuda6detail10TensorInfoIT_T1_EES9_S9_S9_S9_S9_S9_S8_S8_.kd
    .uniform_work_group_size: 1
    .uses_dynamic_stack: false
    .vgpr_count:     50
    .vgpr_spill_count: 0
    .wavefront_size: 32
  - .args:
      - .offset:         0
        .size:           416
        .value_kind:     by_value
      - .offset:         416
        .size:           416
        .value_kind:     by_value
      - .offset:         832
        .size:           416
        .value_kind:     by_value
      - .offset:         1248
        .size:           416
        .value_kind:     by_value
      - .offset:         1664
        .size:           416
        .value_kind:     by_value
      - .offset:         2080
        .size:           416
        .value_kind:     by_value
      - .offset:         2496
        .size:           416
        .value_kind:     by_value
      - .offset:         2912
        .size:           8
        .value_kind:     by_value
      - .offset:         2920
        .size:           8
        .value_kind:     by_value
      - .offset:         2928
        .size:           4
        .value_kind:     hidden_block_count_x
      - .offset:         2932
        .size:           4
        .value_kind:     hidden_block_count_y
      - .offset:         2936
        .size:           4
        .value_kind:     hidden_block_count_z
      - .offset:         2940
        .size:           2
        .value_kind:     hidden_group_size_x
      - .offset:         2942
        .size:           2
        .value_kind:     hidden_group_size_y
      - .offset:         2944
        .size:           2
        .value_kind:     hidden_group_size_z
      - .offset:         2946
        .size:           2
        .value_kind:     hidden_remainder_x
      - .offset:         2948
        .size:           2
        .value_kind:     hidden_remainder_y
      - .offset:         2950
        .size:           2
        .value_kind:     hidden_remainder_z
      - .offset:         2968
        .size:           8
        .value_kind:     hidden_global_offset_x
      - .offset:         2976
        .size:           8
        .value_kind:     hidden_global_offset_y
      - .offset:         2984
        .size:           8
        .value_kind:     hidden_global_offset_z
      - .offset:         2992
        .size:           2
        .value_kind:     hidden_grid_dims
    .group_segment_fixed_size: 0
    .kernarg_segment_align: 8
    .kernarg_segment_size: 3184
    .language:       OpenCL C
    .language_version:
      - 2
      - 0
    .max_flat_workgroup_size: 512
    .name:           _ZN2at6native12_GLOBAL__N_16kernel16gru_cell_forwardIddlLi2EEEvNS_4cuda6detail10TensorInfoIT_T1_EES9_S9_S9_S9_S9_S9_S8_S8_
    .private_segment_fixed_size: 0
    .sgpr_count:     94
    .sgpr_spill_count: 0
    .symbol:         _ZN2at6native12_GLOBAL__N_16kernel16gru_cell_forwardIddlLi2EEEvNS_4cuda6detail10TensorInfoIT_T1_EES9_S9_S9_S9_S9_S9_S8_S8_.kd
    .uniform_work_group_size: 1
    .uses_dynamic_stack: false
    .vgpr_count:     48
    .vgpr_spill_count: 0
    .wavefront_size: 32
  - .args:
      - .offset:         0
        .size:           216
        .value_kind:     by_value
      - .offset:         216
        .size:           216
        .value_kind:     by_value
      - .offset:         432
        .size:           216
        .value_kind:     by_value
      - .offset:         648
        .size:           216
        .value_kind:     by_value
      - .offset:         864
        .size:           216
        .value_kind:     by_value
      - .offset:         1080
        .size:           216
        .value_kind:     by_value
      - .offset:         1296
        .size:           216
        .value_kind:     by_value
      - .offset:         1512
        .size:           4
        .value_kind:     by_value
      - .offset:         1516
        .size:           4
        .value_kind:     by_value
      - .offset:         1520
        .size:           4
        .value_kind:     hidden_block_count_x
      - .offset:         1524
        .size:           4
        .value_kind:     hidden_block_count_y
      - .offset:         1528
        .size:           4
        .value_kind:     hidden_block_count_z
      - .offset:         1532
        .size:           2
        .value_kind:     hidden_group_size_x
      - .offset:         1534
        .size:           2
        .value_kind:     hidden_group_size_y
      - .offset:         1536
        .size:           2
        .value_kind:     hidden_group_size_z
      - .offset:         1538
        .size:           2
        .value_kind:     hidden_remainder_x
      - .offset:         1540
        .size:           2
        .value_kind:     hidden_remainder_y
      - .offset:         1542
        .size:           2
        .value_kind:     hidden_remainder_z
      - .offset:         1560
        .size:           8
        .value_kind:     hidden_global_offset_x
      - .offset:         1568
        .size:           8
        .value_kind:     hidden_global_offset_y
      - .offset:         1576
        .size:           8
        .value_kind:     hidden_global_offset_z
      - .offset:         1584
        .size:           2
        .value_kind:     hidden_grid_dims
    .group_segment_fixed_size: 0
    .kernarg_segment_align: 8
    .kernarg_segment_size: 1776
    .language:       OpenCL C
    .language_version:
      - 2
      - 0
    .max_flat_workgroup_size: 512
    .name:           _ZN2at6native12_GLOBAL__N_16kernel16gru_cell_forwardIffiLi1EEEvNS_4cuda6detail10TensorInfoIT_T1_EES9_S9_S9_S9_S9_S9_S8_S8_
    .private_segment_fixed_size: 0
    .sgpr_count:     39
    .sgpr_spill_count: 0
    .symbol:         _ZN2at6native12_GLOBAL__N_16kernel16gru_cell_forwardIffiLi1EEEvNS_4cuda6detail10TensorInfoIT_T1_EES9_S9_S9_S9_S9_S9_S8_S8_.kd
    .uniform_work_group_size: 1
    .uses_dynamic_stack: false
    .vgpr_count:     26
    .vgpr_spill_count: 0
    .wavefront_size: 32
  - .args:
      - .offset:         0
        .size:           216
        .value_kind:     by_value
      - .offset:         216
        .size:           216
        .value_kind:     by_value
      - .offset:         432
        .size:           216
        .value_kind:     by_value
      - .offset:         648
        .size:           216
        .value_kind:     by_value
      - .offset:         864
        .size:           216
        .value_kind:     by_value
      - .offset:         1080
        .size:           216
        .value_kind:     by_value
      - .offset:         1296
        .size:           216
        .value_kind:     by_value
      - .offset:         1512
        .size:           4
        .value_kind:     by_value
      - .offset:         1516
        .size:           4
        .value_kind:     by_value
      - .offset:         1520
        .size:           4
        .value_kind:     hidden_block_count_x
      - .offset:         1524
        .size:           4
        .value_kind:     hidden_block_count_y
      - .offset:         1528
        .size:           4
        .value_kind:     hidden_block_count_z
      - .offset:         1532
        .size:           2
        .value_kind:     hidden_group_size_x
      - .offset:         1534
        .size:           2
        .value_kind:     hidden_group_size_y
      - .offset:         1536
        .size:           2
        .value_kind:     hidden_group_size_z
      - .offset:         1538
        .size:           2
        .value_kind:     hidden_remainder_x
      - .offset:         1540
        .size:           2
        .value_kind:     hidden_remainder_y
      - .offset:         1542
        .size:           2
        .value_kind:     hidden_remainder_z
      - .offset:         1560
        .size:           8
        .value_kind:     hidden_global_offset_x
      - .offset:         1568
        .size:           8
        .value_kind:     hidden_global_offset_y
      - .offset:         1576
        .size:           8
        .value_kind:     hidden_global_offset_z
      - .offset:         1584
        .size:           2
        .value_kind:     hidden_grid_dims
    .group_segment_fixed_size: 0
    .kernarg_segment_align: 8
    .kernarg_segment_size: 1776
    .language:       OpenCL C
    .language_version:
      - 2
      - 0
    .max_flat_workgroup_size: 512
    .name:           _ZN2at6native12_GLOBAL__N_16kernel16gru_cell_forwardIffiLi2EEEvNS_4cuda6detail10TensorInfoIT_T1_EES9_S9_S9_S9_S9_S9_S8_S8_
    .private_segment_fixed_size: 0
    .sgpr_count:     70
    .sgpr_spill_count: 0
    .symbol:         _ZN2at6native12_GLOBAL__N_16kernel16gru_cell_forwardIffiLi2EEEvNS_4cuda6detail10TensorInfoIT_T1_EES9_S9_S9_S9_S9_S9_S8_S8_.kd
    .uniform_work_group_size: 1
    .uses_dynamic_stack: false
    .vgpr_count:     39
    .vgpr_spill_count: 0
    .wavefront_size: 32
  - .args:
      - .offset:         0
        .size:           416
        .value_kind:     by_value
      - .offset:         416
        .size:           416
        .value_kind:     by_value
      - .offset:         832
        .size:           416
        .value_kind:     by_value
      - .offset:         1248
        .size:           416
        .value_kind:     by_value
      - .offset:         1664
        .size:           416
        .value_kind:     by_value
      - .offset:         2080
        .size:           416
        .value_kind:     by_value
      - .offset:         2496
        .size:           416
        .value_kind:     by_value
      - .offset:         2912
        .size:           8
        .value_kind:     by_value
      - .offset:         2920
        .size:           8
        .value_kind:     by_value
      - .offset:         2928
        .size:           4
        .value_kind:     hidden_block_count_x
      - .offset:         2932
        .size:           4
        .value_kind:     hidden_block_count_y
      - .offset:         2936
        .size:           4
        .value_kind:     hidden_block_count_z
      - .offset:         2940
        .size:           2
        .value_kind:     hidden_group_size_x
      - .offset:         2942
        .size:           2
        .value_kind:     hidden_group_size_y
      - .offset:         2944
        .size:           2
        .value_kind:     hidden_group_size_z
      - .offset:         2946
        .size:           2
        .value_kind:     hidden_remainder_x
      - .offset:         2948
        .size:           2
        .value_kind:     hidden_remainder_y
      - .offset:         2950
        .size:           2
        .value_kind:     hidden_remainder_z
      - .offset:         2968
        .size:           8
        .value_kind:     hidden_global_offset_x
      - .offset:         2976
        .size:           8
        .value_kind:     hidden_global_offset_y
      - .offset:         2984
        .size:           8
        .value_kind:     hidden_global_offset_z
      - .offset:         2992
        .size:           2
        .value_kind:     hidden_grid_dims
    .group_segment_fixed_size: 0
    .kernarg_segment_align: 8
    .kernarg_segment_size: 3184
    .language:       OpenCL C
    .language_version:
      - 2
      - 0
    .max_flat_workgroup_size: 512
    .name:           _ZN2at6native12_GLOBAL__N_16kernel16gru_cell_forwardIfflLi1EEEvNS_4cuda6detail10TensorInfoIT_T1_EES9_S9_S9_S9_S9_S9_S8_S8_
    .private_segment_fixed_size: 0
    .sgpr_count:     61
    .sgpr_spill_count: 0
    .symbol:         _ZN2at6native12_GLOBAL__N_16kernel16gru_cell_forwardIfflLi1EEEvNS_4cuda6detail10TensorInfoIT_T1_EES9_S9_S9_S9_S9_S9_S8_S8_.kd
    .uniform_work_group_size: 1
    .uses_dynamic_stack: false
    .vgpr_count:     36
    .vgpr_spill_count: 0
    .wavefront_size: 32
  - .args:
      - .offset:         0
        .size:           416
        .value_kind:     by_value
      - .offset:         416
        .size:           416
        .value_kind:     by_value
      - .offset:         832
        .size:           416
        .value_kind:     by_value
      - .offset:         1248
        .size:           416
        .value_kind:     by_value
      - .offset:         1664
        .size:           416
        .value_kind:     by_value
      - .offset:         2080
        .size:           416
        .value_kind:     by_value
      - .offset:         2496
        .size:           416
        .value_kind:     by_value
      - .offset:         2912
        .size:           8
        .value_kind:     by_value
      - .offset:         2920
        .size:           8
        .value_kind:     by_value
      - .offset:         2928
        .size:           4
        .value_kind:     hidden_block_count_x
      - .offset:         2932
        .size:           4
        .value_kind:     hidden_block_count_y
      - .offset:         2936
        .size:           4
        .value_kind:     hidden_block_count_z
      - .offset:         2940
        .size:           2
        .value_kind:     hidden_group_size_x
      - .offset:         2942
        .size:           2
        .value_kind:     hidden_group_size_y
      - .offset:         2944
        .size:           2
        .value_kind:     hidden_group_size_z
      - .offset:         2946
        .size:           2
        .value_kind:     hidden_remainder_x
      - .offset:         2948
        .size:           2
        .value_kind:     hidden_remainder_y
      - .offset:         2950
        .size:           2
        .value_kind:     hidden_remainder_z
      - .offset:         2968
        .size:           8
        .value_kind:     hidden_global_offset_x
      - .offset:         2976
        .size:           8
        .value_kind:     hidden_global_offset_y
      - .offset:         2984
        .size:           8
        .value_kind:     hidden_global_offset_z
      - .offset:         2992
        .size:           2
        .value_kind:     hidden_grid_dims
    .group_segment_fixed_size: 0
    .kernarg_segment_align: 8
    .kernarg_segment_size: 3184
    .language:       OpenCL C
    .language_version:
      - 2
      - 0
    .max_flat_workgroup_size: 512
    .name:           _ZN2at6native12_GLOBAL__N_16kernel16gru_cell_forwardIfflLi2EEEvNS_4cuda6detail10TensorInfoIT_T1_EES9_S9_S9_S9_S9_S9_S8_S8_
    .private_segment_fixed_size: 0
    .sgpr_count:     90
    .sgpr_spill_count: 0
    .symbol:         _ZN2at6native12_GLOBAL__N_16kernel16gru_cell_forwardIfflLi2EEEvNS_4cuda6detail10TensorInfoIT_T1_EES9_S9_S9_S9_S9_S9_S8_S8_.kd
    .uniform_work_group_size: 1
    .uses_dynamic_stack: false
    .vgpr_count:     42
    .vgpr_spill_count: 0
    .wavefront_size: 32
  - .args:
      - .offset:         0
        .size:           216
        .value_kind:     by_value
      - .offset:         216
        .size:           216
        .value_kind:     by_value
      - .offset:         432
        .size:           216
        .value_kind:     by_value
      - .offset:         648
        .size:           216
        .value_kind:     by_value
      - .offset:         864
        .size:           216
        .value_kind:     by_value
      - .offset:         1080
        .size:           216
        .value_kind:     by_value
      - .offset:         1296
        .size:           216
        .value_kind:     by_value
      - .offset:         1512
        .size:           4
        .value_kind:     by_value
      - .offset:         1516
        .size:           4
        .value_kind:     by_value
      - .offset:         1520
        .size:           4
        .value_kind:     hidden_block_count_x
      - .offset:         1524
        .size:           4
        .value_kind:     hidden_block_count_y
      - .offset:         1528
        .size:           4
        .value_kind:     hidden_block_count_z
      - .offset:         1532
        .size:           2
        .value_kind:     hidden_group_size_x
      - .offset:         1534
        .size:           2
        .value_kind:     hidden_group_size_y
      - .offset:         1536
        .size:           2
        .value_kind:     hidden_group_size_z
      - .offset:         1538
        .size:           2
        .value_kind:     hidden_remainder_x
      - .offset:         1540
        .size:           2
        .value_kind:     hidden_remainder_y
      - .offset:         1542
        .size:           2
        .value_kind:     hidden_remainder_z
      - .offset:         1560
        .size:           8
        .value_kind:     hidden_global_offset_x
      - .offset:         1568
        .size:           8
        .value_kind:     hidden_global_offset_y
      - .offset:         1576
        .size:           8
        .value_kind:     hidden_global_offset_z
      - .offset:         1584
        .size:           2
        .value_kind:     hidden_grid_dims
    .group_segment_fixed_size: 0
    .kernarg_segment_align: 8
    .kernarg_segment_size: 1776
    .language:       OpenCL C
    .language_version:
      - 2
      - 0
    .max_flat_workgroup_size: 512
    .name:           _ZN2at6native12_GLOBAL__N_16kernel16gru_cell_forwardIN3c104HalfEfiLi1EEEvNS_4cuda6detail10TensorInfoIT_T1_EESB_SB_SB_SB_SB_SB_SA_SA_
    .private_segment_fixed_size: 0
    .sgpr_count:     39
    .sgpr_spill_count: 0
    .symbol:         _ZN2at6native12_GLOBAL__N_16kernel16gru_cell_forwardIN3c104HalfEfiLi1EEEvNS_4cuda6detail10TensorInfoIT_T1_EESB_SB_SB_SB_SB_SB_SA_SA_.kd
    .uniform_work_group_size: 1
    .uses_dynamic_stack: false
    .vgpr_count:     26
    .vgpr_spill_count: 0
    .wavefront_size: 32
  - .args:
      - .offset:         0
        .size:           216
        .value_kind:     by_value
      - .offset:         216
        .size:           216
        .value_kind:     by_value
      - .offset:         432
        .size:           216
        .value_kind:     by_value
      - .offset:         648
        .size:           216
        .value_kind:     by_value
      - .offset:         864
        .size:           216
        .value_kind:     by_value
      - .offset:         1080
        .size:           216
        .value_kind:     by_value
      - .offset:         1296
        .size:           216
        .value_kind:     by_value
      - .offset:         1512
        .size:           4
        .value_kind:     by_value
      - .offset:         1516
        .size:           4
        .value_kind:     by_value
      - .offset:         1520
        .size:           4
        .value_kind:     hidden_block_count_x
      - .offset:         1524
        .size:           4
        .value_kind:     hidden_block_count_y
      - .offset:         1528
        .size:           4
        .value_kind:     hidden_block_count_z
      - .offset:         1532
        .size:           2
        .value_kind:     hidden_group_size_x
      - .offset:         1534
        .size:           2
        .value_kind:     hidden_group_size_y
      - .offset:         1536
        .size:           2
        .value_kind:     hidden_group_size_z
      - .offset:         1538
        .size:           2
        .value_kind:     hidden_remainder_x
      - .offset:         1540
        .size:           2
        .value_kind:     hidden_remainder_y
      - .offset:         1542
        .size:           2
        .value_kind:     hidden_remainder_z
      - .offset:         1560
        .size:           8
        .value_kind:     hidden_global_offset_x
      - .offset:         1568
        .size:           8
        .value_kind:     hidden_global_offset_y
      - .offset:         1576
        .size:           8
        .value_kind:     hidden_global_offset_z
      - .offset:         1584
        .size:           2
        .value_kind:     hidden_grid_dims
    .group_segment_fixed_size: 0
    .kernarg_segment_align: 8
    .kernarg_segment_size: 1776
    .language:       OpenCL C
    .language_version:
      - 2
      - 0
    .max_flat_workgroup_size: 512
    .name:           _ZN2at6native12_GLOBAL__N_16kernel16gru_cell_forwardIN3c104HalfEfiLi2EEEvNS_4cuda6detail10TensorInfoIT_T1_EESB_SB_SB_SB_SB_SB_SA_SA_
    .private_segment_fixed_size: 0
    .sgpr_count:     70
    .sgpr_spill_count: 0
    .symbol:         _ZN2at6native12_GLOBAL__N_16kernel16gru_cell_forwardIN3c104HalfEfiLi2EEEvNS_4cuda6detail10TensorInfoIT_T1_EESB_SB_SB_SB_SB_SB_SA_SA_.kd
    .uniform_work_group_size: 1
    .uses_dynamic_stack: false
    .vgpr_count:     39
    .vgpr_spill_count: 0
    .wavefront_size: 32
  - .args:
      - .offset:         0
        .size:           416
        .value_kind:     by_value
      - .offset:         416
        .size:           416
        .value_kind:     by_value
      - .offset:         832
        .size:           416
        .value_kind:     by_value
      - .offset:         1248
        .size:           416
        .value_kind:     by_value
      - .offset:         1664
        .size:           416
        .value_kind:     by_value
      - .offset:         2080
        .size:           416
        .value_kind:     by_value
      - .offset:         2496
        .size:           416
        .value_kind:     by_value
      - .offset:         2912
        .size:           8
        .value_kind:     by_value
      - .offset:         2920
        .size:           8
        .value_kind:     by_value
      - .offset:         2928
        .size:           4
        .value_kind:     hidden_block_count_x
      - .offset:         2932
        .size:           4
        .value_kind:     hidden_block_count_y
      - .offset:         2936
        .size:           4
        .value_kind:     hidden_block_count_z
      - .offset:         2940
        .size:           2
        .value_kind:     hidden_group_size_x
      - .offset:         2942
        .size:           2
        .value_kind:     hidden_group_size_y
      - .offset:         2944
        .size:           2
        .value_kind:     hidden_group_size_z
      - .offset:         2946
        .size:           2
        .value_kind:     hidden_remainder_x
      - .offset:         2948
        .size:           2
        .value_kind:     hidden_remainder_y
      - .offset:         2950
        .size:           2
        .value_kind:     hidden_remainder_z
      - .offset:         2968
        .size:           8
        .value_kind:     hidden_global_offset_x
      - .offset:         2976
        .size:           8
        .value_kind:     hidden_global_offset_y
      - .offset:         2984
        .size:           8
        .value_kind:     hidden_global_offset_z
      - .offset:         2992
        .size:           2
        .value_kind:     hidden_grid_dims
    .group_segment_fixed_size: 0
    .kernarg_segment_align: 8
    .kernarg_segment_size: 3184
    .language:       OpenCL C
    .language_version:
      - 2
      - 0
    .max_flat_workgroup_size: 512
    .name:           _ZN2at6native12_GLOBAL__N_16kernel16gru_cell_forwardIN3c104HalfEflLi1EEEvNS_4cuda6detail10TensorInfoIT_T1_EESB_SB_SB_SB_SB_SB_SA_SA_
    .private_segment_fixed_size: 0
    .sgpr_count:     61
    .sgpr_spill_count: 0
    .symbol:         _ZN2at6native12_GLOBAL__N_16kernel16gru_cell_forwardIN3c104HalfEflLi1EEEvNS_4cuda6detail10TensorInfoIT_T1_EESB_SB_SB_SB_SB_SB_SA_SA_.kd
    .uniform_work_group_size: 1
    .uses_dynamic_stack: false
    .vgpr_count:     34
    .vgpr_spill_count: 0
    .wavefront_size: 32
  - .args:
      - .offset:         0
        .size:           416
        .value_kind:     by_value
      - .offset:         416
        .size:           416
        .value_kind:     by_value
      - .offset:         832
        .size:           416
        .value_kind:     by_value
      - .offset:         1248
        .size:           416
        .value_kind:     by_value
      - .offset:         1664
        .size:           416
        .value_kind:     by_value
      - .offset:         2080
        .size:           416
        .value_kind:     by_value
      - .offset:         2496
        .size:           416
        .value_kind:     by_value
      - .offset:         2912
        .size:           8
        .value_kind:     by_value
      - .offset:         2920
        .size:           8
        .value_kind:     by_value
      - .offset:         2928
        .size:           4
        .value_kind:     hidden_block_count_x
      - .offset:         2932
        .size:           4
        .value_kind:     hidden_block_count_y
      - .offset:         2936
        .size:           4
        .value_kind:     hidden_block_count_z
      - .offset:         2940
        .size:           2
        .value_kind:     hidden_group_size_x
      - .offset:         2942
        .size:           2
        .value_kind:     hidden_group_size_y
      - .offset:         2944
        .size:           2
        .value_kind:     hidden_group_size_z
      - .offset:         2946
        .size:           2
        .value_kind:     hidden_remainder_x
      - .offset:         2948
        .size:           2
        .value_kind:     hidden_remainder_y
      - .offset:         2950
        .size:           2
        .value_kind:     hidden_remainder_z
      - .offset:         2968
        .size:           8
        .value_kind:     hidden_global_offset_x
      - .offset:         2976
        .size:           8
        .value_kind:     hidden_global_offset_y
      - .offset:         2984
        .size:           8
        .value_kind:     hidden_global_offset_z
      - .offset:         2992
        .size:           2
        .value_kind:     hidden_grid_dims
    .group_segment_fixed_size: 0
    .kernarg_segment_align: 8
    .kernarg_segment_size: 3184
    .language:       OpenCL C
    .language_version:
      - 2
      - 0
    .max_flat_workgroup_size: 512
    .name:           _ZN2at6native12_GLOBAL__N_16kernel16gru_cell_forwardIN3c104HalfEflLi2EEEvNS_4cuda6detail10TensorInfoIT_T1_EESB_SB_SB_SB_SB_SB_SA_SA_
    .private_segment_fixed_size: 0
    .sgpr_count:     90
    .sgpr_spill_count: 0
    .symbol:         _ZN2at6native12_GLOBAL__N_16kernel16gru_cell_forwardIN3c104HalfEflLi2EEEvNS_4cuda6detail10TensorInfoIT_T1_EESB_SB_SB_SB_SB_SB_SA_SA_.kd
    .uniform_work_group_size: 1
    .uses_dynamic_stack: false
    .vgpr_count:     42
    .vgpr_spill_count: 0
    .wavefront_size: 32
  - .args:
      - .offset:         0
        .size:           216
        .value_kind:     by_value
      - .offset:         216
        .size:           216
        .value_kind:     by_value
      - .offset:         432
        .size:           216
        .value_kind:     by_value
      - .offset:         648
        .size:           216
        .value_kind:     by_value
      - .offset:         864
        .size:           216
        .value_kind:     by_value
      - .offset:         1080
        .size:           216
        .value_kind:     by_value
      - .offset:         1296
        .size:           216
        .value_kind:     by_value
      - .offset:         1512
        .size:           4
        .value_kind:     by_value
      - .offset:         1516
        .size:           4
        .value_kind:     by_value
      - .offset:         1520
        .size:           4
        .value_kind:     hidden_block_count_x
      - .offset:         1524
        .size:           4
        .value_kind:     hidden_block_count_y
      - .offset:         1528
        .size:           4
        .value_kind:     hidden_block_count_z
      - .offset:         1532
        .size:           2
        .value_kind:     hidden_group_size_x
      - .offset:         1534
        .size:           2
        .value_kind:     hidden_group_size_y
      - .offset:         1536
        .size:           2
        .value_kind:     hidden_group_size_z
      - .offset:         1538
        .size:           2
        .value_kind:     hidden_remainder_x
      - .offset:         1540
        .size:           2
        .value_kind:     hidden_remainder_y
      - .offset:         1542
        .size:           2
        .value_kind:     hidden_remainder_z
      - .offset:         1560
        .size:           8
        .value_kind:     hidden_global_offset_x
      - .offset:         1568
        .size:           8
        .value_kind:     hidden_global_offset_y
      - .offset:         1576
        .size:           8
        .value_kind:     hidden_global_offset_z
      - .offset:         1584
        .size:           2
        .value_kind:     hidden_grid_dims
    .group_segment_fixed_size: 0
    .kernarg_segment_align: 8
    .kernarg_segment_size: 1776
    .language:       OpenCL C
    .language_version:
      - 2
      - 0
    .max_flat_workgroup_size: 512
    .name:           _ZN2at6native12_GLOBAL__N_16kernel16gru_cell_forwardIN3c108BFloat16EfiLi1EEEvNS_4cuda6detail10TensorInfoIT_T1_EESB_SB_SB_SB_SB_SB_SA_SA_
    .private_segment_fixed_size: 0
    .sgpr_count:     39
    .sgpr_spill_count: 0
    .symbol:         _ZN2at6native12_GLOBAL__N_16kernel16gru_cell_forwardIN3c108BFloat16EfiLi1EEEvNS_4cuda6detail10TensorInfoIT_T1_EESB_SB_SB_SB_SB_SB_SA_SA_.kd
    .uniform_work_group_size: 1
    .uses_dynamic_stack: false
    .vgpr_count:     26
    .vgpr_spill_count: 0
    .wavefront_size: 32
  - .args:
      - .offset:         0
        .size:           216
        .value_kind:     by_value
      - .offset:         216
        .size:           216
        .value_kind:     by_value
      - .offset:         432
        .size:           216
        .value_kind:     by_value
      - .offset:         648
        .size:           216
        .value_kind:     by_value
      - .offset:         864
        .size:           216
        .value_kind:     by_value
      - .offset:         1080
        .size:           216
        .value_kind:     by_value
      - .offset:         1296
        .size:           216
        .value_kind:     by_value
      - .offset:         1512
        .size:           4
        .value_kind:     by_value
      - .offset:         1516
        .size:           4
        .value_kind:     by_value
      - .offset:         1520
        .size:           4
        .value_kind:     hidden_block_count_x
      - .offset:         1524
        .size:           4
        .value_kind:     hidden_block_count_y
      - .offset:         1528
        .size:           4
        .value_kind:     hidden_block_count_z
      - .offset:         1532
        .size:           2
        .value_kind:     hidden_group_size_x
      - .offset:         1534
        .size:           2
        .value_kind:     hidden_group_size_y
      - .offset:         1536
        .size:           2
        .value_kind:     hidden_group_size_z
      - .offset:         1538
        .size:           2
        .value_kind:     hidden_remainder_x
      - .offset:         1540
        .size:           2
        .value_kind:     hidden_remainder_y
      - .offset:         1542
        .size:           2
        .value_kind:     hidden_remainder_z
      - .offset:         1560
        .size:           8
        .value_kind:     hidden_global_offset_x
      - .offset:         1568
        .size:           8
        .value_kind:     hidden_global_offset_y
      - .offset:         1576
        .size:           8
        .value_kind:     hidden_global_offset_z
      - .offset:         1584
        .size:           2
        .value_kind:     hidden_grid_dims
    .group_segment_fixed_size: 0
    .kernarg_segment_align: 8
    .kernarg_segment_size: 1776
    .language:       OpenCL C
    .language_version:
      - 2
      - 0
    .max_flat_workgroup_size: 512
    .name:           _ZN2at6native12_GLOBAL__N_16kernel16gru_cell_forwardIN3c108BFloat16EfiLi2EEEvNS_4cuda6detail10TensorInfoIT_T1_EESB_SB_SB_SB_SB_SB_SA_SA_
    .private_segment_fixed_size: 0
    .sgpr_count:     70
    .sgpr_spill_count: 0
    .symbol:         _ZN2at6native12_GLOBAL__N_16kernel16gru_cell_forwardIN3c108BFloat16EfiLi2EEEvNS_4cuda6detail10TensorInfoIT_T1_EESB_SB_SB_SB_SB_SB_SA_SA_.kd
    .uniform_work_group_size: 1
    .uses_dynamic_stack: false
    .vgpr_count:     39
    .vgpr_spill_count: 0
    .wavefront_size: 32
  - .args:
      - .offset:         0
        .size:           416
        .value_kind:     by_value
      - .offset:         416
        .size:           416
        .value_kind:     by_value
      - .offset:         832
        .size:           416
        .value_kind:     by_value
      - .offset:         1248
        .size:           416
        .value_kind:     by_value
      - .offset:         1664
        .size:           416
        .value_kind:     by_value
      - .offset:         2080
        .size:           416
        .value_kind:     by_value
      - .offset:         2496
        .size:           416
        .value_kind:     by_value
      - .offset:         2912
        .size:           8
        .value_kind:     by_value
      - .offset:         2920
        .size:           8
        .value_kind:     by_value
      - .offset:         2928
        .size:           4
        .value_kind:     hidden_block_count_x
      - .offset:         2932
        .size:           4
        .value_kind:     hidden_block_count_y
      - .offset:         2936
        .size:           4
        .value_kind:     hidden_block_count_z
      - .offset:         2940
        .size:           2
        .value_kind:     hidden_group_size_x
      - .offset:         2942
        .size:           2
        .value_kind:     hidden_group_size_y
      - .offset:         2944
        .size:           2
        .value_kind:     hidden_group_size_z
      - .offset:         2946
        .size:           2
        .value_kind:     hidden_remainder_x
      - .offset:         2948
        .size:           2
        .value_kind:     hidden_remainder_y
      - .offset:         2950
        .size:           2
        .value_kind:     hidden_remainder_z
      - .offset:         2968
        .size:           8
        .value_kind:     hidden_global_offset_x
      - .offset:         2976
        .size:           8
        .value_kind:     hidden_global_offset_y
      - .offset:         2984
        .size:           8
        .value_kind:     hidden_global_offset_z
      - .offset:         2992
        .size:           2
        .value_kind:     hidden_grid_dims
    .group_segment_fixed_size: 0
    .kernarg_segment_align: 8
    .kernarg_segment_size: 3184
    .language:       OpenCL C
    .language_version:
      - 2
      - 0
    .max_flat_workgroup_size: 512
    .name:           _ZN2at6native12_GLOBAL__N_16kernel16gru_cell_forwardIN3c108BFloat16EflLi1EEEvNS_4cuda6detail10TensorInfoIT_T1_EESB_SB_SB_SB_SB_SB_SA_SA_
    .private_segment_fixed_size: 0
    .sgpr_count:     61
    .sgpr_spill_count: 0
    .symbol:         _ZN2at6native12_GLOBAL__N_16kernel16gru_cell_forwardIN3c108BFloat16EflLi1EEEvNS_4cuda6detail10TensorInfoIT_T1_EESB_SB_SB_SB_SB_SB_SA_SA_.kd
    .uniform_work_group_size: 1
    .uses_dynamic_stack: false
    .vgpr_count:     37
    .vgpr_spill_count: 0
    .wavefront_size: 32
  - .args:
      - .offset:         0
        .size:           416
        .value_kind:     by_value
      - .offset:         416
        .size:           416
        .value_kind:     by_value
      - .offset:         832
        .size:           416
        .value_kind:     by_value
      - .offset:         1248
        .size:           416
        .value_kind:     by_value
      - .offset:         1664
        .size:           416
        .value_kind:     by_value
      - .offset:         2080
        .size:           416
        .value_kind:     by_value
      - .offset:         2496
        .size:           416
        .value_kind:     by_value
      - .offset:         2912
        .size:           8
        .value_kind:     by_value
      - .offset:         2920
        .size:           8
        .value_kind:     by_value
      - .offset:         2928
        .size:           4
        .value_kind:     hidden_block_count_x
      - .offset:         2932
        .size:           4
        .value_kind:     hidden_block_count_y
      - .offset:         2936
        .size:           4
        .value_kind:     hidden_block_count_z
      - .offset:         2940
        .size:           2
        .value_kind:     hidden_group_size_x
      - .offset:         2942
        .size:           2
        .value_kind:     hidden_group_size_y
      - .offset:         2944
        .size:           2
        .value_kind:     hidden_group_size_z
      - .offset:         2946
        .size:           2
        .value_kind:     hidden_remainder_x
      - .offset:         2948
        .size:           2
        .value_kind:     hidden_remainder_y
      - .offset:         2950
        .size:           2
        .value_kind:     hidden_remainder_z
      - .offset:         2968
        .size:           8
        .value_kind:     hidden_global_offset_x
      - .offset:         2976
        .size:           8
        .value_kind:     hidden_global_offset_y
      - .offset:         2984
        .size:           8
        .value_kind:     hidden_global_offset_z
      - .offset:         2992
        .size:           2
        .value_kind:     hidden_grid_dims
    .group_segment_fixed_size: 0
    .kernarg_segment_align: 8
    .kernarg_segment_size: 3184
    .language:       OpenCL C
    .language_version:
      - 2
      - 0
    .max_flat_workgroup_size: 512
    .name:           _ZN2at6native12_GLOBAL__N_16kernel16gru_cell_forwardIN3c108BFloat16EflLi2EEEvNS_4cuda6detail10TensorInfoIT_T1_EESB_SB_SB_SB_SB_SB_SA_SA_
    .private_segment_fixed_size: 0
    .sgpr_count:     90
    .sgpr_spill_count: 0
    .symbol:         _ZN2at6native12_GLOBAL__N_16kernel16gru_cell_forwardIN3c108BFloat16EflLi2EEEvNS_4cuda6detail10TensorInfoIT_T1_EESB_SB_SB_SB_SB_SB_SA_SA_.kd
    .uniform_work_group_size: 1
    .uses_dynamic_stack: false
    .vgpr_count:     42
    .vgpr_spill_count: 0
    .wavefront_size: 32
  - .args:
      - .offset:         0
        .size:           216
        .value_kind:     by_value
      - .offset:         216
        .size:           216
        .value_kind:     by_value
      - .offset:         432
        .size:           216
        .value_kind:     by_value
      - .offset:         648
        .size:           216
        .value_kind:     by_value
      - .offset:         864
        .size:           216
        .value_kind:     by_value
      - .offset:         1080
        .size:           4
        .value_kind:     by_value
      - .offset:         1084
        .size:           4
        .value_kind:     by_value
      - .offset:         1088
        .size:           4
        .value_kind:     hidden_block_count_x
      - .offset:         1092
        .size:           4
        .value_kind:     hidden_block_count_y
      - .offset:         1096
        .size:           4
        .value_kind:     hidden_block_count_z
      - .offset:         1100
        .size:           2
        .value_kind:     hidden_group_size_x
      - .offset:         1102
        .size:           2
        .value_kind:     hidden_group_size_y
      - .offset:         1104
        .size:           2
        .value_kind:     hidden_group_size_z
      - .offset:         1106
        .size:           2
        .value_kind:     hidden_remainder_x
      - .offset:         1108
        .size:           2
        .value_kind:     hidden_remainder_y
      - .offset:         1110
        .size:           2
        .value_kind:     hidden_remainder_z
      - .offset:         1128
        .size:           8
        .value_kind:     hidden_global_offset_x
      - .offset:         1136
        .size:           8
        .value_kind:     hidden_global_offset_y
      - .offset:         1144
        .size:           8
        .value_kind:     hidden_global_offset_z
      - .offset:         1152
        .size:           2
        .value_kind:     hidden_grid_dims
    .group_segment_fixed_size: 0
    .kernarg_segment_align: 8
    .kernarg_segment_size: 1344
    .language:       OpenCL C
    .language_version:
      - 2
      - 0
    .max_flat_workgroup_size: 512
    .name:           _ZN2at6native12_GLOBAL__N_16kernel17gru_cell_backwardIddiLi1EEEvNS_4cuda6detail10TensorInfoIT_T1_EES9_S9_S9_S9_S8_S8_
    .private_segment_fixed_size: 0
    .sgpr_count:     28
    .sgpr_spill_count: 0
    .symbol:         _ZN2at6native12_GLOBAL__N_16kernel17gru_cell_backwardIddiLi1EEEvNS_4cuda6detail10TensorInfoIT_T1_EES9_S9_S9_S9_S8_S8_.kd
    .uniform_work_group_size: 1
    .uses_dynamic_stack: false
    .vgpr_count:     25
    .vgpr_spill_count: 0
    .wavefront_size: 32
  - .args:
      - .offset:         0
        .size:           216
        .value_kind:     by_value
      - .offset:         216
        .size:           216
        .value_kind:     by_value
      - .offset:         432
        .size:           216
        .value_kind:     by_value
      - .offset:         648
        .size:           216
        .value_kind:     by_value
      - .offset:         864
        .size:           216
        .value_kind:     by_value
      - .offset:         1080
        .size:           4
        .value_kind:     by_value
      - .offset:         1084
        .size:           4
        .value_kind:     by_value
      - .offset:         1088
        .size:           4
        .value_kind:     hidden_block_count_x
      - .offset:         1092
        .size:           4
        .value_kind:     hidden_block_count_y
      - .offset:         1096
        .size:           4
        .value_kind:     hidden_block_count_z
      - .offset:         1100
        .size:           2
        .value_kind:     hidden_group_size_x
      - .offset:         1102
        .size:           2
        .value_kind:     hidden_group_size_y
      - .offset:         1104
        .size:           2
        .value_kind:     hidden_group_size_z
      - .offset:         1106
        .size:           2
        .value_kind:     hidden_remainder_x
      - .offset:         1108
        .size:           2
        .value_kind:     hidden_remainder_y
      - .offset:         1110
        .size:           2
        .value_kind:     hidden_remainder_z
      - .offset:         1128
        .size:           8
        .value_kind:     hidden_global_offset_x
      - .offset:         1136
        .size:           8
        .value_kind:     hidden_global_offset_y
      - .offset:         1144
        .size:           8
        .value_kind:     hidden_global_offset_z
      - .offset:         1152
        .size:           2
        .value_kind:     hidden_grid_dims
    .group_segment_fixed_size: 0
    .kernarg_segment_align: 8
    .kernarg_segment_size: 1344
    .language:       OpenCL C
    .language_version:
      - 2
      - 0
    .max_flat_workgroup_size: 512
    .name:           _ZN2at6native12_GLOBAL__N_16kernel17gru_cell_backwardIddiLi2EEEvNS_4cuda6detail10TensorInfoIT_T1_EES9_S9_S9_S9_S8_S8_
    .private_segment_fixed_size: 0
    .sgpr_count:     61
    .sgpr_spill_count: 0
    .symbol:         _ZN2at6native12_GLOBAL__N_16kernel17gru_cell_backwardIddiLi2EEEvNS_4cuda6detail10TensorInfoIT_T1_EES9_S9_S9_S9_S8_S8_.kd
    .uniform_work_group_size: 1
    .uses_dynamic_stack: false
    .vgpr_count:     51
    .vgpr_spill_count: 0
    .wavefront_size: 32
  - .args:
      - .offset:         0
        .size:           416
        .value_kind:     by_value
      - .offset:         416
        .size:           416
        .value_kind:     by_value
      - .offset:         832
        .size:           416
        .value_kind:     by_value
      - .offset:         1248
        .size:           416
        .value_kind:     by_value
      - .offset:         1664
        .size:           416
        .value_kind:     by_value
      - .offset:         2080
        .size:           8
        .value_kind:     by_value
      - .offset:         2088
        .size:           8
        .value_kind:     by_value
      - .offset:         2096
        .size:           4
        .value_kind:     hidden_block_count_x
      - .offset:         2100
        .size:           4
        .value_kind:     hidden_block_count_y
      - .offset:         2104
        .size:           4
        .value_kind:     hidden_block_count_z
      - .offset:         2108
        .size:           2
        .value_kind:     hidden_group_size_x
      - .offset:         2110
        .size:           2
        .value_kind:     hidden_group_size_y
      - .offset:         2112
        .size:           2
        .value_kind:     hidden_group_size_z
      - .offset:         2114
        .size:           2
        .value_kind:     hidden_remainder_x
      - .offset:         2116
        .size:           2
        .value_kind:     hidden_remainder_y
      - .offset:         2118
        .size:           2
        .value_kind:     hidden_remainder_z
      - .offset:         2136
        .size:           8
        .value_kind:     hidden_global_offset_x
      - .offset:         2144
        .size:           8
        .value_kind:     hidden_global_offset_y
      - .offset:         2152
        .size:           8
        .value_kind:     hidden_global_offset_z
      - .offset:         2160
        .size:           2
        .value_kind:     hidden_grid_dims
    .group_segment_fixed_size: 0
    .kernarg_segment_align: 8
    .kernarg_segment_size: 2352
    .language:       OpenCL C
    .language_version:
      - 2
      - 0
    .max_flat_workgroup_size: 512
    .name:           _ZN2at6native12_GLOBAL__N_16kernel17gru_cell_backwardIddlLi1EEEvNS_4cuda6detail10TensorInfoIT_T1_EES9_S9_S9_S9_S8_S8_
    .private_segment_fixed_size: 0
    .sgpr_count:     49
    .sgpr_spill_count: 0
    .symbol:         _ZN2at6native12_GLOBAL__N_16kernel17gru_cell_backwardIddlLi1EEEvNS_4cuda6detail10TensorInfoIT_T1_EES9_S9_S9_S9_S8_S8_.kd
    .uniform_work_group_size: 1
    .uses_dynamic_stack: false
    .vgpr_count:     38
    .vgpr_spill_count: 0
    .wavefront_size: 32
  - .args:
      - .offset:         0
        .size:           416
        .value_kind:     by_value
      - .offset:         416
        .size:           416
        .value_kind:     by_value
      - .offset:         832
        .size:           416
        .value_kind:     by_value
      - .offset:         1248
        .size:           416
        .value_kind:     by_value
      - .offset:         1664
        .size:           416
        .value_kind:     by_value
      - .offset:         2080
        .size:           8
        .value_kind:     by_value
      - .offset:         2088
        .size:           8
        .value_kind:     by_value
      - .offset:         2096
        .size:           4
        .value_kind:     hidden_block_count_x
      - .offset:         2100
        .size:           4
        .value_kind:     hidden_block_count_y
      - .offset:         2104
        .size:           4
        .value_kind:     hidden_block_count_z
      - .offset:         2108
        .size:           2
        .value_kind:     hidden_group_size_x
      - .offset:         2110
        .size:           2
        .value_kind:     hidden_group_size_y
      - .offset:         2112
        .size:           2
        .value_kind:     hidden_group_size_z
      - .offset:         2114
        .size:           2
        .value_kind:     hidden_remainder_x
      - .offset:         2116
        .size:           2
        .value_kind:     hidden_remainder_y
      - .offset:         2118
        .size:           2
        .value_kind:     hidden_remainder_z
      - .offset:         2136
        .size:           8
        .value_kind:     hidden_global_offset_x
      - .offset:         2144
        .size:           8
        .value_kind:     hidden_global_offset_y
      - .offset:         2152
        .size:           8
        .value_kind:     hidden_global_offset_z
      - .offset:         2160
        .size:           2
        .value_kind:     hidden_grid_dims
    .group_segment_fixed_size: 0
    .kernarg_segment_align: 8
    .kernarg_segment_size: 2352
    .language:       OpenCL C
    .language_version:
      - 2
      - 0
    .max_flat_workgroup_size: 512
    .name:           _ZN2at6native12_GLOBAL__N_16kernel17gru_cell_backwardIddlLi2EEEvNS_4cuda6detail10TensorInfoIT_T1_EES9_S9_S9_S9_S8_S8_
    .private_segment_fixed_size: 0
    .sgpr_count:     78
    .sgpr_spill_count: 0
    .symbol:         _ZN2at6native12_GLOBAL__N_16kernel17gru_cell_backwardIddlLi2EEEvNS_4cuda6detail10TensorInfoIT_T1_EES9_S9_S9_S9_S8_S8_.kd
    .uniform_work_group_size: 1
    .uses_dynamic_stack: false
    .vgpr_count:     50
    .vgpr_spill_count: 0
    .wavefront_size: 32
  - .args:
      - .offset:         0
        .size:           216
        .value_kind:     by_value
      - .offset:         216
        .size:           216
        .value_kind:     by_value
      - .offset:         432
        .size:           216
        .value_kind:     by_value
      - .offset:         648
        .size:           216
        .value_kind:     by_value
      - .offset:         864
        .size:           216
        .value_kind:     by_value
      - .offset:         1080
        .size:           4
        .value_kind:     by_value
      - .offset:         1084
        .size:           4
        .value_kind:     by_value
      - .offset:         1088
        .size:           4
        .value_kind:     hidden_block_count_x
      - .offset:         1092
        .size:           4
        .value_kind:     hidden_block_count_y
      - .offset:         1096
        .size:           4
        .value_kind:     hidden_block_count_z
      - .offset:         1100
        .size:           2
        .value_kind:     hidden_group_size_x
      - .offset:         1102
        .size:           2
        .value_kind:     hidden_group_size_y
      - .offset:         1104
        .size:           2
        .value_kind:     hidden_group_size_z
      - .offset:         1106
        .size:           2
        .value_kind:     hidden_remainder_x
      - .offset:         1108
        .size:           2
        .value_kind:     hidden_remainder_y
      - .offset:         1110
        .size:           2
        .value_kind:     hidden_remainder_z
      - .offset:         1128
        .size:           8
        .value_kind:     hidden_global_offset_x
      - .offset:         1136
        .size:           8
        .value_kind:     hidden_global_offset_y
      - .offset:         1144
        .size:           8
        .value_kind:     hidden_global_offset_z
      - .offset:         1152
        .size:           2
        .value_kind:     hidden_grid_dims
    .group_segment_fixed_size: 0
    .kernarg_segment_align: 8
    .kernarg_segment_size: 1344
    .language:       OpenCL C
    .language_version:
      - 2
      - 0
    .max_flat_workgroup_size: 512
    .name:           _ZN2at6native12_GLOBAL__N_16kernel17gru_cell_backwardIffiLi1EEEvNS_4cuda6detail10TensorInfoIT_T1_EES9_S9_S9_S9_S8_S8_
    .private_segment_fixed_size: 0
    .sgpr_count:     28
    .sgpr_spill_count: 0
    .symbol:         _ZN2at6native12_GLOBAL__N_16kernel17gru_cell_backwardIffiLi1EEEvNS_4cuda6detail10TensorInfoIT_T1_EES9_S9_S9_S9_S8_S8_.kd
    .uniform_work_group_size: 1
    .uses_dynamic_stack: false
    .vgpr_count:     20
    .vgpr_spill_count: 0
    .wavefront_size: 32
  - .args:
      - .offset:         0
        .size:           216
        .value_kind:     by_value
      - .offset:         216
        .size:           216
        .value_kind:     by_value
      - .offset:         432
        .size:           216
        .value_kind:     by_value
      - .offset:         648
        .size:           216
        .value_kind:     by_value
      - .offset:         864
        .size:           216
        .value_kind:     by_value
      - .offset:         1080
        .size:           4
        .value_kind:     by_value
      - .offset:         1084
        .size:           4
        .value_kind:     by_value
      - .offset:         1088
        .size:           4
        .value_kind:     hidden_block_count_x
      - .offset:         1092
        .size:           4
        .value_kind:     hidden_block_count_y
      - .offset:         1096
        .size:           4
        .value_kind:     hidden_block_count_z
      - .offset:         1100
        .size:           2
        .value_kind:     hidden_group_size_x
      - .offset:         1102
        .size:           2
        .value_kind:     hidden_group_size_y
      - .offset:         1104
        .size:           2
        .value_kind:     hidden_group_size_z
      - .offset:         1106
        .size:           2
        .value_kind:     hidden_remainder_x
      - .offset:         1108
        .size:           2
        .value_kind:     hidden_remainder_y
      - .offset:         1110
        .size:           2
        .value_kind:     hidden_remainder_z
      - .offset:         1128
        .size:           8
        .value_kind:     hidden_global_offset_x
      - .offset:         1136
        .size:           8
        .value_kind:     hidden_global_offset_y
      - .offset:         1144
        .size:           8
        .value_kind:     hidden_global_offset_z
      - .offset:         1152
        .size:           2
        .value_kind:     hidden_grid_dims
    .group_segment_fixed_size: 0
    .kernarg_segment_align: 8
    .kernarg_segment_size: 1344
    .language:       OpenCL C
    .language_version:
      - 2
      - 0
    .max_flat_workgroup_size: 512
    .name:           _ZN2at6native12_GLOBAL__N_16kernel17gru_cell_backwardIffiLi2EEEvNS_4cuda6detail10TensorInfoIT_T1_EES9_S9_S9_S9_S8_S8_
    .private_segment_fixed_size: 0
    .sgpr_count:     61
    .sgpr_spill_count: 0
    .symbol:         _ZN2at6native12_GLOBAL__N_16kernel17gru_cell_backwardIffiLi2EEEvNS_4cuda6detail10TensorInfoIT_T1_EES9_S9_S9_S9_S8_S8_.kd
    .uniform_work_group_size: 1
    .uses_dynamic_stack: false
    .vgpr_count:     39
    .vgpr_spill_count: 0
    .wavefront_size: 32
  - .args:
      - .offset:         0
        .size:           416
        .value_kind:     by_value
      - .offset:         416
        .size:           416
        .value_kind:     by_value
      - .offset:         832
        .size:           416
        .value_kind:     by_value
      - .offset:         1248
        .size:           416
        .value_kind:     by_value
      - .offset:         1664
        .size:           416
        .value_kind:     by_value
      - .offset:         2080
        .size:           8
        .value_kind:     by_value
      - .offset:         2088
        .size:           8
        .value_kind:     by_value
      - .offset:         2096
        .size:           4
        .value_kind:     hidden_block_count_x
      - .offset:         2100
        .size:           4
        .value_kind:     hidden_block_count_y
      - .offset:         2104
        .size:           4
        .value_kind:     hidden_block_count_z
      - .offset:         2108
        .size:           2
        .value_kind:     hidden_group_size_x
      - .offset:         2110
        .size:           2
        .value_kind:     hidden_group_size_y
      - .offset:         2112
        .size:           2
        .value_kind:     hidden_group_size_z
      - .offset:         2114
        .size:           2
        .value_kind:     hidden_remainder_x
      - .offset:         2116
        .size:           2
        .value_kind:     hidden_remainder_y
      - .offset:         2118
        .size:           2
        .value_kind:     hidden_remainder_z
      - .offset:         2136
        .size:           8
        .value_kind:     hidden_global_offset_x
      - .offset:         2144
        .size:           8
        .value_kind:     hidden_global_offset_y
      - .offset:         2152
        .size:           8
        .value_kind:     hidden_global_offset_z
      - .offset:         2160
        .size:           2
        .value_kind:     hidden_grid_dims
    .group_segment_fixed_size: 0
    .kernarg_segment_align: 8
    .kernarg_segment_size: 2352
    .language:       OpenCL C
    .language_version:
      - 2
      - 0
    .max_flat_workgroup_size: 512
    .name:           _ZN2at6native12_GLOBAL__N_16kernel17gru_cell_backwardIfflLi1EEEvNS_4cuda6detail10TensorInfoIT_T1_EES9_S9_S9_S9_S8_S8_
    .private_segment_fixed_size: 0
    .sgpr_count:     49
    .sgpr_spill_count: 0
    .symbol:         _ZN2at6native12_GLOBAL__N_16kernel17gru_cell_backwardIfflLi1EEEvNS_4cuda6detail10TensorInfoIT_T1_EES9_S9_S9_S9_S8_S8_.kd
    .uniform_work_group_size: 1
    .uses_dynamic_stack: false
    .vgpr_count:     29
    .vgpr_spill_count: 0
    .wavefront_size: 32
  - .args:
      - .offset:         0
        .size:           416
        .value_kind:     by_value
      - .offset:         416
        .size:           416
        .value_kind:     by_value
      - .offset:         832
        .size:           416
        .value_kind:     by_value
      - .offset:         1248
        .size:           416
        .value_kind:     by_value
      - .offset:         1664
        .size:           416
        .value_kind:     by_value
      - .offset:         2080
        .size:           8
        .value_kind:     by_value
      - .offset:         2088
        .size:           8
        .value_kind:     by_value
      - .offset:         2096
        .size:           4
        .value_kind:     hidden_block_count_x
      - .offset:         2100
        .size:           4
        .value_kind:     hidden_block_count_y
      - .offset:         2104
        .size:           4
        .value_kind:     hidden_block_count_z
      - .offset:         2108
        .size:           2
        .value_kind:     hidden_group_size_x
      - .offset:         2110
        .size:           2
        .value_kind:     hidden_group_size_y
      - .offset:         2112
        .size:           2
        .value_kind:     hidden_group_size_z
      - .offset:         2114
        .size:           2
        .value_kind:     hidden_remainder_x
      - .offset:         2116
        .size:           2
        .value_kind:     hidden_remainder_y
      - .offset:         2118
        .size:           2
        .value_kind:     hidden_remainder_z
      - .offset:         2136
        .size:           8
        .value_kind:     hidden_global_offset_x
      - .offset:         2144
        .size:           8
        .value_kind:     hidden_global_offset_y
      - .offset:         2152
        .size:           8
        .value_kind:     hidden_global_offset_z
      - .offset:         2160
        .size:           2
        .value_kind:     hidden_grid_dims
    .group_segment_fixed_size: 0
    .kernarg_segment_align: 8
    .kernarg_segment_size: 2352
    .language:       OpenCL C
    .language_version:
      - 2
      - 0
    .max_flat_workgroup_size: 512
    .name:           _ZN2at6native12_GLOBAL__N_16kernel17gru_cell_backwardIfflLi2EEEvNS_4cuda6detail10TensorInfoIT_T1_EES9_S9_S9_S9_S8_S8_
    .private_segment_fixed_size: 0
    .sgpr_count:     78
    .sgpr_spill_count: 0
    .symbol:         _ZN2at6native12_GLOBAL__N_16kernel17gru_cell_backwardIfflLi2EEEvNS_4cuda6detail10TensorInfoIT_T1_EES9_S9_S9_S9_S8_S8_.kd
    .uniform_work_group_size: 1
    .uses_dynamic_stack: false
    .vgpr_count:     42
    .vgpr_spill_count: 0
    .wavefront_size: 32
  - .args:
      - .offset:         0
        .size:           216
        .value_kind:     by_value
      - .offset:         216
        .size:           216
        .value_kind:     by_value
      - .offset:         432
        .size:           216
        .value_kind:     by_value
      - .offset:         648
        .size:           216
        .value_kind:     by_value
      - .offset:         864
        .size:           216
        .value_kind:     by_value
      - .offset:         1080
        .size:           4
        .value_kind:     by_value
      - .offset:         1084
        .size:           4
        .value_kind:     by_value
      - .offset:         1088
        .size:           4
        .value_kind:     hidden_block_count_x
      - .offset:         1092
        .size:           4
        .value_kind:     hidden_block_count_y
      - .offset:         1096
        .size:           4
        .value_kind:     hidden_block_count_z
      - .offset:         1100
        .size:           2
        .value_kind:     hidden_group_size_x
      - .offset:         1102
        .size:           2
        .value_kind:     hidden_group_size_y
      - .offset:         1104
        .size:           2
        .value_kind:     hidden_group_size_z
      - .offset:         1106
        .size:           2
        .value_kind:     hidden_remainder_x
      - .offset:         1108
        .size:           2
        .value_kind:     hidden_remainder_y
      - .offset:         1110
        .size:           2
        .value_kind:     hidden_remainder_z
      - .offset:         1128
        .size:           8
        .value_kind:     hidden_global_offset_x
      - .offset:         1136
        .size:           8
        .value_kind:     hidden_global_offset_y
      - .offset:         1144
        .size:           8
        .value_kind:     hidden_global_offset_z
      - .offset:         1152
        .size:           2
        .value_kind:     hidden_grid_dims
    .group_segment_fixed_size: 0
    .kernarg_segment_align: 8
    .kernarg_segment_size: 1344
    .language:       OpenCL C
    .language_version:
      - 2
      - 0
    .max_flat_workgroup_size: 512
    .name:           _ZN2at6native12_GLOBAL__N_16kernel17gru_cell_backwardIN3c104HalfEfiLi1EEEvNS_4cuda6detail10TensorInfoIT_T1_EESB_SB_SB_SB_SA_SA_
    .private_segment_fixed_size: 0
    .sgpr_count:     28
    .sgpr_spill_count: 0
    .symbol:         _ZN2at6native12_GLOBAL__N_16kernel17gru_cell_backwardIN3c104HalfEfiLi1EEEvNS_4cuda6detail10TensorInfoIT_T1_EESB_SB_SB_SB_SA_SA_.kd
    .uniform_work_group_size: 1
    .uses_dynamic_stack: false
    .vgpr_count:     20
    .vgpr_spill_count: 0
    .wavefront_size: 32
  - .args:
      - .offset:         0
        .size:           216
        .value_kind:     by_value
      - .offset:         216
        .size:           216
        .value_kind:     by_value
      - .offset:         432
        .size:           216
        .value_kind:     by_value
      - .offset:         648
        .size:           216
        .value_kind:     by_value
      - .offset:         864
        .size:           216
        .value_kind:     by_value
      - .offset:         1080
        .size:           4
        .value_kind:     by_value
      - .offset:         1084
        .size:           4
        .value_kind:     by_value
      - .offset:         1088
        .size:           4
        .value_kind:     hidden_block_count_x
      - .offset:         1092
        .size:           4
        .value_kind:     hidden_block_count_y
      - .offset:         1096
        .size:           4
        .value_kind:     hidden_block_count_z
      - .offset:         1100
        .size:           2
        .value_kind:     hidden_group_size_x
      - .offset:         1102
        .size:           2
        .value_kind:     hidden_group_size_y
      - .offset:         1104
        .size:           2
        .value_kind:     hidden_group_size_z
      - .offset:         1106
        .size:           2
        .value_kind:     hidden_remainder_x
      - .offset:         1108
        .size:           2
        .value_kind:     hidden_remainder_y
      - .offset:         1110
        .size:           2
        .value_kind:     hidden_remainder_z
      - .offset:         1128
        .size:           8
        .value_kind:     hidden_global_offset_x
      - .offset:         1136
        .size:           8
        .value_kind:     hidden_global_offset_y
      - .offset:         1144
        .size:           8
        .value_kind:     hidden_global_offset_z
      - .offset:         1152
        .size:           2
        .value_kind:     hidden_grid_dims
    .group_segment_fixed_size: 0
    .kernarg_segment_align: 8
    .kernarg_segment_size: 1344
    .language:       OpenCL C
    .language_version:
      - 2
      - 0
    .max_flat_workgroup_size: 512
    .name:           _ZN2at6native12_GLOBAL__N_16kernel17gru_cell_backwardIN3c104HalfEfiLi2EEEvNS_4cuda6detail10TensorInfoIT_T1_EESB_SB_SB_SB_SA_SA_
    .private_segment_fixed_size: 0
    .sgpr_count:     62
    .sgpr_spill_count: 0
    .symbol:         _ZN2at6native12_GLOBAL__N_16kernel17gru_cell_backwardIN3c104HalfEfiLi2EEEvNS_4cuda6detail10TensorInfoIT_T1_EESB_SB_SB_SB_SA_SA_.kd
    .uniform_work_group_size: 1
    .uses_dynamic_stack: false
    .vgpr_count:     39
    .vgpr_spill_count: 0
    .wavefront_size: 32
  - .args:
      - .offset:         0
        .size:           416
        .value_kind:     by_value
      - .offset:         416
        .size:           416
        .value_kind:     by_value
      - .offset:         832
        .size:           416
        .value_kind:     by_value
      - .offset:         1248
        .size:           416
        .value_kind:     by_value
      - .offset:         1664
        .size:           416
        .value_kind:     by_value
      - .offset:         2080
        .size:           8
        .value_kind:     by_value
      - .offset:         2088
        .size:           8
        .value_kind:     by_value
      - .offset:         2096
        .size:           4
        .value_kind:     hidden_block_count_x
      - .offset:         2100
        .size:           4
        .value_kind:     hidden_block_count_y
      - .offset:         2104
        .size:           4
        .value_kind:     hidden_block_count_z
      - .offset:         2108
        .size:           2
        .value_kind:     hidden_group_size_x
      - .offset:         2110
        .size:           2
        .value_kind:     hidden_group_size_y
      - .offset:         2112
        .size:           2
        .value_kind:     hidden_group_size_z
      - .offset:         2114
        .size:           2
        .value_kind:     hidden_remainder_x
      - .offset:         2116
        .size:           2
        .value_kind:     hidden_remainder_y
      - .offset:         2118
        .size:           2
        .value_kind:     hidden_remainder_z
      - .offset:         2136
        .size:           8
        .value_kind:     hidden_global_offset_x
      - .offset:         2144
        .size:           8
        .value_kind:     hidden_global_offset_y
      - .offset:         2152
        .size:           8
        .value_kind:     hidden_global_offset_z
      - .offset:         2160
        .size:           2
        .value_kind:     hidden_grid_dims
    .group_segment_fixed_size: 0
    .kernarg_segment_align: 8
    .kernarg_segment_size: 2352
    .language:       OpenCL C
    .language_version:
      - 2
      - 0
    .max_flat_workgroup_size: 512
    .name:           _ZN2at6native12_GLOBAL__N_16kernel17gru_cell_backwardIN3c104HalfEflLi1EEEvNS_4cuda6detail10TensorInfoIT_T1_EESB_SB_SB_SB_SA_SA_
    .private_segment_fixed_size: 0
    .sgpr_count:     50
    .sgpr_spill_count: 0
    .symbol:         _ZN2at6native12_GLOBAL__N_16kernel17gru_cell_backwardIN3c104HalfEflLi1EEEvNS_4cuda6detail10TensorInfoIT_T1_EESB_SB_SB_SB_SA_SA_.kd
    .uniform_work_group_size: 1
    .uses_dynamic_stack: false
    .vgpr_count:     32
    .vgpr_spill_count: 0
    .wavefront_size: 32
  - .args:
      - .offset:         0
        .size:           416
        .value_kind:     by_value
      - .offset:         416
        .size:           416
        .value_kind:     by_value
      - .offset:         832
        .size:           416
        .value_kind:     by_value
      - .offset:         1248
        .size:           416
        .value_kind:     by_value
      - .offset:         1664
        .size:           416
        .value_kind:     by_value
      - .offset:         2080
        .size:           8
        .value_kind:     by_value
      - .offset:         2088
        .size:           8
        .value_kind:     by_value
      - .offset:         2096
        .size:           4
        .value_kind:     hidden_block_count_x
      - .offset:         2100
        .size:           4
        .value_kind:     hidden_block_count_y
      - .offset:         2104
        .size:           4
        .value_kind:     hidden_block_count_z
      - .offset:         2108
        .size:           2
        .value_kind:     hidden_group_size_x
      - .offset:         2110
        .size:           2
        .value_kind:     hidden_group_size_y
      - .offset:         2112
        .size:           2
        .value_kind:     hidden_group_size_z
      - .offset:         2114
        .size:           2
        .value_kind:     hidden_remainder_x
      - .offset:         2116
        .size:           2
        .value_kind:     hidden_remainder_y
      - .offset:         2118
        .size:           2
        .value_kind:     hidden_remainder_z
      - .offset:         2136
        .size:           8
        .value_kind:     hidden_global_offset_x
      - .offset:         2144
        .size:           8
        .value_kind:     hidden_global_offset_y
      - .offset:         2152
        .size:           8
        .value_kind:     hidden_global_offset_z
      - .offset:         2160
        .size:           2
        .value_kind:     hidden_grid_dims
    .group_segment_fixed_size: 0
    .kernarg_segment_align: 8
    .kernarg_segment_size: 2352
    .language:       OpenCL C
    .language_version:
      - 2
      - 0
    .max_flat_workgroup_size: 512
    .name:           _ZN2at6native12_GLOBAL__N_16kernel17gru_cell_backwardIN3c104HalfEflLi2EEEvNS_4cuda6detail10TensorInfoIT_T1_EESB_SB_SB_SB_SA_SA_
    .private_segment_fixed_size: 0
    .sgpr_count:     79
    .sgpr_spill_count: 0
    .symbol:         _ZN2at6native12_GLOBAL__N_16kernel17gru_cell_backwardIN3c104HalfEflLi2EEEvNS_4cuda6detail10TensorInfoIT_T1_EESB_SB_SB_SB_SA_SA_.kd
    .uniform_work_group_size: 1
    .uses_dynamic_stack: false
    .vgpr_count:     42
    .vgpr_spill_count: 0
    .wavefront_size: 32
  - .args:
      - .offset:         0
        .size:           216
        .value_kind:     by_value
      - .offset:         216
        .size:           216
        .value_kind:     by_value
      - .offset:         432
        .size:           216
        .value_kind:     by_value
      - .offset:         648
        .size:           216
        .value_kind:     by_value
      - .offset:         864
        .size:           216
        .value_kind:     by_value
      - .offset:         1080
        .size:           4
        .value_kind:     by_value
      - .offset:         1084
        .size:           4
        .value_kind:     by_value
      - .offset:         1088
        .size:           4
        .value_kind:     hidden_block_count_x
      - .offset:         1092
        .size:           4
        .value_kind:     hidden_block_count_y
      - .offset:         1096
        .size:           4
        .value_kind:     hidden_block_count_z
      - .offset:         1100
        .size:           2
        .value_kind:     hidden_group_size_x
      - .offset:         1102
        .size:           2
        .value_kind:     hidden_group_size_y
      - .offset:         1104
        .size:           2
        .value_kind:     hidden_group_size_z
      - .offset:         1106
        .size:           2
        .value_kind:     hidden_remainder_x
      - .offset:         1108
        .size:           2
        .value_kind:     hidden_remainder_y
      - .offset:         1110
        .size:           2
        .value_kind:     hidden_remainder_z
      - .offset:         1128
        .size:           8
        .value_kind:     hidden_global_offset_x
      - .offset:         1136
        .size:           8
        .value_kind:     hidden_global_offset_y
      - .offset:         1144
        .size:           8
        .value_kind:     hidden_global_offset_z
      - .offset:         1152
        .size:           2
        .value_kind:     hidden_grid_dims
    .group_segment_fixed_size: 0
    .kernarg_segment_align: 8
    .kernarg_segment_size: 1344
    .language:       OpenCL C
    .language_version:
      - 2
      - 0
    .max_flat_workgroup_size: 512
    .name:           _ZN2at6native12_GLOBAL__N_16kernel17gru_cell_backwardIN3c108BFloat16EfiLi1EEEvNS_4cuda6detail10TensorInfoIT_T1_EESB_SB_SB_SB_SA_SA_
    .private_segment_fixed_size: 0
    .sgpr_count:     29
    .sgpr_spill_count: 0
    .symbol:         _ZN2at6native12_GLOBAL__N_16kernel17gru_cell_backwardIN3c108BFloat16EfiLi1EEEvNS_4cuda6detail10TensorInfoIT_T1_EESB_SB_SB_SB_SA_SA_.kd
    .uniform_work_group_size: 1
    .uses_dynamic_stack: false
    .vgpr_count:     22
    .vgpr_spill_count: 0
    .wavefront_size: 32
  - .args:
      - .offset:         0
        .size:           216
        .value_kind:     by_value
      - .offset:         216
        .size:           216
        .value_kind:     by_value
      - .offset:         432
        .size:           216
        .value_kind:     by_value
      - .offset:         648
        .size:           216
        .value_kind:     by_value
      - .offset:         864
        .size:           216
        .value_kind:     by_value
      - .offset:         1080
        .size:           4
        .value_kind:     by_value
      - .offset:         1084
        .size:           4
        .value_kind:     by_value
      - .offset:         1088
        .size:           4
        .value_kind:     hidden_block_count_x
      - .offset:         1092
        .size:           4
        .value_kind:     hidden_block_count_y
      - .offset:         1096
        .size:           4
        .value_kind:     hidden_block_count_z
      - .offset:         1100
        .size:           2
        .value_kind:     hidden_group_size_x
      - .offset:         1102
        .size:           2
        .value_kind:     hidden_group_size_y
      - .offset:         1104
        .size:           2
        .value_kind:     hidden_group_size_z
      - .offset:         1106
        .size:           2
        .value_kind:     hidden_remainder_x
      - .offset:         1108
        .size:           2
        .value_kind:     hidden_remainder_y
      - .offset:         1110
        .size:           2
        .value_kind:     hidden_remainder_z
      - .offset:         1128
        .size:           8
        .value_kind:     hidden_global_offset_x
      - .offset:         1136
        .size:           8
        .value_kind:     hidden_global_offset_y
      - .offset:         1144
        .size:           8
        .value_kind:     hidden_global_offset_z
      - .offset:         1152
        .size:           2
        .value_kind:     hidden_grid_dims
    .group_segment_fixed_size: 0
    .kernarg_segment_align: 8
    .kernarg_segment_size: 1344
    .language:       OpenCL C
    .language_version:
      - 2
      - 0
    .max_flat_workgroup_size: 512
    .name:           _ZN2at6native12_GLOBAL__N_16kernel17gru_cell_backwardIN3c108BFloat16EfiLi2EEEvNS_4cuda6detail10TensorInfoIT_T1_EESB_SB_SB_SB_SA_SA_
    .private_segment_fixed_size: 0
    .sgpr_count:     61
    .sgpr_spill_count: 0
    .symbol:         _ZN2at6native12_GLOBAL__N_16kernel17gru_cell_backwardIN3c108BFloat16EfiLi2EEEvNS_4cuda6detail10TensorInfoIT_T1_EESB_SB_SB_SB_SA_SA_.kd
    .uniform_work_group_size: 1
    .uses_dynamic_stack: false
    .vgpr_count:     39
    .vgpr_spill_count: 0
    .wavefront_size: 32
  - .args:
      - .offset:         0
        .size:           416
        .value_kind:     by_value
      - .offset:         416
        .size:           416
        .value_kind:     by_value
      - .offset:         832
        .size:           416
        .value_kind:     by_value
      - .offset:         1248
        .size:           416
        .value_kind:     by_value
      - .offset:         1664
        .size:           416
        .value_kind:     by_value
      - .offset:         2080
        .size:           8
        .value_kind:     by_value
      - .offset:         2088
        .size:           8
        .value_kind:     by_value
      - .offset:         2096
        .size:           4
        .value_kind:     hidden_block_count_x
      - .offset:         2100
        .size:           4
        .value_kind:     hidden_block_count_y
      - .offset:         2104
        .size:           4
        .value_kind:     hidden_block_count_z
      - .offset:         2108
        .size:           2
        .value_kind:     hidden_group_size_x
      - .offset:         2110
        .size:           2
        .value_kind:     hidden_group_size_y
      - .offset:         2112
        .size:           2
        .value_kind:     hidden_group_size_z
      - .offset:         2114
        .size:           2
        .value_kind:     hidden_remainder_x
      - .offset:         2116
        .size:           2
        .value_kind:     hidden_remainder_y
      - .offset:         2118
        .size:           2
        .value_kind:     hidden_remainder_z
      - .offset:         2136
        .size:           8
        .value_kind:     hidden_global_offset_x
      - .offset:         2144
        .size:           8
        .value_kind:     hidden_global_offset_y
      - .offset:         2152
        .size:           8
        .value_kind:     hidden_global_offset_z
      - .offset:         2160
        .size:           2
        .value_kind:     hidden_grid_dims
    .group_segment_fixed_size: 0
    .kernarg_segment_align: 8
    .kernarg_segment_size: 2352
    .language:       OpenCL C
    .language_version:
      - 2
      - 0
    .max_flat_workgroup_size: 512
    .name:           _ZN2at6native12_GLOBAL__N_16kernel17gru_cell_backwardIN3c108BFloat16EflLi1EEEvNS_4cuda6detail10TensorInfoIT_T1_EESB_SB_SB_SB_SA_SA_
    .private_segment_fixed_size: 0
    .sgpr_count:     49
    .sgpr_spill_count: 0
    .symbol:         _ZN2at6native12_GLOBAL__N_16kernel17gru_cell_backwardIN3c108BFloat16EflLi1EEEvNS_4cuda6detail10TensorInfoIT_T1_EESB_SB_SB_SB_SA_SA_.kd
    .uniform_work_group_size: 1
    .uses_dynamic_stack: false
    .vgpr_count:     30
    .vgpr_spill_count: 0
    .wavefront_size: 32
  - .args:
      - .offset:         0
        .size:           416
        .value_kind:     by_value
      - .offset:         416
        .size:           416
        .value_kind:     by_value
      - .offset:         832
        .size:           416
        .value_kind:     by_value
      - .offset:         1248
        .size:           416
        .value_kind:     by_value
      - .offset:         1664
        .size:           416
        .value_kind:     by_value
      - .offset:         2080
        .size:           8
        .value_kind:     by_value
      - .offset:         2088
        .size:           8
        .value_kind:     by_value
      - .offset:         2096
        .size:           4
        .value_kind:     hidden_block_count_x
      - .offset:         2100
        .size:           4
        .value_kind:     hidden_block_count_y
      - .offset:         2104
        .size:           4
        .value_kind:     hidden_block_count_z
      - .offset:         2108
        .size:           2
        .value_kind:     hidden_group_size_x
      - .offset:         2110
        .size:           2
        .value_kind:     hidden_group_size_y
      - .offset:         2112
        .size:           2
        .value_kind:     hidden_group_size_z
      - .offset:         2114
        .size:           2
        .value_kind:     hidden_remainder_x
      - .offset:         2116
        .size:           2
        .value_kind:     hidden_remainder_y
      - .offset:         2118
        .size:           2
        .value_kind:     hidden_remainder_z
      - .offset:         2136
        .size:           8
        .value_kind:     hidden_global_offset_x
      - .offset:         2144
        .size:           8
        .value_kind:     hidden_global_offset_y
      - .offset:         2152
        .size:           8
        .value_kind:     hidden_global_offset_z
      - .offset:         2160
        .size:           2
        .value_kind:     hidden_grid_dims
    .group_segment_fixed_size: 0
    .kernarg_segment_align: 8
    .kernarg_segment_size: 2352
    .language:       OpenCL C
    .language_version:
      - 2
      - 0
    .max_flat_workgroup_size: 512
    .name:           _ZN2at6native12_GLOBAL__N_16kernel17gru_cell_backwardIN3c108BFloat16EflLi2EEEvNS_4cuda6detail10TensorInfoIT_T1_EESB_SB_SB_SB_SA_SA_
    .private_segment_fixed_size: 0
    .sgpr_count:     78
    .sgpr_spill_count: 0
    .symbol:         _ZN2at6native12_GLOBAL__N_16kernel17gru_cell_backwardIN3c108BFloat16EflLi2EEEvNS_4cuda6detail10TensorInfoIT_T1_EESB_SB_SB_SB_SA_SA_.kd
    .uniform_work_group_size: 1
    .uses_dynamic_stack: false
    .vgpr_count:     42
    .vgpr_spill_count: 0
    .wavefront_size: 32
amdhsa.target:   amdgcn-amd-amdhsa--gfx1250
amdhsa.version:
  - 1
  - 2
...

	.end_amdgpu_metadata
